;; amdgpu-corpus repo=zjin-lcf/HeCBench kind=compiled arch=gfx906 opt=O3
	.amdgcn_target "amdgcn-amd-amdhsa--gfx906"
	.amdhsa_code_object_version 6
	.section	.text._ZN7rocprim17ROCPRIM_400000_NS6detail17trampoline_kernelINS0_14default_configENS1_22reduce_config_selectorIlEEZNS1_11reduce_implILb1ES3_PlS7_lN6hipcub16HIPCUB_304000_NS6detail34convert_binary_result_type_wrapperINS9_3SumENS9_22TransformInputIteratorIb7NonZeroIaEPalEElEEEE10hipError_tPvRmT1_T2_T3_mT4_P12ihipStream_tbEUlT_E0_NS1_11comp_targetILNS1_3genE0ELNS1_11target_archE4294967295ELNS1_3gpuE0ELNS1_3repE0EEENS1_30default_config_static_selectorELNS0_4arch9wavefront6targetE1EEEvSM_,"axG",@progbits,_ZN7rocprim17ROCPRIM_400000_NS6detail17trampoline_kernelINS0_14default_configENS1_22reduce_config_selectorIlEEZNS1_11reduce_implILb1ES3_PlS7_lN6hipcub16HIPCUB_304000_NS6detail34convert_binary_result_type_wrapperINS9_3SumENS9_22TransformInputIteratorIb7NonZeroIaEPalEElEEEE10hipError_tPvRmT1_T2_T3_mT4_P12ihipStream_tbEUlT_E0_NS1_11comp_targetILNS1_3genE0ELNS1_11target_archE4294967295ELNS1_3gpuE0ELNS1_3repE0EEENS1_30default_config_static_selectorELNS0_4arch9wavefront6targetE1EEEvSM_,comdat
	.protected	_ZN7rocprim17ROCPRIM_400000_NS6detail17trampoline_kernelINS0_14default_configENS1_22reduce_config_selectorIlEEZNS1_11reduce_implILb1ES3_PlS7_lN6hipcub16HIPCUB_304000_NS6detail34convert_binary_result_type_wrapperINS9_3SumENS9_22TransformInputIteratorIb7NonZeroIaEPalEElEEEE10hipError_tPvRmT1_T2_T3_mT4_P12ihipStream_tbEUlT_E0_NS1_11comp_targetILNS1_3genE0ELNS1_11target_archE4294967295ELNS1_3gpuE0ELNS1_3repE0EEENS1_30default_config_static_selectorELNS0_4arch9wavefront6targetE1EEEvSM_ ; -- Begin function _ZN7rocprim17ROCPRIM_400000_NS6detail17trampoline_kernelINS0_14default_configENS1_22reduce_config_selectorIlEEZNS1_11reduce_implILb1ES3_PlS7_lN6hipcub16HIPCUB_304000_NS6detail34convert_binary_result_type_wrapperINS9_3SumENS9_22TransformInputIteratorIb7NonZeroIaEPalEElEEEE10hipError_tPvRmT1_T2_T3_mT4_P12ihipStream_tbEUlT_E0_NS1_11comp_targetILNS1_3genE0ELNS1_11target_archE4294967295ELNS1_3gpuE0ELNS1_3repE0EEENS1_30default_config_static_selectorELNS0_4arch9wavefront6targetE1EEEvSM_
	.globl	_ZN7rocprim17ROCPRIM_400000_NS6detail17trampoline_kernelINS0_14default_configENS1_22reduce_config_selectorIlEEZNS1_11reduce_implILb1ES3_PlS7_lN6hipcub16HIPCUB_304000_NS6detail34convert_binary_result_type_wrapperINS9_3SumENS9_22TransformInputIteratorIb7NonZeroIaEPalEElEEEE10hipError_tPvRmT1_T2_T3_mT4_P12ihipStream_tbEUlT_E0_NS1_11comp_targetILNS1_3genE0ELNS1_11target_archE4294967295ELNS1_3gpuE0ELNS1_3repE0EEENS1_30default_config_static_selectorELNS0_4arch9wavefront6targetE1EEEvSM_
	.p2align	8
	.type	_ZN7rocprim17ROCPRIM_400000_NS6detail17trampoline_kernelINS0_14default_configENS1_22reduce_config_selectorIlEEZNS1_11reduce_implILb1ES3_PlS7_lN6hipcub16HIPCUB_304000_NS6detail34convert_binary_result_type_wrapperINS9_3SumENS9_22TransformInputIteratorIb7NonZeroIaEPalEElEEEE10hipError_tPvRmT1_T2_T3_mT4_P12ihipStream_tbEUlT_E0_NS1_11comp_targetILNS1_3genE0ELNS1_11target_archE4294967295ELNS1_3gpuE0ELNS1_3repE0EEENS1_30default_config_static_selectorELNS0_4arch9wavefront6targetE1EEEvSM_,@function
_ZN7rocprim17ROCPRIM_400000_NS6detail17trampoline_kernelINS0_14default_configENS1_22reduce_config_selectorIlEEZNS1_11reduce_implILb1ES3_PlS7_lN6hipcub16HIPCUB_304000_NS6detail34convert_binary_result_type_wrapperINS9_3SumENS9_22TransformInputIteratorIb7NonZeroIaEPalEElEEEE10hipError_tPvRmT1_T2_T3_mT4_P12ihipStream_tbEUlT_E0_NS1_11comp_targetILNS1_3genE0ELNS1_11target_archE4294967295ELNS1_3gpuE0ELNS1_3repE0EEENS1_30default_config_static_selectorELNS0_4arch9wavefront6targetE1EEEvSM_: ; @_ZN7rocprim17ROCPRIM_400000_NS6detail17trampoline_kernelINS0_14default_configENS1_22reduce_config_selectorIlEEZNS1_11reduce_implILb1ES3_PlS7_lN6hipcub16HIPCUB_304000_NS6detail34convert_binary_result_type_wrapperINS9_3SumENS9_22TransformInputIteratorIb7NonZeroIaEPalEElEEEE10hipError_tPvRmT1_T2_T3_mT4_P12ihipStream_tbEUlT_E0_NS1_11comp_targetILNS1_3genE0ELNS1_11target_archE4294967295ELNS1_3gpuE0ELNS1_3repE0EEENS1_30default_config_static_selectorELNS0_4arch9wavefront6targetE1EEEvSM_
; %bb.0:
	.section	.rodata,"a",@progbits
	.p2align	6, 0x0
	.amdhsa_kernel _ZN7rocprim17ROCPRIM_400000_NS6detail17trampoline_kernelINS0_14default_configENS1_22reduce_config_selectorIlEEZNS1_11reduce_implILb1ES3_PlS7_lN6hipcub16HIPCUB_304000_NS6detail34convert_binary_result_type_wrapperINS9_3SumENS9_22TransformInputIteratorIb7NonZeroIaEPalEElEEEE10hipError_tPvRmT1_T2_T3_mT4_P12ihipStream_tbEUlT_E0_NS1_11comp_targetILNS1_3genE0ELNS1_11target_archE4294967295ELNS1_3gpuE0ELNS1_3repE0EEENS1_30default_config_static_selectorELNS0_4arch9wavefront6targetE1EEEvSM_
		.amdhsa_group_segment_fixed_size 0
		.amdhsa_private_segment_fixed_size 0
		.amdhsa_kernarg_size 64
		.amdhsa_user_sgpr_count 6
		.amdhsa_user_sgpr_private_segment_buffer 1
		.amdhsa_user_sgpr_dispatch_ptr 0
		.amdhsa_user_sgpr_queue_ptr 0
		.amdhsa_user_sgpr_kernarg_segment_ptr 1
		.amdhsa_user_sgpr_dispatch_id 0
		.amdhsa_user_sgpr_flat_scratch_init 0
		.amdhsa_user_sgpr_private_segment_size 0
		.amdhsa_uses_dynamic_stack 0
		.amdhsa_system_sgpr_private_segment_wavefront_offset 0
		.amdhsa_system_sgpr_workgroup_id_x 1
		.amdhsa_system_sgpr_workgroup_id_y 0
		.amdhsa_system_sgpr_workgroup_id_z 0
		.amdhsa_system_sgpr_workgroup_info 0
		.amdhsa_system_vgpr_workitem_id 0
		.amdhsa_next_free_vgpr 1
		.amdhsa_next_free_sgpr 0
		.amdhsa_reserve_vcc 0
		.amdhsa_reserve_flat_scratch 0
		.amdhsa_float_round_mode_32 0
		.amdhsa_float_round_mode_16_64 0
		.amdhsa_float_denorm_mode_32 3
		.amdhsa_float_denorm_mode_16_64 3
		.amdhsa_dx10_clamp 1
		.amdhsa_ieee_mode 1
		.amdhsa_fp16_overflow 0
		.amdhsa_exception_fp_ieee_invalid_op 0
		.amdhsa_exception_fp_denorm_src 0
		.amdhsa_exception_fp_ieee_div_zero 0
		.amdhsa_exception_fp_ieee_overflow 0
		.amdhsa_exception_fp_ieee_underflow 0
		.amdhsa_exception_fp_ieee_inexact 0
		.amdhsa_exception_int_div_zero 0
	.end_amdhsa_kernel
	.section	.text._ZN7rocprim17ROCPRIM_400000_NS6detail17trampoline_kernelINS0_14default_configENS1_22reduce_config_selectorIlEEZNS1_11reduce_implILb1ES3_PlS7_lN6hipcub16HIPCUB_304000_NS6detail34convert_binary_result_type_wrapperINS9_3SumENS9_22TransformInputIteratorIb7NonZeroIaEPalEElEEEE10hipError_tPvRmT1_T2_T3_mT4_P12ihipStream_tbEUlT_E0_NS1_11comp_targetILNS1_3genE0ELNS1_11target_archE4294967295ELNS1_3gpuE0ELNS1_3repE0EEENS1_30default_config_static_selectorELNS0_4arch9wavefront6targetE1EEEvSM_,"axG",@progbits,_ZN7rocprim17ROCPRIM_400000_NS6detail17trampoline_kernelINS0_14default_configENS1_22reduce_config_selectorIlEEZNS1_11reduce_implILb1ES3_PlS7_lN6hipcub16HIPCUB_304000_NS6detail34convert_binary_result_type_wrapperINS9_3SumENS9_22TransformInputIteratorIb7NonZeroIaEPalEElEEEE10hipError_tPvRmT1_T2_T3_mT4_P12ihipStream_tbEUlT_E0_NS1_11comp_targetILNS1_3genE0ELNS1_11target_archE4294967295ELNS1_3gpuE0ELNS1_3repE0EEENS1_30default_config_static_selectorELNS0_4arch9wavefront6targetE1EEEvSM_,comdat
.Lfunc_end0:
	.size	_ZN7rocprim17ROCPRIM_400000_NS6detail17trampoline_kernelINS0_14default_configENS1_22reduce_config_selectorIlEEZNS1_11reduce_implILb1ES3_PlS7_lN6hipcub16HIPCUB_304000_NS6detail34convert_binary_result_type_wrapperINS9_3SumENS9_22TransformInputIteratorIb7NonZeroIaEPalEElEEEE10hipError_tPvRmT1_T2_T3_mT4_P12ihipStream_tbEUlT_E0_NS1_11comp_targetILNS1_3genE0ELNS1_11target_archE4294967295ELNS1_3gpuE0ELNS1_3repE0EEENS1_30default_config_static_selectorELNS0_4arch9wavefront6targetE1EEEvSM_, .Lfunc_end0-_ZN7rocprim17ROCPRIM_400000_NS6detail17trampoline_kernelINS0_14default_configENS1_22reduce_config_selectorIlEEZNS1_11reduce_implILb1ES3_PlS7_lN6hipcub16HIPCUB_304000_NS6detail34convert_binary_result_type_wrapperINS9_3SumENS9_22TransformInputIteratorIb7NonZeroIaEPalEElEEEE10hipError_tPvRmT1_T2_T3_mT4_P12ihipStream_tbEUlT_E0_NS1_11comp_targetILNS1_3genE0ELNS1_11target_archE4294967295ELNS1_3gpuE0ELNS1_3repE0EEENS1_30default_config_static_selectorELNS0_4arch9wavefront6targetE1EEEvSM_
                                        ; -- End function
	.set _ZN7rocprim17ROCPRIM_400000_NS6detail17trampoline_kernelINS0_14default_configENS1_22reduce_config_selectorIlEEZNS1_11reduce_implILb1ES3_PlS7_lN6hipcub16HIPCUB_304000_NS6detail34convert_binary_result_type_wrapperINS9_3SumENS9_22TransformInputIteratorIb7NonZeroIaEPalEElEEEE10hipError_tPvRmT1_T2_T3_mT4_P12ihipStream_tbEUlT_E0_NS1_11comp_targetILNS1_3genE0ELNS1_11target_archE4294967295ELNS1_3gpuE0ELNS1_3repE0EEENS1_30default_config_static_selectorELNS0_4arch9wavefront6targetE1EEEvSM_.num_vgpr, 0
	.set _ZN7rocprim17ROCPRIM_400000_NS6detail17trampoline_kernelINS0_14default_configENS1_22reduce_config_selectorIlEEZNS1_11reduce_implILb1ES3_PlS7_lN6hipcub16HIPCUB_304000_NS6detail34convert_binary_result_type_wrapperINS9_3SumENS9_22TransformInputIteratorIb7NonZeroIaEPalEElEEEE10hipError_tPvRmT1_T2_T3_mT4_P12ihipStream_tbEUlT_E0_NS1_11comp_targetILNS1_3genE0ELNS1_11target_archE4294967295ELNS1_3gpuE0ELNS1_3repE0EEENS1_30default_config_static_selectorELNS0_4arch9wavefront6targetE1EEEvSM_.num_agpr, 0
	.set _ZN7rocprim17ROCPRIM_400000_NS6detail17trampoline_kernelINS0_14default_configENS1_22reduce_config_selectorIlEEZNS1_11reduce_implILb1ES3_PlS7_lN6hipcub16HIPCUB_304000_NS6detail34convert_binary_result_type_wrapperINS9_3SumENS9_22TransformInputIteratorIb7NonZeroIaEPalEElEEEE10hipError_tPvRmT1_T2_T3_mT4_P12ihipStream_tbEUlT_E0_NS1_11comp_targetILNS1_3genE0ELNS1_11target_archE4294967295ELNS1_3gpuE0ELNS1_3repE0EEENS1_30default_config_static_selectorELNS0_4arch9wavefront6targetE1EEEvSM_.numbered_sgpr, 0
	.set _ZN7rocprim17ROCPRIM_400000_NS6detail17trampoline_kernelINS0_14default_configENS1_22reduce_config_selectorIlEEZNS1_11reduce_implILb1ES3_PlS7_lN6hipcub16HIPCUB_304000_NS6detail34convert_binary_result_type_wrapperINS9_3SumENS9_22TransformInputIteratorIb7NonZeroIaEPalEElEEEE10hipError_tPvRmT1_T2_T3_mT4_P12ihipStream_tbEUlT_E0_NS1_11comp_targetILNS1_3genE0ELNS1_11target_archE4294967295ELNS1_3gpuE0ELNS1_3repE0EEENS1_30default_config_static_selectorELNS0_4arch9wavefront6targetE1EEEvSM_.num_named_barrier, 0
	.set _ZN7rocprim17ROCPRIM_400000_NS6detail17trampoline_kernelINS0_14default_configENS1_22reduce_config_selectorIlEEZNS1_11reduce_implILb1ES3_PlS7_lN6hipcub16HIPCUB_304000_NS6detail34convert_binary_result_type_wrapperINS9_3SumENS9_22TransformInputIteratorIb7NonZeroIaEPalEElEEEE10hipError_tPvRmT1_T2_T3_mT4_P12ihipStream_tbEUlT_E0_NS1_11comp_targetILNS1_3genE0ELNS1_11target_archE4294967295ELNS1_3gpuE0ELNS1_3repE0EEENS1_30default_config_static_selectorELNS0_4arch9wavefront6targetE1EEEvSM_.private_seg_size, 0
	.set _ZN7rocprim17ROCPRIM_400000_NS6detail17trampoline_kernelINS0_14default_configENS1_22reduce_config_selectorIlEEZNS1_11reduce_implILb1ES3_PlS7_lN6hipcub16HIPCUB_304000_NS6detail34convert_binary_result_type_wrapperINS9_3SumENS9_22TransformInputIteratorIb7NonZeroIaEPalEElEEEE10hipError_tPvRmT1_T2_T3_mT4_P12ihipStream_tbEUlT_E0_NS1_11comp_targetILNS1_3genE0ELNS1_11target_archE4294967295ELNS1_3gpuE0ELNS1_3repE0EEENS1_30default_config_static_selectorELNS0_4arch9wavefront6targetE1EEEvSM_.uses_vcc, 0
	.set _ZN7rocprim17ROCPRIM_400000_NS6detail17trampoline_kernelINS0_14default_configENS1_22reduce_config_selectorIlEEZNS1_11reduce_implILb1ES3_PlS7_lN6hipcub16HIPCUB_304000_NS6detail34convert_binary_result_type_wrapperINS9_3SumENS9_22TransformInputIteratorIb7NonZeroIaEPalEElEEEE10hipError_tPvRmT1_T2_T3_mT4_P12ihipStream_tbEUlT_E0_NS1_11comp_targetILNS1_3genE0ELNS1_11target_archE4294967295ELNS1_3gpuE0ELNS1_3repE0EEENS1_30default_config_static_selectorELNS0_4arch9wavefront6targetE1EEEvSM_.uses_flat_scratch, 0
	.set _ZN7rocprim17ROCPRIM_400000_NS6detail17trampoline_kernelINS0_14default_configENS1_22reduce_config_selectorIlEEZNS1_11reduce_implILb1ES3_PlS7_lN6hipcub16HIPCUB_304000_NS6detail34convert_binary_result_type_wrapperINS9_3SumENS9_22TransformInputIteratorIb7NonZeroIaEPalEElEEEE10hipError_tPvRmT1_T2_T3_mT4_P12ihipStream_tbEUlT_E0_NS1_11comp_targetILNS1_3genE0ELNS1_11target_archE4294967295ELNS1_3gpuE0ELNS1_3repE0EEENS1_30default_config_static_selectorELNS0_4arch9wavefront6targetE1EEEvSM_.has_dyn_sized_stack, 0
	.set _ZN7rocprim17ROCPRIM_400000_NS6detail17trampoline_kernelINS0_14default_configENS1_22reduce_config_selectorIlEEZNS1_11reduce_implILb1ES3_PlS7_lN6hipcub16HIPCUB_304000_NS6detail34convert_binary_result_type_wrapperINS9_3SumENS9_22TransformInputIteratorIb7NonZeroIaEPalEElEEEE10hipError_tPvRmT1_T2_T3_mT4_P12ihipStream_tbEUlT_E0_NS1_11comp_targetILNS1_3genE0ELNS1_11target_archE4294967295ELNS1_3gpuE0ELNS1_3repE0EEENS1_30default_config_static_selectorELNS0_4arch9wavefront6targetE1EEEvSM_.has_recursion, 0
	.set _ZN7rocprim17ROCPRIM_400000_NS6detail17trampoline_kernelINS0_14default_configENS1_22reduce_config_selectorIlEEZNS1_11reduce_implILb1ES3_PlS7_lN6hipcub16HIPCUB_304000_NS6detail34convert_binary_result_type_wrapperINS9_3SumENS9_22TransformInputIteratorIb7NonZeroIaEPalEElEEEE10hipError_tPvRmT1_T2_T3_mT4_P12ihipStream_tbEUlT_E0_NS1_11comp_targetILNS1_3genE0ELNS1_11target_archE4294967295ELNS1_3gpuE0ELNS1_3repE0EEENS1_30default_config_static_selectorELNS0_4arch9wavefront6targetE1EEEvSM_.has_indirect_call, 0
	.section	.AMDGPU.csdata,"",@progbits
; Kernel info:
; codeLenInByte = 0
; TotalNumSgprs: 4
; NumVgprs: 0
; ScratchSize: 0
; MemoryBound: 0
; FloatMode: 240
; IeeeMode: 1
; LDSByteSize: 0 bytes/workgroup (compile time only)
; SGPRBlocks: 0
; VGPRBlocks: 0
; NumSGPRsForWavesPerEU: 4
; NumVGPRsForWavesPerEU: 1
; Occupancy: 10
; WaveLimiterHint : 0
; COMPUTE_PGM_RSRC2:SCRATCH_EN: 0
; COMPUTE_PGM_RSRC2:USER_SGPR: 6
; COMPUTE_PGM_RSRC2:TRAP_HANDLER: 0
; COMPUTE_PGM_RSRC2:TGID_X_EN: 1
; COMPUTE_PGM_RSRC2:TGID_Y_EN: 0
; COMPUTE_PGM_RSRC2:TGID_Z_EN: 0
; COMPUTE_PGM_RSRC2:TIDIG_COMP_CNT: 0
	.section	.text._ZN7rocprim17ROCPRIM_400000_NS6detail17trampoline_kernelINS0_14default_configENS1_22reduce_config_selectorIlEEZNS1_11reduce_implILb1ES3_PlS7_lN6hipcub16HIPCUB_304000_NS6detail34convert_binary_result_type_wrapperINS9_3SumENS9_22TransformInputIteratorIb7NonZeroIaEPalEElEEEE10hipError_tPvRmT1_T2_T3_mT4_P12ihipStream_tbEUlT_E0_NS1_11comp_targetILNS1_3genE5ELNS1_11target_archE942ELNS1_3gpuE9ELNS1_3repE0EEENS1_30default_config_static_selectorELNS0_4arch9wavefront6targetE1EEEvSM_,"axG",@progbits,_ZN7rocprim17ROCPRIM_400000_NS6detail17trampoline_kernelINS0_14default_configENS1_22reduce_config_selectorIlEEZNS1_11reduce_implILb1ES3_PlS7_lN6hipcub16HIPCUB_304000_NS6detail34convert_binary_result_type_wrapperINS9_3SumENS9_22TransformInputIteratorIb7NonZeroIaEPalEElEEEE10hipError_tPvRmT1_T2_T3_mT4_P12ihipStream_tbEUlT_E0_NS1_11comp_targetILNS1_3genE5ELNS1_11target_archE942ELNS1_3gpuE9ELNS1_3repE0EEENS1_30default_config_static_selectorELNS0_4arch9wavefront6targetE1EEEvSM_,comdat
	.protected	_ZN7rocprim17ROCPRIM_400000_NS6detail17trampoline_kernelINS0_14default_configENS1_22reduce_config_selectorIlEEZNS1_11reduce_implILb1ES3_PlS7_lN6hipcub16HIPCUB_304000_NS6detail34convert_binary_result_type_wrapperINS9_3SumENS9_22TransformInputIteratorIb7NonZeroIaEPalEElEEEE10hipError_tPvRmT1_T2_T3_mT4_P12ihipStream_tbEUlT_E0_NS1_11comp_targetILNS1_3genE5ELNS1_11target_archE942ELNS1_3gpuE9ELNS1_3repE0EEENS1_30default_config_static_selectorELNS0_4arch9wavefront6targetE1EEEvSM_ ; -- Begin function _ZN7rocprim17ROCPRIM_400000_NS6detail17trampoline_kernelINS0_14default_configENS1_22reduce_config_selectorIlEEZNS1_11reduce_implILb1ES3_PlS7_lN6hipcub16HIPCUB_304000_NS6detail34convert_binary_result_type_wrapperINS9_3SumENS9_22TransformInputIteratorIb7NonZeroIaEPalEElEEEE10hipError_tPvRmT1_T2_T3_mT4_P12ihipStream_tbEUlT_E0_NS1_11comp_targetILNS1_3genE5ELNS1_11target_archE942ELNS1_3gpuE9ELNS1_3repE0EEENS1_30default_config_static_selectorELNS0_4arch9wavefront6targetE1EEEvSM_
	.globl	_ZN7rocprim17ROCPRIM_400000_NS6detail17trampoline_kernelINS0_14default_configENS1_22reduce_config_selectorIlEEZNS1_11reduce_implILb1ES3_PlS7_lN6hipcub16HIPCUB_304000_NS6detail34convert_binary_result_type_wrapperINS9_3SumENS9_22TransformInputIteratorIb7NonZeroIaEPalEElEEEE10hipError_tPvRmT1_T2_T3_mT4_P12ihipStream_tbEUlT_E0_NS1_11comp_targetILNS1_3genE5ELNS1_11target_archE942ELNS1_3gpuE9ELNS1_3repE0EEENS1_30default_config_static_selectorELNS0_4arch9wavefront6targetE1EEEvSM_
	.p2align	8
	.type	_ZN7rocprim17ROCPRIM_400000_NS6detail17trampoline_kernelINS0_14default_configENS1_22reduce_config_selectorIlEEZNS1_11reduce_implILb1ES3_PlS7_lN6hipcub16HIPCUB_304000_NS6detail34convert_binary_result_type_wrapperINS9_3SumENS9_22TransformInputIteratorIb7NonZeroIaEPalEElEEEE10hipError_tPvRmT1_T2_T3_mT4_P12ihipStream_tbEUlT_E0_NS1_11comp_targetILNS1_3genE5ELNS1_11target_archE942ELNS1_3gpuE9ELNS1_3repE0EEENS1_30default_config_static_selectorELNS0_4arch9wavefront6targetE1EEEvSM_,@function
_ZN7rocprim17ROCPRIM_400000_NS6detail17trampoline_kernelINS0_14default_configENS1_22reduce_config_selectorIlEEZNS1_11reduce_implILb1ES3_PlS7_lN6hipcub16HIPCUB_304000_NS6detail34convert_binary_result_type_wrapperINS9_3SumENS9_22TransformInputIteratorIb7NonZeroIaEPalEElEEEE10hipError_tPvRmT1_T2_T3_mT4_P12ihipStream_tbEUlT_E0_NS1_11comp_targetILNS1_3genE5ELNS1_11target_archE942ELNS1_3gpuE9ELNS1_3repE0EEENS1_30default_config_static_selectorELNS0_4arch9wavefront6targetE1EEEvSM_: ; @_ZN7rocprim17ROCPRIM_400000_NS6detail17trampoline_kernelINS0_14default_configENS1_22reduce_config_selectorIlEEZNS1_11reduce_implILb1ES3_PlS7_lN6hipcub16HIPCUB_304000_NS6detail34convert_binary_result_type_wrapperINS9_3SumENS9_22TransformInputIteratorIb7NonZeroIaEPalEElEEEE10hipError_tPvRmT1_T2_T3_mT4_P12ihipStream_tbEUlT_E0_NS1_11comp_targetILNS1_3genE5ELNS1_11target_archE942ELNS1_3gpuE9ELNS1_3repE0EEENS1_30default_config_static_selectorELNS0_4arch9wavefront6targetE1EEEvSM_
; %bb.0:
	.section	.rodata,"a",@progbits
	.p2align	6, 0x0
	.amdhsa_kernel _ZN7rocprim17ROCPRIM_400000_NS6detail17trampoline_kernelINS0_14default_configENS1_22reduce_config_selectorIlEEZNS1_11reduce_implILb1ES3_PlS7_lN6hipcub16HIPCUB_304000_NS6detail34convert_binary_result_type_wrapperINS9_3SumENS9_22TransformInputIteratorIb7NonZeroIaEPalEElEEEE10hipError_tPvRmT1_T2_T3_mT4_P12ihipStream_tbEUlT_E0_NS1_11comp_targetILNS1_3genE5ELNS1_11target_archE942ELNS1_3gpuE9ELNS1_3repE0EEENS1_30default_config_static_selectorELNS0_4arch9wavefront6targetE1EEEvSM_
		.amdhsa_group_segment_fixed_size 0
		.amdhsa_private_segment_fixed_size 0
		.amdhsa_kernarg_size 64
		.amdhsa_user_sgpr_count 6
		.amdhsa_user_sgpr_private_segment_buffer 1
		.amdhsa_user_sgpr_dispatch_ptr 0
		.amdhsa_user_sgpr_queue_ptr 0
		.amdhsa_user_sgpr_kernarg_segment_ptr 1
		.amdhsa_user_sgpr_dispatch_id 0
		.amdhsa_user_sgpr_flat_scratch_init 0
		.amdhsa_user_sgpr_private_segment_size 0
		.amdhsa_uses_dynamic_stack 0
		.amdhsa_system_sgpr_private_segment_wavefront_offset 0
		.amdhsa_system_sgpr_workgroup_id_x 1
		.amdhsa_system_sgpr_workgroup_id_y 0
		.amdhsa_system_sgpr_workgroup_id_z 0
		.amdhsa_system_sgpr_workgroup_info 0
		.amdhsa_system_vgpr_workitem_id 0
		.amdhsa_next_free_vgpr 1
		.amdhsa_next_free_sgpr 0
		.amdhsa_reserve_vcc 0
		.amdhsa_reserve_flat_scratch 0
		.amdhsa_float_round_mode_32 0
		.amdhsa_float_round_mode_16_64 0
		.amdhsa_float_denorm_mode_32 3
		.amdhsa_float_denorm_mode_16_64 3
		.amdhsa_dx10_clamp 1
		.amdhsa_ieee_mode 1
		.amdhsa_fp16_overflow 0
		.amdhsa_exception_fp_ieee_invalid_op 0
		.amdhsa_exception_fp_denorm_src 0
		.amdhsa_exception_fp_ieee_div_zero 0
		.amdhsa_exception_fp_ieee_overflow 0
		.amdhsa_exception_fp_ieee_underflow 0
		.amdhsa_exception_fp_ieee_inexact 0
		.amdhsa_exception_int_div_zero 0
	.end_amdhsa_kernel
	.section	.text._ZN7rocprim17ROCPRIM_400000_NS6detail17trampoline_kernelINS0_14default_configENS1_22reduce_config_selectorIlEEZNS1_11reduce_implILb1ES3_PlS7_lN6hipcub16HIPCUB_304000_NS6detail34convert_binary_result_type_wrapperINS9_3SumENS9_22TransformInputIteratorIb7NonZeroIaEPalEElEEEE10hipError_tPvRmT1_T2_T3_mT4_P12ihipStream_tbEUlT_E0_NS1_11comp_targetILNS1_3genE5ELNS1_11target_archE942ELNS1_3gpuE9ELNS1_3repE0EEENS1_30default_config_static_selectorELNS0_4arch9wavefront6targetE1EEEvSM_,"axG",@progbits,_ZN7rocprim17ROCPRIM_400000_NS6detail17trampoline_kernelINS0_14default_configENS1_22reduce_config_selectorIlEEZNS1_11reduce_implILb1ES3_PlS7_lN6hipcub16HIPCUB_304000_NS6detail34convert_binary_result_type_wrapperINS9_3SumENS9_22TransformInputIteratorIb7NonZeroIaEPalEElEEEE10hipError_tPvRmT1_T2_T3_mT4_P12ihipStream_tbEUlT_E0_NS1_11comp_targetILNS1_3genE5ELNS1_11target_archE942ELNS1_3gpuE9ELNS1_3repE0EEENS1_30default_config_static_selectorELNS0_4arch9wavefront6targetE1EEEvSM_,comdat
.Lfunc_end1:
	.size	_ZN7rocprim17ROCPRIM_400000_NS6detail17trampoline_kernelINS0_14default_configENS1_22reduce_config_selectorIlEEZNS1_11reduce_implILb1ES3_PlS7_lN6hipcub16HIPCUB_304000_NS6detail34convert_binary_result_type_wrapperINS9_3SumENS9_22TransformInputIteratorIb7NonZeroIaEPalEElEEEE10hipError_tPvRmT1_T2_T3_mT4_P12ihipStream_tbEUlT_E0_NS1_11comp_targetILNS1_3genE5ELNS1_11target_archE942ELNS1_3gpuE9ELNS1_3repE0EEENS1_30default_config_static_selectorELNS0_4arch9wavefront6targetE1EEEvSM_, .Lfunc_end1-_ZN7rocprim17ROCPRIM_400000_NS6detail17trampoline_kernelINS0_14default_configENS1_22reduce_config_selectorIlEEZNS1_11reduce_implILb1ES3_PlS7_lN6hipcub16HIPCUB_304000_NS6detail34convert_binary_result_type_wrapperINS9_3SumENS9_22TransformInputIteratorIb7NonZeroIaEPalEElEEEE10hipError_tPvRmT1_T2_T3_mT4_P12ihipStream_tbEUlT_E0_NS1_11comp_targetILNS1_3genE5ELNS1_11target_archE942ELNS1_3gpuE9ELNS1_3repE0EEENS1_30default_config_static_selectorELNS0_4arch9wavefront6targetE1EEEvSM_
                                        ; -- End function
	.set _ZN7rocprim17ROCPRIM_400000_NS6detail17trampoline_kernelINS0_14default_configENS1_22reduce_config_selectorIlEEZNS1_11reduce_implILb1ES3_PlS7_lN6hipcub16HIPCUB_304000_NS6detail34convert_binary_result_type_wrapperINS9_3SumENS9_22TransformInputIteratorIb7NonZeroIaEPalEElEEEE10hipError_tPvRmT1_T2_T3_mT4_P12ihipStream_tbEUlT_E0_NS1_11comp_targetILNS1_3genE5ELNS1_11target_archE942ELNS1_3gpuE9ELNS1_3repE0EEENS1_30default_config_static_selectorELNS0_4arch9wavefront6targetE1EEEvSM_.num_vgpr, 0
	.set _ZN7rocprim17ROCPRIM_400000_NS6detail17trampoline_kernelINS0_14default_configENS1_22reduce_config_selectorIlEEZNS1_11reduce_implILb1ES3_PlS7_lN6hipcub16HIPCUB_304000_NS6detail34convert_binary_result_type_wrapperINS9_3SumENS9_22TransformInputIteratorIb7NonZeroIaEPalEElEEEE10hipError_tPvRmT1_T2_T3_mT4_P12ihipStream_tbEUlT_E0_NS1_11comp_targetILNS1_3genE5ELNS1_11target_archE942ELNS1_3gpuE9ELNS1_3repE0EEENS1_30default_config_static_selectorELNS0_4arch9wavefront6targetE1EEEvSM_.num_agpr, 0
	.set _ZN7rocprim17ROCPRIM_400000_NS6detail17trampoline_kernelINS0_14default_configENS1_22reduce_config_selectorIlEEZNS1_11reduce_implILb1ES3_PlS7_lN6hipcub16HIPCUB_304000_NS6detail34convert_binary_result_type_wrapperINS9_3SumENS9_22TransformInputIteratorIb7NonZeroIaEPalEElEEEE10hipError_tPvRmT1_T2_T3_mT4_P12ihipStream_tbEUlT_E0_NS1_11comp_targetILNS1_3genE5ELNS1_11target_archE942ELNS1_3gpuE9ELNS1_3repE0EEENS1_30default_config_static_selectorELNS0_4arch9wavefront6targetE1EEEvSM_.numbered_sgpr, 0
	.set _ZN7rocprim17ROCPRIM_400000_NS6detail17trampoline_kernelINS0_14default_configENS1_22reduce_config_selectorIlEEZNS1_11reduce_implILb1ES3_PlS7_lN6hipcub16HIPCUB_304000_NS6detail34convert_binary_result_type_wrapperINS9_3SumENS9_22TransformInputIteratorIb7NonZeroIaEPalEElEEEE10hipError_tPvRmT1_T2_T3_mT4_P12ihipStream_tbEUlT_E0_NS1_11comp_targetILNS1_3genE5ELNS1_11target_archE942ELNS1_3gpuE9ELNS1_3repE0EEENS1_30default_config_static_selectorELNS0_4arch9wavefront6targetE1EEEvSM_.num_named_barrier, 0
	.set _ZN7rocprim17ROCPRIM_400000_NS6detail17trampoline_kernelINS0_14default_configENS1_22reduce_config_selectorIlEEZNS1_11reduce_implILb1ES3_PlS7_lN6hipcub16HIPCUB_304000_NS6detail34convert_binary_result_type_wrapperINS9_3SumENS9_22TransformInputIteratorIb7NonZeroIaEPalEElEEEE10hipError_tPvRmT1_T2_T3_mT4_P12ihipStream_tbEUlT_E0_NS1_11comp_targetILNS1_3genE5ELNS1_11target_archE942ELNS1_3gpuE9ELNS1_3repE0EEENS1_30default_config_static_selectorELNS0_4arch9wavefront6targetE1EEEvSM_.private_seg_size, 0
	.set _ZN7rocprim17ROCPRIM_400000_NS6detail17trampoline_kernelINS0_14default_configENS1_22reduce_config_selectorIlEEZNS1_11reduce_implILb1ES3_PlS7_lN6hipcub16HIPCUB_304000_NS6detail34convert_binary_result_type_wrapperINS9_3SumENS9_22TransformInputIteratorIb7NonZeroIaEPalEElEEEE10hipError_tPvRmT1_T2_T3_mT4_P12ihipStream_tbEUlT_E0_NS1_11comp_targetILNS1_3genE5ELNS1_11target_archE942ELNS1_3gpuE9ELNS1_3repE0EEENS1_30default_config_static_selectorELNS0_4arch9wavefront6targetE1EEEvSM_.uses_vcc, 0
	.set _ZN7rocprim17ROCPRIM_400000_NS6detail17trampoline_kernelINS0_14default_configENS1_22reduce_config_selectorIlEEZNS1_11reduce_implILb1ES3_PlS7_lN6hipcub16HIPCUB_304000_NS6detail34convert_binary_result_type_wrapperINS9_3SumENS9_22TransformInputIteratorIb7NonZeroIaEPalEElEEEE10hipError_tPvRmT1_T2_T3_mT4_P12ihipStream_tbEUlT_E0_NS1_11comp_targetILNS1_3genE5ELNS1_11target_archE942ELNS1_3gpuE9ELNS1_3repE0EEENS1_30default_config_static_selectorELNS0_4arch9wavefront6targetE1EEEvSM_.uses_flat_scratch, 0
	.set _ZN7rocprim17ROCPRIM_400000_NS6detail17trampoline_kernelINS0_14default_configENS1_22reduce_config_selectorIlEEZNS1_11reduce_implILb1ES3_PlS7_lN6hipcub16HIPCUB_304000_NS6detail34convert_binary_result_type_wrapperINS9_3SumENS9_22TransformInputIteratorIb7NonZeroIaEPalEElEEEE10hipError_tPvRmT1_T2_T3_mT4_P12ihipStream_tbEUlT_E0_NS1_11comp_targetILNS1_3genE5ELNS1_11target_archE942ELNS1_3gpuE9ELNS1_3repE0EEENS1_30default_config_static_selectorELNS0_4arch9wavefront6targetE1EEEvSM_.has_dyn_sized_stack, 0
	.set _ZN7rocprim17ROCPRIM_400000_NS6detail17trampoline_kernelINS0_14default_configENS1_22reduce_config_selectorIlEEZNS1_11reduce_implILb1ES3_PlS7_lN6hipcub16HIPCUB_304000_NS6detail34convert_binary_result_type_wrapperINS9_3SumENS9_22TransformInputIteratorIb7NonZeroIaEPalEElEEEE10hipError_tPvRmT1_T2_T3_mT4_P12ihipStream_tbEUlT_E0_NS1_11comp_targetILNS1_3genE5ELNS1_11target_archE942ELNS1_3gpuE9ELNS1_3repE0EEENS1_30default_config_static_selectorELNS0_4arch9wavefront6targetE1EEEvSM_.has_recursion, 0
	.set _ZN7rocprim17ROCPRIM_400000_NS6detail17trampoline_kernelINS0_14default_configENS1_22reduce_config_selectorIlEEZNS1_11reduce_implILb1ES3_PlS7_lN6hipcub16HIPCUB_304000_NS6detail34convert_binary_result_type_wrapperINS9_3SumENS9_22TransformInputIteratorIb7NonZeroIaEPalEElEEEE10hipError_tPvRmT1_T2_T3_mT4_P12ihipStream_tbEUlT_E0_NS1_11comp_targetILNS1_3genE5ELNS1_11target_archE942ELNS1_3gpuE9ELNS1_3repE0EEENS1_30default_config_static_selectorELNS0_4arch9wavefront6targetE1EEEvSM_.has_indirect_call, 0
	.section	.AMDGPU.csdata,"",@progbits
; Kernel info:
; codeLenInByte = 0
; TotalNumSgprs: 4
; NumVgprs: 0
; ScratchSize: 0
; MemoryBound: 0
; FloatMode: 240
; IeeeMode: 1
; LDSByteSize: 0 bytes/workgroup (compile time only)
; SGPRBlocks: 0
; VGPRBlocks: 0
; NumSGPRsForWavesPerEU: 4
; NumVGPRsForWavesPerEU: 1
; Occupancy: 10
; WaveLimiterHint : 0
; COMPUTE_PGM_RSRC2:SCRATCH_EN: 0
; COMPUTE_PGM_RSRC2:USER_SGPR: 6
; COMPUTE_PGM_RSRC2:TRAP_HANDLER: 0
; COMPUTE_PGM_RSRC2:TGID_X_EN: 1
; COMPUTE_PGM_RSRC2:TGID_Y_EN: 0
; COMPUTE_PGM_RSRC2:TGID_Z_EN: 0
; COMPUTE_PGM_RSRC2:TIDIG_COMP_CNT: 0
	.section	.text._ZN7rocprim17ROCPRIM_400000_NS6detail17trampoline_kernelINS0_14default_configENS1_22reduce_config_selectorIlEEZNS1_11reduce_implILb1ES3_PlS7_lN6hipcub16HIPCUB_304000_NS6detail34convert_binary_result_type_wrapperINS9_3SumENS9_22TransformInputIteratorIb7NonZeroIaEPalEElEEEE10hipError_tPvRmT1_T2_T3_mT4_P12ihipStream_tbEUlT_E0_NS1_11comp_targetILNS1_3genE4ELNS1_11target_archE910ELNS1_3gpuE8ELNS1_3repE0EEENS1_30default_config_static_selectorELNS0_4arch9wavefront6targetE1EEEvSM_,"axG",@progbits,_ZN7rocprim17ROCPRIM_400000_NS6detail17trampoline_kernelINS0_14default_configENS1_22reduce_config_selectorIlEEZNS1_11reduce_implILb1ES3_PlS7_lN6hipcub16HIPCUB_304000_NS6detail34convert_binary_result_type_wrapperINS9_3SumENS9_22TransformInputIteratorIb7NonZeroIaEPalEElEEEE10hipError_tPvRmT1_T2_T3_mT4_P12ihipStream_tbEUlT_E0_NS1_11comp_targetILNS1_3genE4ELNS1_11target_archE910ELNS1_3gpuE8ELNS1_3repE0EEENS1_30default_config_static_selectorELNS0_4arch9wavefront6targetE1EEEvSM_,comdat
	.protected	_ZN7rocprim17ROCPRIM_400000_NS6detail17trampoline_kernelINS0_14default_configENS1_22reduce_config_selectorIlEEZNS1_11reduce_implILb1ES3_PlS7_lN6hipcub16HIPCUB_304000_NS6detail34convert_binary_result_type_wrapperINS9_3SumENS9_22TransformInputIteratorIb7NonZeroIaEPalEElEEEE10hipError_tPvRmT1_T2_T3_mT4_P12ihipStream_tbEUlT_E0_NS1_11comp_targetILNS1_3genE4ELNS1_11target_archE910ELNS1_3gpuE8ELNS1_3repE0EEENS1_30default_config_static_selectorELNS0_4arch9wavefront6targetE1EEEvSM_ ; -- Begin function _ZN7rocprim17ROCPRIM_400000_NS6detail17trampoline_kernelINS0_14default_configENS1_22reduce_config_selectorIlEEZNS1_11reduce_implILb1ES3_PlS7_lN6hipcub16HIPCUB_304000_NS6detail34convert_binary_result_type_wrapperINS9_3SumENS9_22TransformInputIteratorIb7NonZeroIaEPalEElEEEE10hipError_tPvRmT1_T2_T3_mT4_P12ihipStream_tbEUlT_E0_NS1_11comp_targetILNS1_3genE4ELNS1_11target_archE910ELNS1_3gpuE8ELNS1_3repE0EEENS1_30default_config_static_selectorELNS0_4arch9wavefront6targetE1EEEvSM_
	.globl	_ZN7rocprim17ROCPRIM_400000_NS6detail17trampoline_kernelINS0_14default_configENS1_22reduce_config_selectorIlEEZNS1_11reduce_implILb1ES3_PlS7_lN6hipcub16HIPCUB_304000_NS6detail34convert_binary_result_type_wrapperINS9_3SumENS9_22TransformInputIteratorIb7NonZeroIaEPalEElEEEE10hipError_tPvRmT1_T2_T3_mT4_P12ihipStream_tbEUlT_E0_NS1_11comp_targetILNS1_3genE4ELNS1_11target_archE910ELNS1_3gpuE8ELNS1_3repE0EEENS1_30default_config_static_selectorELNS0_4arch9wavefront6targetE1EEEvSM_
	.p2align	8
	.type	_ZN7rocprim17ROCPRIM_400000_NS6detail17trampoline_kernelINS0_14default_configENS1_22reduce_config_selectorIlEEZNS1_11reduce_implILb1ES3_PlS7_lN6hipcub16HIPCUB_304000_NS6detail34convert_binary_result_type_wrapperINS9_3SumENS9_22TransformInputIteratorIb7NonZeroIaEPalEElEEEE10hipError_tPvRmT1_T2_T3_mT4_P12ihipStream_tbEUlT_E0_NS1_11comp_targetILNS1_3genE4ELNS1_11target_archE910ELNS1_3gpuE8ELNS1_3repE0EEENS1_30default_config_static_selectorELNS0_4arch9wavefront6targetE1EEEvSM_,@function
_ZN7rocprim17ROCPRIM_400000_NS6detail17trampoline_kernelINS0_14default_configENS1_22reduce_config_selectorIlEEZNS1_11reduce_implILb1ES3_PlS7_lN6hipcub16HIPCUB_304000_NS6detail34convert_binary_result_type_wrapperINS9_3SumENS9_22TransformInputIteratorIb7NonZeroIaEPalEElEEEE10hipError_tPvRmT1_T2_T3_mT4_P12ihipStream_tbEUlT_E0_NS1_11comp_targetILNS1_3genE4ELNS1_11target_archE910ELNS1_3gpuE8ELNS1_3repE0EEENS1_30default_config_static_selectorELNS0_4arch9wavefront6targetE1EEEvSM_: ; @_ZN7rocprim17ROCPRIM_400000_NS6detail17trampoline_kernelINS0_14default_configENS1_22reduce_config_selectorIlEEZNS1_11reduce_implILb1ES3_PlS7_lN6hipcub16HIPCUB_304000_NS6detail34convert_binary_result_type_wrapperINS9_3SumENS9_22TransformInputIteratorIb7NonZeroIaEPalEElEEEE10hipError_tPvRmT1_T2_T3_mT4_P12ihipStream_tbEUlT_E0_NS1_11comp_targetILNS1_3genE4ELNS1_11target_archE910ELNS1_3gpuE8ELNS1_3repE0EEENS1_30default_config_static_selectorELNS0_4arch9wavefront6targetE1EEEvSM_
; %bb.0:
	.section	.rodata,"a",@progbits
	.p2align	6, 0x0
	.amdhsa_kernel _ZN7rocprim17ROCPRIM_400000_NS6detail17trampoline_kernelINS0_14default_configENS1_22reduce_config_selectorIlEEZNS1_11reduce_implILb1ES3_PlS7_lN6hipcub16HIPCUB_304000_NS6detail34convert_binary_result_type_wrapperINS9_3SumENS9_22TransformInputIteratorIb7NonZeroIaEPalEElEEEE10hipError_tPvRmT1_T2_T3_mT4_P12ihipStream_tbEUlT_E0_NS1_11comp_targetILNS1_3genE4ELNS1_11target_archE910ELNS1_3gpuE8ELNS1_3repE0EEENS1_30default_config_static_selectorELNS0_4arch9wavefront6targetE1EEEvSM_
		.amdhsa_group_segment_fixed_size 0
		.amdhsa_private_segment_fixed_size 0
		.amdhsa_kernarg_size 64
		.amdhsa_user_sgpr_count 6
		.amdhsa_user_sgpr_private_segment_buffer 1
		.amdhsa_user_sgpr_dispatch_ptr 0
		.amdhsa_user_sgpr_queue_ptr 0
		.amdhsa_user_sgpr_kernarg_segment_ptr 1
		.amdhsa_user_sgpr_dispatch_id 0
		.amdhsa_user_sgpr_flat_scratch_init 0
		.amdhsa_user_sgpr_private_segment_size 0
		.amdhsa_uses_dynamic_stack 0
		.amdhsa_system_sgpr_private_segment_wavefront_offset 0
		.amdhsa_system_sgpr_workgroup_id_x 1
		.amdhsa_system_sgpr_workgroup_id_y 0
		.amdhsa_system_sgpr_workgroup_id_z 0
		.amdhsa_system_sgpr_workgroup_info 0
		.amdhsa_system_vgpr_workitem_id 0
		.amdhsa_next_free_vgpr 1
		.amdhsa_next_free_sgpr 0
		.amdhsa_reserve_vcc 0
		.amdhsa_reserve_flat_scratch 0
		.amdhsa_float_round_mode_32 0
		.amdhsa_float_round_mode_16_64 0
		.amdhsa_float_denorm_mode_32 3
		.amdhsa_float_denorm_mode_16_64 3
		.amdhsa_dx10_clamp 1
		.amdhsa_ieee_mode 1
		.amdhsa_fp16_overflow 0
		.amdhsa_exception_fp_ieee_invalid_op 0
		.amdhsa_exception_fp_denorm_src 0
		.amdhsa_exception_fp_ieee_div_zero 0
		.amdhsa_exception_fp_ieee_overflow 0
		.amdhsa_exception_fp_ieee_underflow 0
		.amdhsa_exception_fp_ieee_inexact 0
		.amdhsa_exception_int_div_zero 0
	.end_amdhsa_kernel
	.section	.text._ZN7rocprim17ROCPRIM_400000_NS6detail17trampoline_kernelINS0_14default_configENS1_22reduce_config_selectorIlEEZNS1_11reduce_implILb1ES3_PlS7_lN6hipcub16HIPCUB_304000_NS6detail34convert_binary_result_type_wrapperINS9_3SumENS9_22TransformInputIteratorIb7NonZeroIaEPalEElEEEE10hipError_tPvRmT1_T2_T3_mT4_P12ihipStream_tbEUlT_E0_NS1_11comp_targetILNS1_3genE4ELNS1_11target_archE910ELNS1_3gpuE8ELNS1_3repE0EEENS1_30default_config_static_selectorELNS0_4arch9wavefront6targetE1EEEvSM_,"axG",@progbits,_ZN7rocprim17ROCPRIM_400000_NS6detail17trampoline_kernelINS0_14default_configENS1_22reduce_config_selectorIlEEZNS1_11reduce_implILb1ES3_PlS7_lN6hipcub16HIPCUB_304000_NS6detail34convert_binary_result_type_wrapperINS9_3SumENS9_22TransformInputIteratorIb7NonZeroIaEPalEElEEEE10hipError_tPvRmT1_T2_T3_mT4_P12ihipStream_tbEUlT_E0_NS1_11comp_targetILNS1_3genE4ELNS1_11target_archE910ELNS1_3gpuE8ELNS1_3repE0EEENS1_30default_config_static_selectorELNS0_4arch9wavefront6targetE1EEEvSM_,comdat
.Lfunc_end2:
	.size	_ZN7rocprim17ROCPRIM_400000_NS6detail17trampoline_kernelINS0_14default_configENS1_22reduce_config_selectorIlEEZNS1_11reduce_implILb1ES3_PlS7_lN6hipcub16HIPCUB_304000_NS6detail34convert_binary_result_type_wrapperINS9_3SumENS9_22TransformInputIteratorIb7NonZeroIaEPalEElEEEE10hipError_tPvRmT1_T2_T3_mT4_P12ihipStream_tbEUlT_E0_NS1_11comp_targetILNS1_3genE4ELNS1_11target_archE910ELNS1_3gpuE8ELNS1_3repE0EEENS1_30default_config_static_selectorELNS0_4arch9wavefront6targetE1EEEvSM_, .Lfunc_end2-_ZN7rocprim17ROCPRIM_400000_NS6detail17trampoline_kernelINS0_14default_configENS1_22reduce_config_selectorIlEEZNS1_11reduce_implILb1ES3_PlS7_lN6hipcub16HIPCUB_304000_NS6detail34convert_binary_result_type_wrapperINS9_3SumENS9_22TransformInputIteratorIb7NonZeroIaEPalEElEEEE10hipError_tPvRmT1_T2_T3_mT4_P12ihipStream_tbEUlT_E0_NS1_11comp_targetILNS1_3genE4ELNS1_11target_archE910ELNS1_3gpuE8ELNS1_3repE0EEENS1_30default_config_static_selectorELNS0_4arch9wavefront6targetE1EEEvSM_
                                        ; -- End function
	.set _ZN7rocprim17ROCPRIM_400000_NS6detail17trampoline_kernelINS0_14default_configENS1_22reduce_config_selectorIlEEZNS1_11reduce_implILb1ES3_PlS7_lN6hipcub16HIPCUB_304000_NS6detail34convert_binary_result_type_wrapperINS9_3SumENS9_22TransformInputIteratorIb7NonZeroIaEPalEElEEEE10hipError_tPvRmT1_T2_T3_mT4_P12ihipStream_tbEUlT_E0_NS1_11comp_targetILNS1_3genE4ELNS1_11target_archE910ELNS1_3gpuE8ELNS1_3repE0EEENS1_30default_config_static_selectorELNS0_4arch9wavefront6targetE1EEEvSM_.num_vgpr, 0
	.set _ZN7rocprim17ROCPRIM_400000_NS6detail17trampoline_kernelINS0_14default_configENS1_22reduce_config_selectorIlEEZNS1_11reduce_implILb1ES3_PlS7_lN6hipcub16HIPCUB_304000_NS6detail34convert_binary_result_type_wrapperINS9_3SumENS9_22TransformInputIteratorIb7NonZeroIaEPalEElEEEE10hipError_tPvRmT1_T2_T3_mT4_P12ihipStream_tbEUlT_E0_NS1_11comp_targetILNS1_3genE4ELNS1_11target_archE910ELNS1_3gpuE8ELNS1_3repE0EEENS1_30default_config_static_selectorELNS0_4arch9wavefront6targetE1EEEvSM_.num_agpr, 0
	.set _ZN7rocprim17ROCPRIM_400000_NS6detail17trampoline_kernelINS0_14default_configENS1_22reduce_config_selectorIlEEZNS1_11reduce_implILb1ES3_PlS7_lN6hipcub16HIPCUB_304000_NS6detail34convert_binary_result_type_wrapperINS9_3SumENS9_22TransformInputIteratorIb7NonZeroIaEPalEElEEEE10hipError_tPvRmT1_T2_T3_mT4_P12ihipStream_tbEUlT_E0_NS1_11comp_targetILNS1_3genE4ELNS1_11target_archE910ELNS1_3gpuE8ELNS1_3repE0EEENS1_30default_config_static_selectorELNS0_4arch9wavefront6targetE1EEEvSM_.numbered_sgpr, 0
	.set _ZN7rocprim17ROCPRIM_400000_NS6detail17trampoline_kernelINS0_14default_configENS1_22reduce_config_selectorIlEEZNS1_11reduce_implILb1ES3_PlS7_lN6hipcub16HIPCUB_304000_NS6detail34convert_binary_result_type_wrapperINS9_3SumENS9_22TransformInputIteratorIb7NonZeroIaEPalEElEEEE10hipError_tPvRmT1_T2_T3_mT4_P12ihipStream_tbEUlT_E0_NS1_11comp_targetILNS1_3genE4ELNS1_11target_archE910ELNS1_3gpuE8ELNS1_3repE0EEENS1_30default_config_static_selectorELNS0_4arch9wavefront6targetE1EEEvSM_.num_named_barrier, 0
	.set _ZN7rocprim17ROCPRIM_400000_NS6detail17trampoline_kernelINS0_14default_configENS1_22reduce_config_selectorIlEEZNS1_11reduce_implILb1ES3_PlS7_lN6hipcub16HIPCUB_304000_NS6detail34convert_binary_result_type_wrapperINS9_3SumENS9_22TransformInputIteratorIb7NonZeroIaEPalEElEEEE10hipError_tPvRmT1_T2_T3_mT4_P12ihipStream_tbEUlT_E0_NS1_11comp_targetILNS1_3genE4ELNS1_11target_archE910ELNS1_3gpuE8ELNS1_3repE0EEENS1_30default_config_static_selectorELNS0_4arch9wavefront6targetE1EEEvSM_.private_seg_size, 0
	.set _ZN7rocprim17ROCPRIM_400000_NS6detail17trampoline_kernelINS0_14default_configENS1_22reduce_config_selectorIlEEZNS1_11reduce_implILb1ES3_PlS7_lN6hipcub16HIPCUB_304000_NS6detail34convert_binary_result_type_wrapperINS9_3SumENS9_22TransformInputIteratorIb7NonZeroIaEPalEElEEEE10hipError_tPvRmT1_T2_T3_mT4_P12ihipStream_tbEUlT_E0_NS1_11comp_targetILNS1_3genE4ELNS1_11target_archE910ELNS1_3gpuE8ELNS1_3repE0EEENS1_30default_config_static_selectorELNS0_4arch9wavefront6targetE1EEEvSM_.uses_vcc, 0
	.set _ZN7rocprim17ROCPRIM_400000_NS6detail17trampoline_kernelINS0_14default_configENS1_22reduce_config_selectorIlEEZNS1_11reduce_implILb1ES3_PlS7_lN6hipcub16HIPCUB_304000_NS6detail34convert_binary_result_type_wrapperINS9_3SumENS9_22TransformInputIteratorIb7NonZeroIaEPalEElEEEE10hipError_tPvRmT1_T2_T3_mT4_P12ihipStream_tbEUlT_E0_NS1_11comp_targetILNS1_3genE4ELNS1_11target_archE910ELNS1_3gpuE8ELNS1_3repE0EEENS1_30default_config_static_selectorELNS0_4arch9wavefront6targetE1EEEvSM_.uses_flat_scratch, 0
	.set _ZN7rocprim17ROCPRIM_400000_NS6detail17trampoline_kernelINS0_14default_configENS1_22reduce_config_selectorIlEEZNS1_11reduce_implILb1ES3_PlS7_lN6hipcub16HIPCUB_304000_NS6detail34convert_binary_result_type_wrapperINS9_3SumENS9_22TransformInputIteratorIb7NonZeroIaEPalEElEEEE10hipError_tPvRmT1_T2_T3_mT4_P12ihipStream_tbEUlT_E0_NS1_11comp_targetILNS1_3genE4ELNS1_11target_archE910ELNS1_3gpuE8ELNS1_3repE0EEENS1_30default_config_static_selectorELNS0_4arch9wavefront6targetE1EEEvSM_.has_dyn_sized_stack, 0
	.set _ZN7rocprim17ROCPRIM_400000_NS6detail17trampoline_kernelINS0_14default_configENS1_22reduce_config_selectorIlEEZNS1_11reduce_implILb1ES3_PlS7_lN6hipcub16HIPCUB_304000_NS6detail34convert_binary_result_type_wrapperINS9_3SumENS9_22TransformInputIteratorIb7NonZeroIaEPalEElEEEE10hipError_tPvRmT1_T2_T3_mT4_P12ihipStream_tbEUlT_E0_NS1_11comp_targetILNS1_3genE4ELNS1_11target_archE910ELNS1_3gpuE8ELNS1_3repE0EEENS1_30default_config_static_selectorELNS0_4arch9wavefront6targetE1EEEvSM_.has_recursion, 0
	.set _ZN7rocprim17ROCPRIM_400000_NS6detail17trampoline_kernelINS0_14default_configENS1_22reduce_config_selectorIlEEZNS1_11reduce_implILb1ES3_PlS7_lN6hipcub16HIPCUB_304000_NS6detail34convert_binary_result_type_wrapperINS9_3SumENS9_22TransformInputIteratorIb7NonZeroIaEPalEElEEEE10hipError_tPvRmT1_T2_T3_mT4_P12ihipStream_tbEUlT_E0_NS1_11comp_targetILNS1_3genE4ELNS1_11target_archE910ELNS1_3gpuE8ELNS1_3repE0EEENS1_30default_config_static_selectorELNS0_4arch9wavefront6targetE1EEEvSM_.has_indirect_call, 0
	.section	.AMDGPU.csdata,"",@progbits
; Kernel info:
; codeLenInByte = 0
; TotalNumSgprs: 4
; NumVgprs: 0
; ScratchSize: 0
; MemoryBound: 0
; FloatMode: 240
; IeeeMode: 1
; LDSByteSize: 0 bytes/workgroup (compile time only)
; SGPRBlocks: 0
; VGPRBlocks: 0
; NumSGPRsForWavesPerEU: 4
; NumVGPRsForWavesPerEU: 1
; Occupancy: 10
; WaveLimiterHint : 0
; COMPUTE_PGM_RSRC2:SCRATCH_EN: 0
; COMPUTE_PGM_RSRC2:USER_SGPR: 6
; COMPUTE_PGM_RSRC2:TRAP_HANDLER: 0
; COMPUTE_PGM_RSRC2:TGID_X_EN: 1
; COMPUTE_PGM_RSRC2:TGID_Y_EN: 0
; COMPUTE_PGM_RSRC2:TGID_Z_EN: 0
; COMPUTE_PGM_RSRC2:TIDIG_COMP_CNT: 0
	.section	.text._ZN7rocprim17ROCPRIM_400000_NS6detail17trampoline_kernelINS0_14default_configENS1_22reduce_config_selectorIlEEZNS1_11reduce_implILb1ES3_PlS7_lN6hipcub16HIPCUB_304000_NS6detail34convert_binary_result_type_wrapperINS9_3SumENS9_22TransformInputIteratorIb7NonZeroIaEPalEElEEEE10hipError_tPvRmT1_T2_T3_mT4_P12ihipStream_tbEUlT_E0_NS1_11comp_targetILNS1_3genE3ELNS1_11target_archE908ELNS1_3gpuE7ELNS1_3repE0EEENS1_30default_config_static_selectorELNS0_4arch9wavefront6targetE1EEEvSM_,"axG",@progbits,_ZN7rocprim17ROCPRIM_400000_NS6detail17trampoline_kernelINS0_14default_configENS1_22reduce_config_selectorIlEEZNS1_11reduce_implILb1ES3_PlS7_lN6hipcub16HIPCUB_304000_NS6detail34convert_binary_result_type_wrapperINS9_3SumENS9_22TransformInputIteratorIb7NonZeroIaEPalEElEEEE10hipError_tPvRmT1_T2_T3_mT4_P12ihipStream_tbEUlT_E0_NS1_11comp_targetILNS1_3genE3ELNS1_11target_archE908ELNS1_3gpuE7ELNS1_3repE0EEENS1_30default_config_static_selectorELNS0_4arch9wavefront6targetE1EEEvSM_,comdat
	.protected	_ZN7rocprim17ROCPRIM_400000_NS6detail17trampoline_kernelINS0_14default_configENS1_22reduce_config_selectorIlEEZNS1_11reduce_implILb1ES3_PlS7_lN6hipcub16HIPCUB_304000_NS6detail34convert_binary_result_type_wrapperINS9_3SumENS9_22TransformInputIteratorIb7NonZeroIaEPalEElEEEE10hipError_tPvRmT1_T2_T3_mT4_P12ihipStream_tbEUlT_E0_NS1_11comp_targetILNS1_3genE3ELNS1_11target_archE908ELNS1_3gpuE7ELNS1_3repE0EEENS1_30default_config_static_selectorELNS0_4arch9wavefront6targetE1EEEvSM_ ; -- Begin function _ZN7rocprim17ROCPRIM_400000_NS6detail17trampoline_kernelINS0_14default_configENS1_22reduce_config_selectorIlEEZNS1_11reduce_implILb1ES3_PlS7_lN6hipcub16HIPCUB_304000_NS6detail34convert_binary_result_type_wrapperINS9_3SumENS9_22TransformInputIteratorIb7NonZeroIaEPalEElEEEE10hipError_tPvRmT1_T2_T3_mT4_P12ihipStream_tbEUlT_E0_NS1_11comp_targetILNS1_3genE3ELNS1_11target_archE908ELNS1_3gpuE7ELNS1_3repE0EEENS1_30default_config_static_selectorELNS0_4arch9wavefront6targetE1EEEvSM_
	.globl	_ZN7rocprim17ROCPRIM_400000_NS6detail17trampoline_kernelINS0_14default_configENS1_22reduce_config_selectorIlEEZNS1_11reduce_implILb1ES3_PlS7_lN6hipcub16HIPCUB_304000_NS6detail34convert_binary_result_type_wrapperINS9_3SumENS9_22TransformInputIteratorIb7NonZeroIaEPalEElEEEE10hipError_tPvRmT1_T2_T3_mT4_P12ihipStream_tbEUlT_E0_NS1_11comp_targetILNS1_3genE3ELNS1_11target_archE908ELNS1_3gpuE7ELNS1_3repE0EEENS1_30default_config_static_selectorELNS0_4arch9wavefront6targetE1EEEvSM_
	.p2align	8
	.type	_ZN7rocprim17ROCPRIM_400000_NS6detail17trampoline_kernelINS0_14default_configENS1_22reduce_config_selectorIlEEZNS1_11reduce_implILb1ES3_PlS7_lN6hipcub16HIPCUB_304000_NS6detail34convert_binary_result_type_wrapperINS9_3SumENS9_22TransformInputIteratorIb7NonZeroIaEPalEElEEEE10hipError_tPvRmT1_T2_T3_mT4_P12ihipStream_tbEUlT_E0_NS1_11comp_targetILNS1_3genE3ELNS1_11target_archE908ELNS1_3gpuE7ELNS1_3repE0EEENS1_30default_config_static_selectorELNS0_4arch9wavefront6targetE1EEEvSM_,@function
_ZN7rocprim17ROCPRIM_400000_NS6detail17trampoline_kernelINS0_14default_configENS1_22reduce_config_selectorIlEEZNS1_11reduce_implILb1ES3_PlS7_lN6hipcub16HIPCUB_304000_NS6detail34convert_binary_result_type_wrapperINS9_3SumENS9_22TransformInputIteratorIb7NonZeroIaEPalEElEEEE10hipError_tPvRmT1_T2_T3_mT4_P12ihipStream_tbEUlT_E0_NS1_11comp_targetILNS1_3genE3ELNS1_11target_archE908ELNS1_3gpuE7ELNS1_3repE0EEENS1_30default_config_static_selectorELNS0_4arch9wavefront6targetE1EEEvSM_: ; @_ZN7rocprim17ROCPRIM_400000_NS6detail17trampoline_kernelINS0_14default_configENS1_22reduce_config_selectorIlEEZNS1_11reduce_implILb1ES3_PlS7_lN6hipcub16HIPCUB_304000_NS6detail34convert_binary_result_type_wrapperINS9_3SumENS9_22TransformInputIteratorIb7NonZeroIaEPalEElEEEE10hipError_tPvRmT1_T2_T3_mT4_P12ihipStream_tbEUlT_E0_NS1_11comp_targetILNS1_3genE3ELNS1_11target_archE908ELNS1_3gpuE7ELNS1_3repE0EEENS1_30default_config_static_selectorELNS0_4arch9wavefront6targetE1EEEvSM_
; %bb.0:
	.section	.rodata,"a",@progbits
	.p2align	6, 0x0
	.amdhsa_kernel _ZN7rocprim17ROCPRIM_400000_NS6detail17trampoline_kernelINS0_14default_configENS1_22reduce_config_selectorIlEEZNS1_11reduce_implILb1ES3_PlS7_lN6hipcub16HIPCUB_304000_NS6detail34convert_binary_result_type_wrapperINS9_3SumENS9_22TransformInputIteratorIb7NonZeroIaEPalEElEEEE10hipError_tPvRmT1_T2_T3_mT4_P12ihipStream_tbEUlT_E0_NS1_11comp_targetILNS1_3genE3ELNS1_11target_archE908ELNS1_3gpuE7ELNS1_3repE0EEENS1_30default_config_static_selectorELNS0_4arch9wavefront6targetE1EEEvSM_
		.amdhsa_group_segment_fixed_size 0
		.amdhsa_private_segment_fixed_size 0
		.amdhsa_kernarg_size 64
		.amdhsa_user_sgpr_count 6
		.amdhsa_user_sgpr_private_segment_buffer 1
		.amdhsa_user_sgpr_dispatch_ptr 0
		.amdhsa_user_sgpr_queue_ptr 0
		.amdhsa_user_sgpr_kernarg_segment_ptr 1
		.amdhsa_user_sgpr_dispatch_id 0
		.amdhsa_user_sgpr_flat_scratch_init 0
		.amdhsa_user_sgpr_private_segment_size 0
		.amdhsa_uses_dynamic_stack 0
		.amdhsa_system_sgpr_private_segment_wavefront_offset 0
		.amdhsa_system_sgpr_workgroup_id_x 1
		.amdhsa_system_sgpr_workgroup_id_y 0
		.amdhsa_system_sgpr_workgroup_id_z 0
		.amdhsa_system_sgpr_workgroup_info 0
		.amdhsa_system_vgpr_workitem_id 0
		.amdhsa_next_free_vgpr 1
		.amdhsa_next_free_sgpr 0
		.amdhsa_reserve_vcc 0
		.amdhsa_reserve_flat_scratch 0
		.amdhsa_float_round_mode_32 0
		.amdhsa_float_round_mode_16_64 0
		.amdhsa_float_denorm_mode_32 3
		.amdhsa_float_denorm_mode_16_64 3
		.amdhsa_dx10_clamp 1
		.amdhsa_ieee_mode 1
		.amdhsa_fp16_overflow 0
		.amdhsa_exception_fp_ieee_invalid_op 0
		.amdhsa_exception_fp_denorm_src 0
		.amdhsa_exception_fp_ieee_div_zero 0
		.amdhsa_exception_fp_ieee_overflow 0
		.amdhsa_exception_fp_ieee_underflow 0
		.amdhsa_exception_fp_ieee_inexact 0
		.amdhsa_exception_int_div_zero 0
	.end_amdhsa_kernel
	.section	.text._ZN7rocprim17ROCPRIM_400000_NS6detail17trampoline_kernelINS0_14default_configENS1_22reduce_config_selectorIlEEZNS1_11reduce_implILb1ES3_PlS7_lN6hipcub16HIPCUB_304000_NS6detail34convert_binary_result_type_wrapperINS9_3SumENS9_22TransformInputIteratorIb7NonZeroIaEPalEElEEEE10hipError_tPvRmT1_T2_T3_mT4_P12ihipStream_tbEUlT_E0_NS1_11comp_targetILNS1_3genE3ELNS1_11target_archE908ELNS1_3gpuE7ELNS1_3repE0EEENS1_30default_config_static_selectorELNS0_4arch9wavefront6targetE1EEEvSM_,"axG",@progbits,_ZN7rocprim17ROCPRIM_400000_NS6detail17trampoline_kernelINS0_14default_configENS1_22reduce_config_selectorIlEEZNS1_11reduce_implILb1ES3_PlS7_lN6hipcub16HIPCUB_304000_NS6detail34convert_binary_result_type_wrapperINS9_3SumENS9_22TransformInputIteratorIb7NonZeroIaEPalEElEEEE10hipError_tPvRmT1_T2_T3_mT4_P12ihipStream_tbEUlT_E0_NS1_11comp_targetILNS1_3genE3ELNS1_11target_archE908ELNS1_3gpuE7ELNS1_3repE0EEENS1_30default_config_static_selectorELNS0_4arch9wavefront6targetE1EEEvSM_,comdat
.Lfunc_end3:
	.size	_ZN7rocprim17ROCPRIM_400000_NS6detail17trampoline_kernelINS0_14default_configENS1_22reduce_config_selectorIlEEZNS1_11reduce_implILb1ES3_PlS7_lN6hipcub16HIPCUB_304000_NS6detail34convert_binary_result_type_wrapperINS9_3SumENS9_22TransformInputIteratorIb7NonZeroIaEPalEElEEEE10hipError_tPvRmT1_T2_T3_mT4_P12ihipStream_tbEUlT_E0_NS1_11comp_targetILNS1_3genE3ELNS1_11target_archE908ELNS1_3gpuE7ELNS1_3repE0EEENS1_30default_config_static_selectorELNS0_4arch9wavefront6targetE1EEEvSM_, .Lfunc_end3-_ZN7rocprim17ROCPRIM_400000_NS6detail17trampoline_kernelINS0_14default_configENS1_22reduce_config_selectorIlEEZNS1_11reduce_implILb1ES3_PlS7_lN6hipcub16HIPCUB_304000_NS6detail34convert_binary_result_type_wrapperINS9_3SumENS9_22TransformInputIteratorIb7NonZeroIaEPalEElEEEE10hipError_tPvRmT1_T2_T3_mT4_P12ihipStream_tbEUlT_E0_NS1_11comp_targetILNS1_3genE3ELNS1_11target_archE908ELNS1_3gpuE7ELNS1_3repE0EEENS1_30default_config_static_selectorELNS0_4arch9wavefront6targetE1EEEvSM_
                                        ; -- End function
	.set _ZN7rocprim17ROCPRIM_400000_NS6detail17trampoline_kernelINS0_14default_configENS1_22reduce_config_selectorIlEEZNS1_11reduce_implILb1ES3_PlS7_lN6hipcub16HIPCUB_304000_NS6detail34convert_binary_result_type_wrapperINS9_3SumENS9_22TransformInputIteratorIb7NonZeroIaEPalEElEEEE10hipError_tPvRmT1_T2_T3_mT4_P12ihipStream_tbEUlT_E0_NS1_11comp_targetILNS1_3genE3ELNS1_11target_archE908ELNS1_3gpuE7ELNS1_3repE0EEENS1_30default_config_static_selectorELNS0_4arch9wavefront6targetE1EEEvSM_.num_vgpr, 0
	.set _ZN7rocprim17ROCPRIM_400000_NS6detail17trampoline_kernelINS0_14default_configENS1_22reduce_config_selectorIlEEZNS1_11reduce_implILb1ES3_PlS7_lN6hipcub16HIPCUB_304000_NS6detail34convert_binary_result_type_wrapperINS9_3SumENS9_22TransformInputIteratorIb7NonZeroIaEPalEElEEEE10hipError_tPvRmT1_T2_T3_mT4_P12ihipStream_tbEUlT_E0_NS1_11comp_targetILNS1_3genE3ELNS1_11target_archE908ELNS1_3gpuE7ELNS1_3repE0EEENS1_30default_config_static_selectorELNS0_4arch9wavefront6targetE1EEEvSM_.num_agpr, 0
	.set _ZN7rocprim17ROCPRIM_400000_NS6detail17trampoline_kernelINS0_14default_configENS1_22reduce_config_selectorIlEEZNS1_11reduce_implILb1ES3_PlS7_lN6hipcub16HIPCUB_304000_NS6detail34convert_binary_result_type_wrapperINS9_3SumENS9_22TransformInputIteratorIb7NonZeroIaEPalEElEEEE10hipError_tPvRmT1_T2_T3_mT4_P12ihipStream_tbEUlT_E0_NS1_11comp_targetILNS1_3genE3ELNS1_11target_archE908ELNS1_3gpuE7ELNS1_3repE0EEENS1_30default_config_static_selectorELNS0_4arch9wavefront6targetE1EEEvSM_.numbered_sgpr, 0
	.set _ZN7rocprim17ROCPRIM_400000_NS6detail17trampoline_kernelINS0_14default_configENS1_22reduce_config_selectorIlEEZNS1_11reduce_implILb1ES3_PlS7_lN6hipcub16HIPCUB_304000_NS6detail34convert_binary_result_type_wrapperINS9_3SumENS9_22TransformInputIteratorIb7NonZeroIaEPalEElEEEE10hipError_tPvRmT1_T2_T3_mT4_P12ihipStream_tbEUlT_E0_NS1_11comp_targetILNS1_3genE3ELNS1_11target_archE908ELNS1_3gpuE7ELNS1_3repE0EEENS1_30default_config_static_selectorELNS0_4arch9wavefront6targetE1EEEvSM_.num_named_barrier, 0
	.set _ZN7rocprim17ROCPRIM_400000_NS6detail17trampoline_kernelINS0_14default_configENS1_22reduce_config_selectorIlEEZNS1_11reduce_implILb1ES3_PlS7_lN6hipcub16HIPCUB_304000_NS6detail34convert_binary_result_type_wrapperINS9_3SumENS9_22TransformInputIteratorIb7NonZeroIaEPalEElEEEE10hipError_tPvRmT1_T2_T3_mT4_P12ihipStream_tbEUlT_E0_NS1_11comp_targetILNS1_3genE3ELNS1_11target_archE908ELNS1_3gpuE7ELNS1_3repE0EEENS1_30default_config_static_selectorELNS0_4arch9wavefront6targetE1EEEvSM_.private_seg_size, 0
	.set _ZN7rocprim17ROCPRIM_400000_NS6detail17trampoline_kernelINS0_14default_configENS1_22reduce_config_selectorIlEEZNS1_11reduce_implILb1ES3_PlS7_lN6hipcub16HIPCUB_304000_NS6detail34convert_binary_result_type_wrapperINS9_3SumENS9_22TransformInputIteratorIb7NonZeroIaEPalEElEEEE10hipError_tPvRmT1_T2_T3_mT4_P12ihipStream_tbEUlT_E0_NS1_11comp_targetILNS1_3genE3ELNS1_11target_archE908ELNS1_3gpuE7ELNS1_3repE0EEENS1_30default_config_static_selectorELNS0_4arch9wavefront6targetE1EEEvSM_.uses_vcc, 0
	.set _ZN7rocprim17ROCPRIM_400000_NS6detail17trampoline_kernelINS0_14default_configENS1_22reduce_config_selectorIlEEZNS1_11reduce_implILb1ES3_PlS7_lN6hipcub16HIPCUB_304000_NS6detail34convert_binary_result_type_wrapperINS9_3SumENS9_22TransformInputIteratorIb7NonZeroIaEPalEElEEEE10hipError_tPvRmT1_T2_T3_mT4_P12ihipStream_tbEUlT_E0_NS1_11comp_targetILNS1_3genE3ELNS1_11target_archE908ELNS1_3gpuE7ELNS1_3repE0EEENS1_30default_config_static_selectorELNS0_4arch9wavefront6targetE1EEEvSM_.uses_flat_scratch, 0
	.set _ZN7rocprim17ROCPRIM_400000_NS6detail17trampoline_kernelINS0_14default_configENS1_22reduce_config_selectorIlEEZNS1_11reduce_implILb1ES3_PlS7_lN6hipcub16HIPCUB_304000_NS6detail34convert_binary_result_type_wrapperINS9_3SumENS9_22TransformInputIteratorIb7NonZeroIaEPalEElEEEE10hipError_tPvRmT1_T2_T3_mT4_P12ihipStream_tbEUlT_E0_NS1_11comp_targetILNS1_3genE3ELNS1_11target_archE908ELNS1_3gpuE7ELNS1_3repE0EEENS1_30default_config_static_selectorELNS0_4arch9wavefront6targetE1EEEvSM_.has_dyn_sized_stack, 0
	.set _ZN7rocprim17ROCPRIM_400000_NS6detail17trampoline_kernelINS0_14default_configENS1_22reduce_config_selectorIlEEZNS1_11reduce_implILb1ES3_PlS7_lN6hipcub16HIPCUB_304000_NS6detail34convert_binary_result_type_wrapperINS9_3SumENS9_22TransformInputIteratorIb7NonZeroIaEPalEElEEEE10hipError_tPvRmT1_T2_T3_mT4_P12ihipStream_tbEUlT_E0_NS1_11comp_targetILNS1_3genE3ELNS1_11target_archE908ELNS1_3gpuE7ELNS1_3repE0EEENS1_30default_config_static_selectorELNS0_4arch9wavefront6targetE1EEEvSM_.has_recursion, 0
	.set _ZN7rocprim17ROCPRIM_400000_NS6detail17trampoline_kernelINS0_14default_configENS1_22reduce_config_selectorIlEEZNS1_11reduce_implILb1ES3_PlS7_lN6hipcub16HIPCUB_304000_NS6detail34convert_binary_result_type_wrapperINS9_3SumENS9_22TransformInputIteratorIb7NonZeroIaEPalEElEEEE10hipError_tPvRmT1_T2_T3_mT4_P12ihipStream_tbEUlT_E0_NS1_11comp_targetILNS1_3genE3ELNS1_11target_archE908ELNS1_3gpuE7ELNS1_3repE0EEENS1_30default_config_static_selectorELNS0_4arch9wavefront6targetE1EEEvSM_.has_indirect_call, 0
	.section	.AMDGPU.csdata,"",@progbits
; Kernel info:
; codeLenInByte = 0
; TotalNumSgprs: 4
; NumVgprs: 0
; ScratchSize: 0
; MemoryBound: 0
; FloatMode: 240
; IeeeMode: 1
; LDSByteSize: 0 bytes/workgroup (compile time only)
; SGPRBlocks: 0
; VGPRBlocks: 0
; NumSGPRsForWavesPerEU: 4
; NumVGPRsForWavesPerEU: 1
; Occupancy: 10
; WaveLimiterHint : 0
; COMPUTE_PGM_RSRC2:SCRATCH_EN: 0
; COMPUTE_PGM_RSRC2:USER_SGPR: 6
; COMPUTE_PGM_RSRC2:TRAP_HANDLER: 0
; COMPUTE_PGM_RSRC2:TGID_X_EN: 1
; COMPUTE_PGM_RSRC2:TGID_Y_EN: 0
; COMPUTE_PGM_RSRC2:TGID_Z_EN: 0
; COMPUTE_PGM_RSRC2:TIDIG_COMP_CNT: 0
	.section	.text._ZN7rocprim17ROCPRIM_400000_NS6detail17trampoline_kernelINS0_14default_configENS1_22reduce_config_selectorIlEEZNS1_11reduce_implILb1ES3_PlS7_lN6hipcub16HIPCUB_304000_NS6detail34convert_binary_result_type_wrapperINS9_3SumENS9_22TransformInputIteratorIb7NonZeroIaEPalEElEEEE10hipError_tPvRmT1_T2_T3_mT4_P12ihipStream_tbEUlT_E0_NS1_11comp_targetILNS1_3genE2ELNS1_11target_archE906ELNS1_3gpuE6ELNS1_3repE0EEENS1_30default_config_static_selectorELNS0_4arch9wavefront6targetE1EEEvSM_,"axG",@progbits,_ZN7rocprim17ROCPRIM_400000_NS6detail17trampoline_kernelINS0_14default_configENS1_22reduce_config_selectorIlEEZNS1_11reduce_implILb1ES3_PlS7_lN6hipcub16HIPCUB_304000_NS6detail34convert_binary_result_type_wrapperINS9_3SumENS9_22TransformInputIteratorIb7NonZeroIaEPalEElEEEE10hipError_tPvRmT1_T2_T3_mT4_P12ihipStream_tbEUlT_E0_NS1_11comp_targetILNS1_3genE2ELNS1_11target_archE906ELNS1_3gpuE6ELNS1_3repE0EEENS1_30default_config_static_selectorELNS0_4arch9wavefront6targetE1EEEvSM_,comdat
	.protected	_ZN7rocprim17ROCPRIM_400000_NS6detail17trampoline_kernelINS0_14default_configENS1_22reduce_config_selectorIlEEZNS1_11reduce_implILb1ES3_PlS7_lN6hipcub16HIPCUB_304000_NS6detail34convert_binary_result_type_wrapperINS9_3SumENS9_22TransformInputIteratorIb7NonZeroIaEPalEElEEEE10hipError_tPvRmT1_T2_T3_mT4_P12ihipStream_tbEUlT_E0_NS1_11comp_targetILNS1_3genE2ELNS1_11target_archE906ELNS1_3gpuE6ELNS1_3repE0EEENS1_30default_config_static_selectorELNS0_4arch9wavefront6targetE1EEEvSM_ ; -- Begin function _ZN7rocprim17ROCPRIM_400000_NS6detail17trampoline_kernelINS0_14default_configENS1_22reduce_config_selectorIlEEZNS1_11reduce_implILb1ES3_PlS7_lN6hipcub16HIPCUB_304000_NS6detail34convert_binary_result_type_wrapperINS9_3SumENS9_22TransformInputIteratorIb7NonZeroIaEPalEElEEEE10hipError_tPvRmT1_T2_T3_mT4_P12ihipStream_tbEUlT_E0_NS1_11comp_targetILNS1_3genE2ELNS1_11target_archE906ELNS1_3gpuE6ELNS1_3repE0EEENS1_30default_config_static_selectorELNS0_4arch9wavefront6targetE1EEEvSM_
	.globl	_ZN7rocprim17ROCPRIM_400000_NS6detail17trampoline_kernelINS0_14default_configENS1_22reduce_config_selectorIlEEZNS1_11reduce_implILb1ES3_PlS7_lN6hipcub16HIPCUB_304000_NS6detail34convert_binary_result_type_wrapperINS9_3SumENS9_22TransformInputIteratorIb7NonZeroIaEPalEElEEEE10hipError_tPvRmT1_T2_T3_mT4_P12ihipStream_tbEUlT_E0_NS1_11comp_targetILNS1_3genE2ELNS1_11target_archE906ELNS1_3gpuE6ELNS1_3repE0EEENS1_30default_config_static_selectorELNS0_4arch9wavefront6targetE1EEEvSM_
	.p2align	8
	.type	_ZN7rocprim17ROCPRIM_400000_NS6detail17trampoline_kernelINS0_14default_configENS1_22reduce_config_selectorIlEEZNS1_11reduce_implILb1ES3_PlS7_lN6hipcub16HIPCUB_304000_NS6detail34convert_binary_result_type_wrapperINS9_3SumENS9_22TransformInputIteratorIb7NonZeroIaEPalEElEEEE10hipError_tPvRmT1_T2_T3_mT4_P12ihipStream_tbEUlT_E0_NS1_11comp_targetILNS1_3genE2ELNS1_11target_archE906ELNS1_3gpuE6ELNS1_3repE0EEENS1_30default_config_static_selectorELNS0_4arch9wavefront6targetE1EEEvSM_,@function
_ZN7rocprim17ROCPRIM_400000_NS6detail17trampoline_kernelINS0_14default_configENS1_22reduce_config_selectorIlEEZNS1_11reduce_implILb1ES3_PlS7_lN6hipcub16HIPCUB_304000_NS6detail34convert_binary_result_type_wrapperINS9_3SumENS9_22TransformInputIteratorIb7NonZeroIaEPalEElEEEE10hipError_tPvRmT1_T2_T3_mT4_P12ihipStream_tbEUlT_E0_NS1_11comp_targetILNS1_3genE2ELNS1_11target_archE906ELNS1_3gpuE6ELNS1_3repE0EEENS1_30default_config_static_selectorELNS0_4arch9wavefront6targetE1EEEvSM_: ; @_ZN7rocprim17ROCPRIM_400000_NS6detail17trampoline_kernelINS0_14default_configENS1_22reduce_config_selectorIlEEZNS1_11reduce_implILb1ES3_PlS7_lN6hipcub16HIPCUB_304000_NS6detail34convert_binary_result_type_wrapperINS9_3SumENS9_22TransformInputIteratorIb7NonZeroIaEPalEElEEEE10hipError_tPvRmT1_T2_T3_mT4_P12ihipStream_tbEUlT_E0_NS1_11comp_targetILNS1_3genE2ELNS1_11target_archE906ELNS1_3gpuE6ELNS1_3repE0EEENS1_30default_config_static_selectorELNS0_4arch9wavefront6targetE1EEEvSM_
; %bb.0:
	s_load_dwordx8 s[8:15], s[4:5], 0x0
	s_load_dwordx4 s[0:3], s[4:5], 0x20
	s_load_dwordx2 s[16:17], s[4:5], 0x30
	v_lshlrev_b32_e32 v6, 3, v0
	v_mbcnt_lo_u32_b32 v5, -1, 0
	s_waitcnt lgkmcnt(0)
	s_lshl_b64 s[4:5], s[10:11], 3
	s_add_u32 s18, s8, s4
	s_addc_u32 s19, s9, s5
	s_lshl_b32 s8, s6, 9
	s_mov_b32 s9, 0
	s_lshr_b64 s[10:11], s[12:13], 9
	s_lshl_b64 s[4:5], s[8:9], 3
	s_add_u32 s4, s18, s4
	s_mov_b32 s7, s9
	s_addc_u32 s5, s19, s5
	s_cmp_lg_u64 s[10:11], s[6:7]
	s_cbranch_scc0 .LBB4_6
; %bb.1:
	global_load_dwordx2 v[1:2], v6, s[4:5]
	global_load_dwordx2 v[7:8], v6, s[4:5] offset:2048
	v_mbcnt_hi_u32_b32 v3, -1, v5
	v_lshlrev_b32_e32 v4, 2, v3
	v_or_b32_e32 v9, 0xfc, v4
	s_waitcnt vmcnt(0)
	v_add_co_u32_e32 v1, vcc, v7, v1
	v_addc_co_u32_e32 v2, vcc, v8, v2, vcc
	s_nop 0
	v_mov_b32_dpp v7, v1 quad_perm:[1,0,3,2] row_mask:0xf bank_mask:0xf bound_ctrl:1
	v_add_co_u32_e32 v1, vcc, v1, v7
	v_mov_b32_dpp v8, v2 quad_perm:[1,0,3,2] row_mask:0xf bank_mask:0xf bound_ctrl:1
	v_addc_co_u32_e32 v2, vcc, 0, v2, vcc
	v_add_co_u32_e32 v7, vcc, 0, v1
	v_addc_co_u32_e32 v2, vcc, v8, v2, vcc
	v_mov_b32_dpp v1, v1 quad_perm:[2,3,0,1] row_mask:0xf bank_mask:0xf bound_ctrl:1
	v_add_co_u32_e32 v1, vcc, v7, v1
	v_mov_b32_dpp v8, v2 quad_perm:[2,3,0,1] row_mask:0xf bank_mask:0xf bound_ctrl:1
	v_addc_co_u32_e32 v2, vcc, 0, v2, vcc
	v_add_co_u32_e32 v7, vcc, 0, v1
	v_addc_co_u32_e32 v2, vcc, v2, v8, vcc
	v_mov_b32_dpp v1, v1 row_ror:4 row_mask:0xf bank_mask:0xf bound_ctrl:1
	v_add_co_u32_e32 v1, vcc, v7, v1
	v_mov_b32_dpp v8, v2 row_ror:4 row_mask:0xf bank_mask:0xf bound_ctrl:1
	v_addc_co_u32_e32 v2, vcc, 0, v2, vcc
	v_add_co_u32_e32 v7, vcc, 0, v1
	v_addc_co_u32_e32 v2, vcc, v2, v8, vcc
	v_mov_b32_dpp v1, v1 row_ror:8 row_mask:0xf bank_mask:0xf bound_ctrl:1
	v_add_co_u32_e32 v1, vcc, v7, v1
	v_mov_b32_dpp v8, v2 row_ror:8 row_mask:0xf bank_mask:0xf bound_ctrl:1
	v_addc_co_u32_e32 v2, vcc, 0, v2, vcc
	v_add_co_u32_e32 v7, vcc, 0, v1
	v_addc_co_u32_e32 v2, vcc, v2, v8, vcc
	v_mov_b32_dpp v1, v1 row_bcast:15 row_mask:0xf bank_mask:0xf bound_ctrl:1
	v_add_co_u32_e32 v1, vcc, v7, v1
	v_mov_b32_dpp v8, v2 row_bcast:15 row_mask:0xf bank_mask:0xf bound_ctrl:1
	v_addc_co_u32_e32 v2, vcc, 0, v2, vcc
	v_add_co_u32_e32 v7, vcc, 0, v1
	v_addc_co_u32_e32 v2, vcc, v2, v8, vcc
	v_mov_b32_dpp v1, v1 row_bcast:31 row_mask:0xf bank_mask:0xf bound_ctrl:1
	v_add_co_u32_e32 v1, vcc, v7, v1
	v_addc_co_u32_e32 v7, vcc, 0, v2, vcc
	ds_bpermute_b32 v1, v9, v1
	s_nop 0
	v_add_u32_dpp v2, v2, v7 row_bcast:31 row_mask:0xf bank_mask:0xf bound_ctrl:1
	ds_bpermute_b32 v2, v9, v2
	v_cmp_eq_u32_e32 vcc, 0, v3
	s_and_saveexec_b64 s[10:11], vcc
	s_cbranch_execz .LBB4_3
; %bb.2:
	v_lshrrev_b32_e32 v7, 3, v0
	v_and_b32_e32 v7, 24, v7
	s_waitcnt lgkmcnt(0)
	ds_write_b64 v7, v[1:2]
.LBB4_3:
	s_or_b64 exec, exec, s[10:11]
	v_cmp_gt_u32_e32 vcc, 64, v0
	s_waitcnt lgkmcnt(0)
	s_barrier
	s_and_saveexec_b64 s[10:11], vcc
	s_cbranch_execz .LBB4_5
; %bb.4:
	v_and_b32_e32 v7, 3, v3
	v_lshlrev_b32_e32 v1, 3, v7
	ds_read_b64 v[1:2], v1
	v_cmp_ne_u32_e32 vcc, 3, v7
	v_addc_co_u32_e32 v3, vcc, 0, v3, vcc
	v_lshlrev_b32_e32 v3, 2, v3
	s_waitcnt lgkmcnt(0)
	ds_bpermute_b32 v7, v3, v1
	ds_bpermute_b32 v3, v3, v2
	v_or_b32_e32 v4, 8, v4
	s_waitcnt lgkmcnt(1)
	v_add_co_u32_e32 v1, vcc, v1, v7
	v_addc_co_u32_e32 v2, vcc, 0, v2, vcc
	ds_bpermute_b32 v7, v4, v1
	v_add_co_u32_e32 v1, vcc, 0, v1
	s_waitcnt lgkmcnt(1)
	v_addc_co_u32_e32 v2, vcc, v3, v2, vcc
	ds_bpermute_b32 v3, v4, v2
	s_waitcnt lgkmcnt(1)
	v_add_co_u32_e32 v1, vcc, v1, v7
	v_addc_co_u32_e32 v2, vcc, 0, v2, vcc
	v_add_co_u32_e32 v1, vcc, 0, v1
	s_waitcnt lgkmcnt(0)
	v_addc_co_u32_e32 v2, vcc, v2, v3, vcc
.LBB4_5:
	s_or_b64 exec, exec, s[10:11]
	s_branch .LBB4_28
.LBB4_6:
                                        ; implicit-def: $vgpr1_vgpr2
	s_cbranch_execz .LBB4_28
; %bb.7:
	s_sub_i32 s10, s12, s8
	v_mov_b32_e32 v1, 0
	v_cmp_gt_u32_e32 vcc, s10, v0
	v_mov_b32_e32 v2, v1
	v_mov_b32_e32 v3, v1
	;; [unrolled: 1-line block ×3, first 2 shown]
	s_and_saveexec_b64 s[8:9], vcc
	s_cbranch_execz .LBB4_9
; %bb.8:
	global_load_dwordx2 v[7:8], v6, s[4:5]
	v_mov_b32_e32 v9, v1
	v_mov_b32_e32 v10, v1
	s_waitcnt vmcnt(0)
	v_mov_b32_e32 v1, v7
	v_mov_b32_e32 v2, v8
	;; [unrolled: 1-line block ×4, first 2 shown]
.LBB4_9:
	s_or_b64 exec, exec, s[8:9]
	v_or_b32_e32 v7, 0x100, v0
	v_cmp_gt_u32_e32 vcc, s10, v7
	s_and_saveexec_b64 s[8:9], vcc
	s_cbranch_execz .LBB4_11
; %bb.10:
	global_load_dwordx2 v[3:4], v6, s[4:5] offset:2048
.LBB4_11:
	s_or_b64 exec, exec, s[8:9]
	s_waitcnt vmcnt(0)
	v_cndmask_b32_e32 v3, 0, v3, vcc
	v_cndmask_b32_e32 v4, 0, v4, vcc
	v_add_co_u32_e32 v1, vcc, v3, v1
	v_mbcnt_hi_u32_b32 v3, -1, v5
	v_addc_co_u32_e32 v2, vcc, v4, v2, vcc
	v_and_b32_e32 v4, 63, v3
	v_cmp_ne_u32_e32 vcc, 63, v4
	v_addc_co_u32_e32 v6, vcc, 0, v3, vcc
	v_lshlrev_b32_e32 v6, 2, v6
	ds_bpermute_b32 v8, v6, v1
	ds_bpermute_b32 v7, v6, v2
	s_min_u32 s8, s10, 0x100
	v_and_b32_e32 v5, 0xc0, v0
	v_sub_u32_e64 v5, s8, v5 clamp
	v_add_u32_e32 v6, 1, v4
	v_cmp_lt_u32_e32 vcc, v6, v5
	v_mov_b32_e32 v6, v1
	s_and_saveexec_b64 s[4:5], vcc
	s_cbranch_execz .LBB4_13
; %bb.12:
	s_waitcnt lgkmcnt(1)
	v_add_co_u32_e32 v6, vcc, v1, v8
	v_addc_co_u32_e32 v2, vcc, 0, v2, vcc
	v_add_co_u32_e32 v1, vcc, 0, v6
	s_waitcnt lgkmcnt(0)
	v_addc_co_u32_e32 v2, vcc, v7, v2, vcc
.LBB4_13:
	s_or_b64 exec, exec, s[4:5]
	v_cmp_gt_u32_e32 vcc, 62, v4
	s_waitcnt lgkmcnt(0)
	v_cndmask_b32_e64 v7, 0, 2, vcc
	v_add_lshl_u32 v7, v7, v3, 2
	ds_bpermute_b32 v8, v7, v6
	ds_bpermute_b32 v7, v7, v2
	v_add_u32_e32 v9, 2, v4
	v_cmp_lt_u32_e32 vcc, v9, v5
	s_and_saveexec_b64 s[4:5], vcc
	s_cbranch_execz .LBB4_15
; %bb.14:
	s_waitcnt lgkmcnt(1)
	v_add_co_u32_e32 v6, vcc, v1, v8
	v_addc_co_u32_e32 v2, vcc, 0, v2, vcc
	v_add_co_u32_e32 v1, vcc, 0, v6
	s_waitcnt lgkmcnt(0)
	v_addc_co_u32_e32 v2, vcc, v7, v2, vcc
.LBB4_15:
	s_or_b64 exec, exec, s[4:5]
	v_cmp_gt_u32_e32 vcc, 60, v4
	s_waitcnt lgkmcnt(0)
	v_cndmask_b32_e64 v7, 0, 4, vcc
	v_add_lshl_u32 v7, v7, v3, 2
	ds_bpermute_b32 v8, v7, v6
	ds_bpermute_b32 v7, v7, v2
	v_add_u32_e32 v9, 4, v4
	v_cmp_lt_u32_e32 vcc, v9, v5
	s_and_saveexec_b64 s[4:5], vcc
	s_cbranch_execz .LBB4_17
; %bb.16:
	s_waitcnt lgkmcnt(1)
	v_add_co_u32_e32 v6, vcc, v1, v8
	v_addc_co_u32_e32 v2, vcc, 0, v2, vcc
	v_add_co_u32_e32 v1, vcc, 0, v6
	s_waitcnt lgkmcnt(0)
	v_addc_co_u32_e32 v2, vcc, v7, v2, vcc
.LBB4_17:
	s_or_b64 exec, exec, s[4:5]
	v_cmp_gt_u32_e32 vcc, 56, v4
	s_waitcnt lgkmcnt(0)
	v_cndmask_b32_e64 v7, 0, 8, vcc
	v_add_lshl_u32 v7, v7, v3, 2
	ds_bpermute_b32 v8, v7, v6
	ds_bpermute_b32 v7, v7, v2
	v_add_u32_e32 v9, 8, v4
	v_cmp_lt_u32_e32 vcc, v9, v5
	s_and_saveexec_b64 s[4:5], vcc
	s_cbranch_execz .LBB4_19
; %bb.18:
	s_waitcnt lgkmcnt(1)
	v_add_co_u32_e32 v6, vcc, v1, v8
	v_addc_co_u32_e32 v2, vcc, 0, v2, vcc
	v_add_co_u32_e32 v1, vcc, 0, v6
	s_waitcnt lgkmcnt(0)
	v_addc_co_u32_e32 v2, vcc, v7, v2, vcc
.LBB4_19:
	s_or_b64 exec, exec, s[4:5]
	v_cmp_gt_u32_e32 vcc, 48, v4
	s_waitcnt lgkmcnt(0)
	v_cndmask_b32_e64 v7, 0, 16, vcc
	v_add_lshl_u32 v7, v7, v3, 2
	ds_bpermute_b32 v8, v7, v6
	ds_bpermute_b32 v7, v7, v2
	v_add_u32_e32 v9, 16, v4
	v_cmp_lt_u32_e32 vcc, v9, v5
	s_and_saveexec_b64 s[4:5], vcc
	s_cbranch_execz .LBB4_21
; %bb.20:
	s_waitcnt lgkmcnt(1)
	v_add_co_u32_e32 v6, vcc, v1, v8
	v_addc_co_u32_e32 v2, vcc, 0, v2, vcc
	v_add_co_u32_e32 v1, vcc, 0, v6
	s_waitcnt lgkmcnt(0)
	v_addc_co_u32_e32 v2, vcc, v7, v2, vcc
.LBB4_21:
	s_or_b64 exec, exec, s[4:5]
	s_waitcnt lgkmcnt(0)
	v_lshlrev_b32_e32 v7, 2, v3
	v_or_b32_e32 v8, 0x80, v7
	ds_bpermute_b32 v6, v8, v6
	ds_bpermute_b32 v8, v8, v2
	v_add_u32_e32 v4, 32, v4
	s_waitcnt lgkmcnt(1)
	v_add_co_u32_e32 v6, vcc, v1, v6
	v_addc_co_u32_e32 v9, vcc, 0, v2, vcc
	v_add_co_u32_e32 v6, vcc, 0, v6
	s_waitcnt lgkmcnt(0)
	v_addc_co_u32_e32 v8, vcc, v9, v8, vcc
	v_cmp_lt_u32_e32 vcc, v4, v5
	v_cndmask_b32_e32 v2, v2, v8, vcc
	v_cndmask_b32_e32 v1, v1, v6, vcc
	v_cmp_eq_u32_e32 vcc, 0, v3
	s_and_saveexec_b64 s[4:5], vcc
; %bb.22:
	v_lshrrev_b32_e32 v4, 3, v0
	v_and_b32_e32 v4, 24, v4
	ds_write_b64 v4, v[1:2] offset:32
; %bb.23:
	s_or_b64 exec, exec, s[4:5]
	v_cmp_gt_u32_e32 vcc, 4, v0
	s_waitcnt lgkmcnt(0)
	s_barrier
	s_and_saveexec_b64 s[4:5], vcc
	s_cbranch_execz .LBB4_27
; %bb.24:
	v_lshlrev_b32_e32 v1, 3, v3
	ds_read_b64 v[1:2], v1 offset:32
	v_and_b32_e32 v4, 3, v3
	v_cmp_ne_u32_e32 vcc, 3, v4
	v_addc_co_u32_e32 v3, vcc, 0, v3, vcc
	v_lshlrev_b32_e32 v3, 2, v3
	s_waitcnt lgkmcnt(0)
	ds_bpermute_b32 v6, v3, v1
	ds_bpermute_b32 v5, v3, v2
	s_add_i32 s8, s8, 63
	s_lshr_b32 s10, s8, 6
	v_add_u32_e32 v3, 1, v4
	v_cmp_gt_u32_e32 vcc, s10, v3
	v_mov_b32_e32 v3, v1
	s_and_saveexec_b64 s[8:9], vcc
	s_cbranch_execz .LBB4_26
; %bb.25:
	s_waitcnt lgkmcnt(1)
	v_add_co_u32_e32 v3, vcc, v1, v6
	v_addc_co_u32_e32 v2, vcc, 0, v2, vcc
	v_add_co_u32_e32 v1, vcc, 0, v3
	s_waitcnt lgkmcnt(0)
	v_addc_co_u32_e32 v2, vcc, v5, v2, vcc
.LBB4_26:
	s_or_b64 exec, exec, s[8:9]
	s_waitcnt lgkmcnt(0)
	v_or_b32_e32 v5, 8, v7
	ds_bpermute_b32 v3, v5, v3
	ds_bpermute_b32 v5, v5, v2
	v_add_u32_e32 v4, 2, v4
	s_waitcnt lgkmcnt(1)
	v_add_co_u32_e32 v3, vcc, v1, v3
	v_addc_co_u32_e32 v6, vcc, 0, v2, vcc
	v_add_co_u32_e32 v3, vcc, 0, v3
	s_waitcnt lgkmcnt(0)
	v_addc_co_u32_e32 v5, vcc, v6, v5, vcc
	v_cmp_gt_u32_e32 vcc, s10, v4
	v_cndmask_b32_e32 v2, v2, v5, vcc
	v_cndmask_b32_e32 v1, v1, v3, vcc
.LBB4_27:
	s_or_b64 exec, exec, s[4:5]
.LBB4_28:
	v_cmp_eq_u32_e32 vcc, 0, v0
	s_and_saveexec_b64 s[4:5], vcc
	s_cbranch_execnz .LBB4_30
; %bb.29:
	s_endpgm
.LBB4_30:
	s_mul_i32 s1, s2, s1
	s_mul_hi_u32 s4, s2, s0
	s_add_i32 s1, s4, s1
	s_mul_i32 s3, s3, s0
	s_add_i32 s1, s1, s3
	s_mul_i32 s0, s2, s0
	s_lshl_b64 s[0:1], s[0:1], 3
	s_add_u32 s2, s14, s0
	s_addc_u32 s3, s15, s1
	s_cmp_eq_u64 s[12:13], 0
	v_mov_b32_e32 v0, s17
	s_cselect_b64 vcc, -1, 0
	s_lshl_b64 s[0:1], s[6:7], 3
	v_cndmask_b32_e32 v2, v2, v0, vcc
	v_mov_b32_e32 v0, s16
	s_add_u32 s0, s2, s0
	v_cndmask_b32_e32 v1, v1, v0, vcc
	s_addc_u32 s1, s3, s1
	v_mov_b32_e32 v0, 0
	global_store_dwordx2 v0, v[1:2], s[0:1]
	s_endpgm
	.section	.rodata,"a",@progbits
	.p2align	6, 0x0
	.amdhsa_kernel _ZN7rocprim17ROCPRIM_400000_NS6detail17trampoline_kernelINS0_14default_configENS1_22reduce_config_selectorIlEEZNS1_11reduce_implILb1ES3_PlS7_lN6hipcub16HIPCUB_304000_NS6detail34convert_binary_result_type_wrapperINS9_3SumENS9_22TransformInputIteratorIb7NonZeroIaEPalEElEEEE10hipError_tPvRmT1_T2_T3_mT4_P12ihipStream_tbEUlT_E0_NS1_11comp_targetILNS1_3genE2ELNS1_11target_archE906ELNS1_3gpuE6ELNS1_3repE0EEENS1_30default_config_static_selectorELNS0_4arch9wavefront6targetE1EEEvSM_
		.amdhsa_group_segment_fixed_size 64
		.amdhsa_private_segment_fixed_size 0
		.amdhsa_kernarg_size 64
		.amdhsa_user_sgpr_count 6
		.amdhsa_user_sgpr_private_segment_buffer 1
		.amdhsa_user_sgpr_dispatch_ptr 0
		.amdhsa_user_sgpr_queue_ptr 0
		.amdhsa_user_sgpr_kernarg_segment_ptr 1
		.amdhsa_user_sgpr_dispatch_id 0
		.amdhsa_user_sgpr_flat_scratch_init 0
		.amdhsa_user_sgpr_private_segment_size 0
		.amdhsa_uses_dynamic_stack 0
		.amdhsa_system_sgpr_private_segment_wavefront_offset 0
		.amdhsa_system_sgpr_workgroup_id_x 1
		.amdhsa_system_sgpr_workgroup_id_y 0
		.amdhsa_system_sgpr_workgroup_id_z 0
		.amdhsa_system_sgpr_workgroup_info 0
		.amdhsa_system_vgpr_workitem_id 0
		.amdhsa_next_free_vgpr 11
		.amdhsa_next_free_sgpr 20
		.amdhsa_reserve_vcc 1
		.amdhsa_reserve_flat_scratch 0
		.amdhsa_float_round_mode_32 0
		.amdhsa_float_round_mode_16_64 0
		.amdhsa_float_denorm_mode_32 3
		.amdhsa_float_denorm_mode_16_64 3
		.amdhsa_dx10_clamp 1
		.amdhsa_ieee_mode 1
		.amdhsa_fp16_overflow 0
		.amdhsa_exception_fp_ieee_invalid_op 0
		.amdhsa_exception_fp_denorm_src 0
		.amdhsa_exception_fp_ieee_div_zero 0
		.amdhsa_exception_fp_ieee_overflow 0
		.amdhsa_exception_fp_ieee_underflow 0
		.amdhsa_exception_fp_ieee_inexact 0
		.amdhsa_exception_int_div_zero 0
	.end_amdhsa_kernel
	.section	.text._ZN7rocprim17ROCPRIM_400000_NS6detail17trampoline_kernelINS0_14default_configENS1_22reduce_config_selectorIlEEZNS1_11reduce_implILb1ES3_PlS7_lN6hipcub16HIPCUB_304000_NS6detail34convert_binary_result_type_wrapperINS9_3SumENS9_22TransformInputIteratorIb7NonZeroIaEPalEElEEEE10hipError_tPvRmT1_T2_T3_mT4_P12ihipStream_tbEUlT_E0_NS1_11comp_targetILNS1_3genE2ELNS1_11target_archE906ELNS1_3gpuE6ELNS1_3repE0EEENS1_30default_config_static_selectorELNS0_4arch9wavefront6targetE1EEEvSM_,"axG",@progbits,_ZN7rocprim17ROCPRIM_400000_NS6detail17trampoline_kernelINS0_14default_configENS1_22reduce_config_selectorIlEEZNS1_11reduce_implILb1ES3_PlS7_lN6hipcub16HIPCUB_304000_NS6detail34convert_binary_result_type_wrapperINS9_3SumENS9_22TransformInputIteratorIb7NonZeroIaEPalEElEEEE10hipError_tPvRmT1_T2_T3_mT4_P12ihipStream_tbEUlT_E0_NS1_11comp_targetILNS1_3genE2ELNS1_11target_archE906ELNS1_3gpuE6ELNS1_3repE0EEENS1_30default_config_static_selectorELNS0_4arch9wavefront6targetE1EEEvSM_,comdat
.Lfunc_end4:
	.size	_ZN7rocprim17ROCPRIM_400000_NS6detail17trampoline_kernelINS0_14default_configENS1_22reduce_config_selectorIlEEZNS1_11reduce_implILb1ES3_PlS7_lN6hipcub16HIPCUB_304000_NS6detail34convert_binary_result_type_wrapperINS9_3SumENS9_22TransformInputIteratorIb7NonZeroIaEPalEElEEEE10hipError_tPvRmT1_T2_T3_mT4_P12ihipStream_tbEUlT_E0_NS1_11comp_targetILNS1_3genE2ELNS1_11target_archE906ELNS1_3gpuE6ELNS1_3repE0EEENS1_30default_config_static_selectorELNS0_4arch9wavefront6targetE1EEEvSM_, .Lfunc_end4-_ZN7rocprim17ROCPRIM_400000_NS6detail17trampoline_kernelINS0_14default_configENS1_22reduce_config_selectorIlEEZNS1_11reduce_implILb1ES3_PlS7_lN6hipcub16HIPCUB_304000_NS6detail34convert_binary_result_type_wrapperINS9_3SumENS9_22TransformInputIteratorIb7NonZeroIaEPalEElEEEE10hipError_tPvRmT1_T2_T3_mT4_P12ihipStream_tbEUlT_E0_NS1_11comp_targetILNS1_3genE2ELNS1_11target_archE906ELNS1_3gpuE6ELNS1_3repE0EEENS1_30default_config_static_selectorELNS0_4arch9wavefront6targetE1EEEvSM_
                                        ; -- End function
	.set _ZN7rocprim17ROCPRIM_400000_NS6detail17trampoline_kernelINS0_14default_configENS1_22reduce_config_selectorIlEEZNS1_11reduce_implILb1ES3_PlS7_lN6hipcub16HIPCUB_304000_NS6detail34convert_binary_result_type_wrapperINS9_3SumENS9_22TransformInputIteratorIb7NonZeroIaEPalEElEEEE10hipError_tPvRmT1_T2_T3_mT4_P12ihipStream_tbEUlT_E0_NS1_11comp_targetILNS1_3genE2ELNS1_11target_archE906ELNS1_3gpuE6ELNS1_3repE0EEENS1_30default_config_static_selectorELNS0_4arch9wavefront6targetE1EEEvSM_.num_vgpr, 11
	.set _ZN7rocprim17ROCPRIM_400000_NS6detail17trampoline_kernelINS0_14default_configENS1_22reduce_config_selectorIlEEZNS1_11reduce_implILb1ES3_PlS7_lN6hipcub16HIPCUB_304000_NS6detail34convert_binary_result_type_wrapperINS9_3SumENS9_22TransformInputIteratorIb7NonZeroIaEPalEElEEEE10hipError_tPvRmT1_T2_T3_mT4_P12ihipStream_tbEUlT_E0_NS1_11comp_targetILNS1_3genE2ELNS1_11target_archE906ELNS1_3gpuE6ELNS1_3repE0EEENS1_30default_config_static_selectorELNS0_4arch9wavefront6targetE1EEEvSM_.num_agpr, 0
	.set _ZN7rocprim17ROCPRIM_400000_NS6detail17trampoline_kernelINS0_14default_configENS1_22reduce_config_selectorIlEEZNS1_11reduce_implILb1ES3_PlS7_lN6hipcub16HIPCUB_304000_NS6detail34convert_binary_result_type_wrapperINS9_3SumENS9_22TransformInputIteratorIb7NonZeroIaEPalEElEEEE10hipError_tPvRmT1_T2_T3_mT4_P12ihipStream_tbEUlT_E0_NS1_11comp_targetILNS1_3genE2ELNS1_11target_archE906ELNS1_3gpuE6ELNS1_3repE0EEENS1_30default_config_static_selectorELNS0_4arch9wavefront6targetE1EEEvSM_.numbered_sgpr, 20
	.set _ZN7rocprim17ROCPRIM_400000_NS6detail17trampoline_kernelINS0_14default_configENS1_22reduce_config_selectorIlEEZNS1_11reduce_implILb1ES3_PlS7_lN6hipcub16HIPCUB_304000_NS6detail34convert_binary_result_type_wrapperINS9_3SumENS9_22TransformInputIteratorIb7NonZeroIaEPalEElEEEE10hipError_tPvRmT1_T2_T3_mT4_P12ihipStream_tbEUlT_E0_NS1_11comp_targetILNS1_3genE2ELNS1_11target_archE906ELNS1_3gpuE6ELNS1_3repE0EEENS1_30default_config_static_selectorELNS0_4arch9wavefront6targetE1EEEvSM_.num_named_barrier, 0
	.set _ZN7rocprim17ROCPRIM_400000_NS6detail17trampoline_kernelINS0_14default_configENS1_22reduce_config_selectorIlEEZNS1_11reduce_implILb1ES3_PlS7_lN6hipcub16HIPCUB_304000_NS6detail34convert_binary_result_type_wrapperINS9_3SumENS9_22TransformInputIteratorIb7NonZeroIaEPalEElEEEE10hipError_tPvRmT1_T2_T3_mT4_P12ihipStream_tbEUlT_E0_NS1_11comp_targetILNS1_3genE2ELNS1_11target_archE906ELNS1_3gpuE6ELNS1_3repE0EEENS1_30default_config_static_selectorELNS0_4arch9wavefront6targetE1EEEvSM_.private_seg_size, 0
	.set _ZN7rocprim17ROCPRIM_400000_NS6detail17trampoline_kernelINS0_14default_configENS1_22reduce_config_selectorIlEEZNS1_11reduce_implILb1ES3_PlS7_lN6hipcub16HIPCUB_304000_NS6detail34convert_binary_result_type_wrapperINS9_3SumENS9_22TransformInputIteratorIb7NonZeroIaEPalEElEEEE10hipError_tPvRmT1_T2_T3_mT4_P12ihipStream_tbEUlT_E0_NS1_11comp_targetILNS1_3genE2ELNS1_11target_archE906ELNS1_3gpuE6ELNS1_3repE0EEENS1_30default_config_static_selectorELNS0_4arch9wavefront6targetE1EEEvSM_.uses_vcc, 1
	.set _ZN7rocprim17ROCPRIM_400000_NS6detail17trampoline_kernelINS0_14default_configENS1_22reduce_config_selectorIlEEZNS1_11reduce_implILb1ES3_PlS7_lN6hipcub16HIPCUB_304000_NS6detail34convert_binary_result_type_wrapperINS9_3SumENS9_22TransformInputIteratorIb7NonZeroIaEPalEElEEEE10hipError_tPvRmT1_T2_T3_mT4_P12ihipStream_tbEUlT_E0_NS1_11comp_targetILNS1_3genE2ELNS1_11target_archE906ELNS1_3gpuE6ELNS1_3repE0EEENS1_30default_config_static_selectorELNS0_4arch9wavefront6targetE1EEEvSM_.uses_flat_scratch, 0
	.set _ZN7rocprim17ROCPRIM_400000_NS6detail17trampoline_kernelINS0_14default_configENS1_22reduce_config_selectorIlEEZNS1_11reduce_implILb1ES3_PlS7_lN6hipcub16HIPCUB_304000_NS6detail34convert_binary_result_type_wrapperINS9_3SumENS9_22TransformInputIteratorIb7NonZeroIaEPalEElEEEE10hipError_tPvRmT1_T2_T3_mT4_P12ihipStream_tbEUlT_E0_NS1_11comp_targetILNS1_3genE2ELNS1_11target_archE906ELNS1_3gpuE6ELNS1_3repE0EEENS1_30default_config_static_selectorELNS0_4arch9wavefront6targetE1EEEvSM_.has_dyn_sized_stack, 0
	.set _ZN7rocprim17ROCPRIM_400000_NS6detail17trampoline_kernelINS0_14default_configENS1_22reduce_config_selectorIlEEZNS1_11reduce_implILb1ES3_PlS7_lN6hipcub16HIPCUB_304000_NS6detail34convert_binary_result_type_wrapperINS9_3SumENS9_22TransformInputIteratorIb7NonZeroIaEPalEElEEEE10hipError_tPvRmT1_T2_T3_mT4_P12ihipStream_tbEUlT_E0_NS1_11comp_targetILNS1_3genE2ELNS1_11target_archE906ELNS1_3gpuE6ELNS1_3repE0EEENS1_30default_config_static_selectorELNS0_4arch9wavefront6targetE1EEEvSM_.has_recursion, 0
	.set _ZN7rocprim17ROCPRIM_400000_NS6detail17trampoline_kernelINS0_14default_configENS1_22reduce_config_selectorIlEEZNS1_11reduce_implILb1ES3_PlS7_lN6hipcub16HIPCUB_304000_NS6detail34convert_binary_result_type_wrapperINS9_3SumENS9_22TransformInputIteratorIb7NonZeroIaEPalEElEEEE10hipError_tPvRmT1_T2_T3_mT4_P12ihipStream_tbEUlT_E0_NS1_11comp_targetILNS1_3genE2ELNS1_11target_archE906ELNS1_3gpuE6ELNS1_3repE0EEENS1_30default_config_static_selectorELNS0_4arch9wavefront6targetE1EEEvSM_.has_indirect_call, 0
	.section	.AMDGPU.csdata,"",@progbits
; Kernel info:
; codeLenInByte = 1496
; TotalNumSgprs: 24
; NumVgprs: 11
; ScratchSize: 0
; MemoryBound: 0
; FloatMode: 240
; IeeeMode: 1
; LDSByteSize: 64 bytes/workgroup (compile time only)
; SGPRBlocks: 2
; VGPRBlocks: 2
; NumSGPRsForWavesPerEU: 24
; NumVGPRsForWavesPerEU: 11
; Occupancy: 10
; WaveLimiterHint : 1
; COMPUTE_PGM_RSRC2:SCRATCH_EN: 0
; COMPUTE_PGM_RSRC2:USER_SGPR: 6
; COMPUTE_PGM_RSRC2:TRAP_HANDLER: 0
; COMPUTE_PGM_RSRC2:TGID_X_EN: 1
; COMPUTE_PGM_RSRC2:TGID_Y_EN: 0
; COMPUTE_PGM_RSRC2:TGID_Z_EN: 0
; COMPUTE_PGM_RSRC2:TIDIG_COMP_CNT: 0
	.section	.text._ZN7rocprim17ROCPRIM_400000_NS6detail17trampoline_kernelINS0_14default_configENS1_22reduce_config_selectorIlEEZNS1_11reduce_implILb1ES3_PlS7_lN6hipcub16HIPCUB_304000_NS6detail34convert_binary_result_type_wrapperINS9_3SumENS9_22TransformInputIteratorIb7NonZeroIaEPalEElEEEE10hipError_tPvRmT1_T2_T3_mT4_P12ihipStream_tbEUlT_E0_NS1_11comp_targetILNS1_3genE10ELNS1_11target_archE1201ELNS1_3gpuE5ELNS1_3repE0EEENS1_30default_config_static_selectorELNS0_4arch9wavefront6targetE1EEEvSM_,"axG",@progbits,_ZN7rocprim17ROCPRIM_400000_NS6detail17trampoline_kernelINS0_14default_configENS1_22reduce_config_selectorIlEEZNS1_11reduce_implILb1ES3_PlS7_lN6hipcub16HIPCUB_304000_NS6detail34convert_binary_result_type_wrapperINS9_3SumENS9_22TransformInputIteratorIb7NonZeroIaEPalEElEEEE10hipError_tPvRmT1_T2_T3_mT4_P12ihipStream_tbEUlT_E0_NS1_11comp_targetILNS1_3genE10ELNS1_11target_archE1201ELNS1_3gpuE5ELNS1_3repE0EEENS1_30default_config_static_selectorELNS0_4arch9wavefront6targetE1EEEvSM_,comdat
	.protected	_ZN7rocprim17ROCPRIM_400000_NS6detail17trampoline_kernelINS0_14default_configENS1_22reduce_config_selectorIlEEZNS1_11reduce_implILb1ES3_PlS7_lN6hipcub16HIPCUB_304000_NS6detail34convert_binary_result_type_wrapperINS9_3SumENS9_22TransformInputIteratorIb7NonZeroIaEPalEElEEEE10hipError_tPvRmT1_T2_T3_mT4_P12ihipStream_tbEUlT_E0_NS1_11comp_targetILNS1_3genE10ELNS1_11target_archE1201ELNS1_3gpuE5ELNS1_3repE0EEENS1_30default_config_static_selectorELNS0_4arch9wavefront6targetE1EEEvSM_ ; -- Begin function _ZN7rocprim17ROCPRIM_400000_NS6detail17trampoline_kernelINS0_14default_configENS1_22reduce_config_selectorIlEEZNS1_11reduce_implILb1ES3_PlS7_lN6hipcub16HIPCUB_304000_NS6detail34convert_binary_result_type_wrapperINS9_3SumENS9_22TransformInputIteratorIb7NonZeroIaEPalEElEEEE10hipError_tPvRmT1_T2_T3_mT4_P12ihipStream_tbEUlT_E0_NS1_11comp_targetILNS1_3genE10ELNS1_11target_archE1201ELNS1_3gpuE5ELNS1_3repE0EEENS1_30default_config_static_selectorELNS0_4arch9wavefront6targetE1EEEvSM_
	.globl	_ZN7rocprim17ROCPRIM_400000_NS6detail17trampoline_kernelINS0_14default_configENS1_22reduce_config_selectorIlEEZNS1_11reduce_implILb1ES3_PlS7_lN6hipcub16HIPCUB_304000_NS6detail34convert_binary_result_type_wrapperINS9_3SumENS9_22TransformInputIteratorIb7NonZeroIaEPalEElEEEE10hipError_tPvRmT1_T2_T3_mT4_P12ihipStream_tbEUlT_E0_NS1_11comp_targetILNS1_3genE10ELNS1_11target_archE1201ELNS1_3gpuE5ELNS1_3repE0EEENS1_30default_config_static_selectorELNS0_4arch9wavefront6targetE1EEEvSM_
	.p2align	8
	.type	_ZN7rocprim17ROCPRIM_400000_NS6detail17trampoline_kernelINS0_14default_configENS1_22reduce_config_selectorIlEEZNS1_11reduce_implILb1ES3_PlS7_lN6hipcub16HIPCUB_304000_NS6detail34convert_binary_result_type_wrapperINS9_3SumENS9_22TransformInputIteratorIb7NonZeroIaEPalEElEEEE10hipError_tPvRmT1_T2_T3_mT4_P12ihipStream_tbEUlT_E0_NS1_11comp_targetILNS1_3genE10ELNS1_11target_archE1201ELNS1_3gpuE5ELNS1_3repE0EEENS1_30default_config_static_selectorELNS0_4arch9wavefront6targetE1EEEvSM_,@function
_ZN7rocprim17ROCPRIM_400000_NS6detail17trampoline_kernelINS0_14default_configENS1_22reduce_config_selectorIlEEZNS1_11reduce_implILb1ES3_PlS7_lN6hipcub16HIPCUB_304000_NS6detail34convert_binary_result_type_wrapperINS9_3SumENS9_22TransformInputIteratorIb7NonZeroIaEPalEElEEEE10hipError_tPvRmT1_T2_T3_mT4_P12ihipStream_tbEUlT_E0_NS1_11comp_targetILNS1_3genE10ELNS1_11target_archE1201ELNS1_3gpuE5ELNS1_3repE0EEENS1_30default_config_static_selectorELNS0_4arch9wavefront6targetE1EEEvSM_: ; @_ZN7rocprim17ROCPRIM_400000_NS6detail17trampoline_kernelINS0_14default_configENS1_22reduce_config_selectorIlEEZNS1_11reduce_implILb1ES3_PlS7_lN6hipcub16HIPCUB_304000_NS6detail34convert_binary_result_type_wrapperINS9_3SumENS9_22TransformInputIteratorIb7NonZeroIaEPalEElEEEE10hipError_tPvRmT1_T2_T3_mT4_P12ihipStream_tbEUlT_E0_NS1_11comp_targetILNS1_3genE10ELNS1_11target_archE1201ELNS1_3gpuE5ELNS1_3repE0EEENS1_30default_config_static_selectorELNS0_4arch9wavefront6targetE1EEEvSM_
; %bb.0:
	.section	.rodata,"a",@progbits
	.p2align	6, 0x0
	.amdhsa_kernel _ZN7rocprim17ROCPRIM_400000_NS6detail17trampoline_kernelINS0_14default_configENS1_22reduce_config_selectorIlEEZNS1_11reduce_implILb1ES3_PlS7_lN6hipcub16HIPCUB_304000_NS6detail34convert_binary_result_type_wrapperINS9_3SumENS9_22TransformInputIteratorIb7NonZeroIaEPalEElEEEE10hipError_tPvRmT1_T2_T3_mT4_P12ihipStream_tbEUlT_E0_NS1_11comp_targetILNS1_3genE10ELNS1_11target_archE1201ELNS1_3gpuE5ELNS1_3repE0EEENS1_30default_config_static_selectorELNS0_4arch9wavefront6targetE1EEEvSM_
		.amdhsa_group_segment_fixed_size 0
		.amdhsa_private_segment_fixed_size 0
		.amdhsa_kernarg_size 64
		.amdhsa_user_sgpr_count 6
		.amdhsa_user_sgpr_private_segment_buffer 1
		.amdhsa_user_sgpr_dispatch_ptr 0
		.amdhsa_user_sgpr_queue_ptr 0
		.amdhsa_user_sgpr_kernarg_segment_ptr 1
		.amdhsa_user_sgpr_dispatch_id 0
		.amdhsa_user_sgpr_flat_scratch_init 0
		.amdhsa_user_sgpr_private_segment_size 0
		.amdhsa_uses_dynamic_stack 0
		.amdhsa_system_sgpr_private_segment_wavefront_offset 0
		.amdhsa_system_sgpr_workgroup_id_x 1
		.amdhsa_system_sgpr_workgroup_id_y 0
		.amdhsa_system_sgpr_workgroup_id_z 0
		.amdhsa_system_sgpr_workgroup_info 0
		.amdhsa_system_vgpr_workitem_id 0
		.amdhsa_next_free_vgpr 1
		.amdhsa_next_free_sgpr 0
		.amdhsa_reserve_vcc 0
		.amdhsa_reserve_flat_scratch 0
		.amdhsa_float_round_mode_32 0
		.amdhsa_float_round_mode_16_64 0
		.amdhsa_float_denorm_mode_32 3
		.amdhsa_float_denorm_mode_16_64 3
		.amdhsa_dx10_clamp 1
		.amdhsa_ieee_mode 1
		.amdhsa_fp16_overflow 0
		.amdhsa_exception_fp_ieee_invalid_op 0
		.amdhsa_exception_fp_denorm_src 0
		.amdhsa_exception_fp_ieee_div_zero 0
		.amdhsa_exception_fp_ieee_overflow 0
		.amdhsa_exception_fp_ieee_underflow 0
		.amdhsa_exception_fp_ieee_inexact 0
		.amdhsa_exception_int_div_zero 0
	.end_amdhsa_kernel
	.section	.text._ZN7rocprim17ROCPRIM_400000_NS6detail17trampoline_kernelINS0_14default_configENS1_22reduce_config_selectorIlEEZNS1_11reduce_implILb1ES3_PlS7_lN6hipcub16HIPCUB_304000_NS6detail34convert_binary_result_type_wrapperINS9_3SumENS9_22TransformInputIteratorIb7NonZeroIaEPalEElEEEE10hipError_tPvRmT1_T2_T3_mT4_P12ihipStream_tbEUlT_E0_NS1_11comp_targetILNS1_3genE10ELNS1_11target_archE1201ELNS1_3gpuE5ELNS1_3repE0EEENS1_30default_config_static_selectorELNS0_4arch9wavefront6targetE1EEEvSM_,"axG",@progbits,_ZN7rocprim17ROCPRIM_400000_NS6detail17trampoline_kernelINS0_14default_configENS1_22reduce_config_selectorIlEEZNS1_11reduce_implILb1ES3_PlS7_lN6hipcub16HIPCUB_304000_NS6detail34convert_binary_result_type_wrapperINS9_3SumENS9_22TransformInputIteratorIb7NonZeroIaEPalEElEEEE10hipError_tPvRmT1_T2_T3_mT4_P12ihipStream_tbEUlT_E0_NS1_11comp_targetILNS1_3genE10ELNS1_11target_archE1201ELNS1_3gpuE5ELNS1_3repE0EEENS1_30default_config_static_selectorELNS0_4arch9wavefront6targetE1EEEvSM_,comdat
.Lfunc_end5:
	.size	_ZN7rocprim17ROCPRIM_400000_NS6detail17trampoline_kernelINS0_14default_configENS1_22reduce_config_selectorIlEEZNS1_11reduce_implILb1ES3_PlS7_lN6hipcub16HIPCUB_304000_NS6detail34convert_binary_result_type_wrapperINS9_3SumENS9_22TransformInputIteratorIb7NonZeroIaEPalEElEEEE10hipError_tPvRmT1_T2_T3_mT4_P12ihipStream_tbEUlT_E0_NS1_11comp_targetILNS1_3genE10ELNS1_11target_archE1201ELNS1_3gpuE5ELNS1_3repE0EEENS1_30default_config_static_selectorELNS0_4arch9wavefront6targetE1EEEvSM_, .Lfunc_end5-_ZN7rocprim17ROCPRIM_400000_NS6detail17trampoline_kernelINS0_14default_configENS1_22reduce_config_selectorIlEEZNS1_11reduce_implILb1ES3_PlS7_lN6hipcub16HIPCUB_304000_NS6detail34convert_binary_result_type_wrapperINS9_3SumENS9_22TransformInputIteratorIb7NonZeroIaEPalEElEEEE10hipError_tPvRmT1_T2_T3_mT4_P12ihipStream_tbEUlT_E0_NS1_11comp_targetILNS1_3genE10ELNS1_11target_archE1201ELNS1_3gpuE5ELNS1_3repE0EEENS1_30default_config_static_selectorELNS0_4arch9wavefront6targetE1EEEvSM_
                                        ; -- End function
	.set _ZN7rocprim17ROCPRIM_400000_NS6detail17trampoline_kernelINS0_14default_configENS1_22reduce_config_selectorIlEEZNS1_11reduce_implILb1ES3_PlS7_lN6hipcub16HIPCUB_304000_NS6detail34convert_binary_result_type_wrapperINS9_3SumENS9_22TransformInputIteratorIb7NonZeroIaEPalEElEEEE10hipError_tPvRmT1_T2_T3_mT4_P12ihipStream_tbEUlT_E0_NS1_11comp_targetILNS1_3genE10ELNS1_11target_archE1201ELNS1_3gpuE5ELNS1_3repE0EEENS1_30default_config_static_selectorELNS0_4arch9wavefront6targetE1EEEvSM_.num_vgpr, 0
	.set _ZN7rocprim17ROCPRIM_400000_NS6detail17trampoline_kernelINS0_14default_configENS1_22reduce_config_selectorIlEEZNS1_11reduce_implILb1ES3_PlS7_lN6hipcub16HIPCUB_304000_NS6detail34convert_binary_result_type_wrapperINS9_3SumENS9_22TransformInputIteratorIb7NonZeroIaEPalEElEEEE10hipError_tPvRmT1_T2_T3_mT4_P12ihipStream_tbEUlT_E0_NS1_11comp_targetILNS1_3genE10ELNS1_11target_archE1201ELNS1_3gpuE5ELNS1_3repE0EEENS1_30default_config_static_selectorELNS0_4arch9wavefront6targetE1EEEvSM_.num_agpr, 0
	.set _ZN7rocprim17ROCPRIM_400000_NS6detail17trampoline_kernelINS0_14default_configENS1_22reduce_config_selectorIlEEZNS1_11reduce_implILb1ES3_PlS7_lN6hipcub16HIPCUB_304000_NS6detail34convert_binary_result_type_wrapperINS9_3SumENS9_22TransformInputIteratorIb7NonZeroIaEPalEElEEEE10hipError_tPvRmT1_T2_T3_mT4_P12ihipStream_tbEUlT_E0_NS1_11comp_targetILNS1_3genE10ELNS1_11target_archE1201ELNS1_3gpuE5ELNS1_3repE0EEENS1_30default_config_static_selectorELNS0_4arch9wavefront6targetE1EEEvSM_.numbered_sgpr, 0
	.set _ZN7rocprim17ROCPRIM_400000_NS6detail17trampoline_kernelINS0_14default_configENS1_22reduce_config_selectorIlEEZNS1_11reduce_implILb1ES3_PlS7_lN6hipcub16HIPCUB_304000_NS6detail34convert_binary_result_type_wrapperINS9_3SumENS9_22TransformInputIteratorIb7NonZeroIaEPalEElEEEE10hipError_tPvRmT1_T2_T3_mT4_P12ihipStream_tbEUlT_E0_NS1_11comp_targetILNS1_3genE10ELNS1_11target_archE1201ELNS1_3gpuE5ELNS1_3repE0EEENS1_30default_config_static_selectorELNS0_4arch9wavefront6targetE1EEEvSM_.num_named_barrier, 0
	.set _ZN7rocprim17ROCPRIM_400000_NS6detail17trampoline_kernelINS0_14default_configENS1_22reduce_config_selectorIlEEZNS1_11reduce_implILb1ES3_PlS7_lN6hipcub16HIPCUB_304000_NS6detail34convert_binary_result_type_wrapperINS9_3SumENS9_22TransformInputIteratorIb7NonZeroIaEPalEElEEEE10hipError_tPvRmT1_T2_T3_mT4_P12ihipStream_tbEUlT_E0_NS1_11comp_targetILNS1_3genE10ELNS1_11target_archE1201ELNS1_3gpuE5ELNS1_3repE0EEENS1_30default_config_static_selectorELNS0_4arch9wavefront6targetE1EEEvSM_.private_seg_size, 0
	.set _ZN7rocprim17ROCPRIM_400000_NS6detail17trampoline_kernelINS0_14default_configENS1_22reduce_config_selectorIlEEZNS1_11reduce_implILb1ES3_PlS7_lN6hipcub16HIPCUB_304000_NS6detail34convert_binary_result_type_wrapperINS9_3SumENS9_22TransformInputIteratorIb7NonZeroIaEPalEElEEEE10hipError_tPvRmT1_T2_T3_mT4_P12ihipStream_tbEUlT_E0_NS1_11comp_targetILNS1_3genE10ELNS1_11target_archE1201ELNS1_3gpuE5ELNS1_3repE0EEENS1_30default_config_static_selectorELNS0_4arch9wavefront6targetE1EEEvSM_.uses_vcc, 0
	.set _ZN7rocprim17ROCPRIM_400000_NS6detail17trampoline_kernelINS0_14default_configENS1_22reduce_config_selectorIlEEZNS1_11reduce_implILb1ES3_PlS7_lN6hipcub16HIPCUB_304000_NS6detail34convert_binary_result_type_wrapperINS9_3SumENS9_22TransformInputIteratorIb7NonZeroIaEPalEElEEEE10hipError_tPvRmT1_T2_T3_mT4_P12ihipStream_tbEUlT_E0_NS1_11comp_targetILNS1_3genE10ELNS1_11target_archE1201ELNS1_3gpuE5ELNS1_3repE0EEENS1_30default_config_static_selectorELNS0_4arch9wavefront6targetE1EEEvSM_.uses_flat_scratch, 0
	.set _ZN7rocprim17ROCPRIM_400000_NS6detail17trampoline_kernelINS0_14default_configENS1_22reduce_config_selectorIlEEZNS1_11reduce_implILb1ES3_PlS7_lN6hipcub16HIPCUB_304000_NS6detail34convert_binary_result_type_wrapperINS9_3SumENS9_22TransformInputIteratorIb7NonZeroIaEPalEElEEEE10hipError_tPvRmT1_T2_T3_mT4_P12ihipStream_tbEUlT_E0_NS1_11comp_targetILNS1_3genE10ELNS1_11target_archE1201ELNS1_3gpuE5ELNS1_3repE0EEENS1_30default_config_static_selectorELNS0_4arch9wavefront6targetE1EEEvSM_.has_dyn_sized_stack, 0
	.set _ZN7rocprim17ROCPRIM_400000_NS6detail17trampoline_kernelINS0_14default_configENS1_22reduce_config_selectorIlEEZNS1_11reduce_implILb1ES3_PlS7_lN6hipcub16HIPCUB_304000_NS6detail34convert_binary_result_type_wrapperINS9_3SumENS9_22TransformInputIteratorIb7NonZeroIaEPalEElEEEE10hipError_tPvRmT1_T2_T3_mT4_P12ihipStream_tbEUlT_E0_NS1_11comp_targetILNS1_3genE10ELNS1_11target_archE1201ELNS1_3gpuE5ELNS1_3repE0EEENS1_30default_config_static_selectorELNS0_4arch9wavefront6targetE1EEEvSM_.has_recursion, 0
	.set _ZN7rocprim17ROCPRIM_400000_NS6detail17trampoline_kernelINS0_14default_configENS1_22reduce_config_selectorIlEEZNS1_11reduce_implILb1ES3_PlS7_lN6hipcub16HIPCUB_304000_NS6detail34convert_binary_result_type_wrapperINS9_3SumENS9_22TransformInputIteratorIb7NonZeroIaEPalEElEEEE10hipError_tPvRmT1_T2_T3_mT4_P12ihipStream_tbEUlT_E0_NS1_11comp_targetILNS1_3genE10ELNS1_11target_archE1201ELNS1_3gpuE5ELNS1_3repE0EEENS1_30default_config_static_selectorELNS0_4arch9wavefront6targetE1EEEvSM_.has_indirect_call, 0
	.section	.AMDGPU.csdata,"",@progbits
; Kernel info:
; codeLenInByte = 0
; TotalNumSgprs: 4
; NumVgprs: 0
; ScratchSize: 0
; MemoryBound: 0
; FloatMode: 240
; IeeeMode: 1
; LDSByteSize: 0 bytes/workgroup (compile time only)
; SGPRBlocks: 0
; VGPRBlocks: 0
; NumSGPRsForWavesPerEU: 4
; NumVGPRsForWavesPerEU: 1
; Occupancy: 10
; WaveLimiterHint : 0
; COMPUTE_PGM_RSRC2:SCRATCH_EN: 0
; COMPUTE_PGM_RSRC2:USER_SGPR: 6
; COMPUTE_PGM_RSRC2:TRAP_HANDLER: 0
; COMPUTE_PGM_RSRC2:TGID_X_EN: 1
; COMPUTE_PGM_RSRC2:TGID_Y_EN: 0
; COMPUTE_PGM_RSRC2:TGID_Z_EN: 0
; COMPUTE_PGM_RSRC2:TIDIG_COMP_CNT: 0
	.section	.text._ZN7rocprim17ROCPRIM_400000_NS6detail17trampoline_kernelINS0_14default_configENS1_22reduce_config_selectorIlEEZNS1_11reduce_implILb1ES3_PlS7_lN6hipcub16HIPCUB_304000_NS6detail34convert_binary_result_type_wrapperINS9_3SumENS9_22TransformInputIteratorIb7NonZeroIaEPalEElEEEE10hipError_tPvRmT1_T2_T3_mT4_P12ihipStream_tbEUlT_E0_NS1_11comp_targetILNS1_3genE10ELNS1_11target_archE1200ELNS1_3gpuE4ELNS1_3repE0EEENS1_30default_config_static_selectorELNS0_4arch9wavefront6targetE1EEEvSM_,"axG",@progbits,_ZN7rocprim17ROCPRIM_400000_NS6detail17trampoline_kernelINS0_14default_configENS1_22reduce_config_selectorIlEEZNS1_11reduce_implILb1ES3_PlS7_lN6hipcub16HIPCUB_304000_NS6detail34convert_binary_result_type_wrapperINS9_3SumENS9_22TransformInputIteratorIb7NonZeroIaEPalEElEEEE10hipError_tPvRmT1_T2_T3_mT4_P12ihipStream_tbEUlT_E0_NS1_11comp_targetILNS1_3genE10ELNS1_11target_archE1200ELNS1_3gpuE4ELNS1_3repE0EEENS1_30default_config_static_selectorELNS0_4arch9wavefront6targetE1EEEvSM_,comdat
	.protected	_ZN7rocprim17ROCPRIM_400000_NS6detail17trampoline_kernelINS0_14default_configENS1_22reduce_config_selectorIlEEZNS1_11reduce_implILb1ES3_PlS7_lN6hipcub16HIPCUB_304000_NS6detail34convert_binary_result_type_wrapperINS9_3SumENS9_22TransformInputIteratorIb7NonZeroIaEPalEElEEEE10hipError_tPvRmT1_T2_T3_mT4_P12ihipStream_tbEUlT_E0_NS1_11comp_targetILNS1_3genE10ELNS1_11target_archE1200ELNS1_3gpuE4ELNS1_3repE0EEENS1_30default_config_static_selectorELNS0_4arch9wavefront6targetE1EEEvSM_ ; -- Begin function _ZN7rocprim17ROCPRIM_400000_NS6detail17trampoline_kernelINS0_14default_configENS1_22reduce_config_selectorIlEEZNS1_11reduce_implILb1ES3_PlS7_lN6hipcub16HIPCUB_304000_NS6detail34convert_binary_result_type_wrapperINS9_3SumENS9_22TransformInputIteratorIb7NonZeroIaEPalEElEEEE10hipError_tPvRmT1_T2_T3_mT4_P12ihipStream_tbEUlT_E0_NS1_11comp_targetILNS1_3genE10ELNS1_11target_archE1200ELNS1_3gpuE4ELNS1_3repE0EEENS1_30default_config_static_selectorELNS0_4arch9wavefront6targetE1EEEvSM_
	.globl	_ZN7rocprim17ROCPRIM_400000_NS6detail17trampoline_kernelINS0_14default_configENS1_22reduce_config_selectorIlEEZNS1_11reduce_implILb1ES3_PlS7_lN6hipcub16HIPCUB_304000_NS6detail34convert_binary_result_type_wrapperINS9_3SumENS9_22TransformInputIteratorIb7NonZeroIaEPalEElEEEE10hipError_tPvRmT1_T2_T3_mT4_P12ihipStream_tbEUlT_E0_NS1_11comp_targetILNS1_3genE10ELNS1_11target_archE1200ELNS1_3gpuE4ELNS1_3repE0EEENS1_30default_config_static_selectorELNS0_4arch9wavefront6targetE1EEEvSM_
	.p2align	8
	.type	_ZN7rocprim17ROCPRIM_400000_NS6detail17trampoline_kernelINS0_14default_configENS1_22reduce_config_selectorIlEEZNS1_11reduce_implILb1ES3_PlS7_lN6hipcub16HIPCUB_304000_NS6detail34convert_binary_result_type_wrapperINS9_3SumENS9_22TransformInputIteratorIb7NonZeroIaEPalEElEEEE10hipError_tPvRmT1_T2_T3_mT4_P12ihipStream_tbEUlT_E0_NS1_11comp_targetILNS1_3genE10ELNS1_11target_archE1200ELNS1_3gpuE4ELNS1_3repE0EEENS1_30default_config_static_selectorELNS0_4arch9wavefront6targetE1EEEvSM_,@function
_ZN7rocprim17ROCPRIM_400000_NS6detail17trampoline_kernelINS0_14default_configENS1_22reduce_config_selectorIlEEZNS1_11reduce_implILb1ES3_PlS7_lN6hipcub16HIPCUB_304000_NS6detail34convert_binary_result_type_wrapperINS9_3SumENS9_22TransformInputIteratorIb7NonZeroIaEPalEElEEEE10hipError_tPvRmT1_T2_T3_mT4_P12ihipStream_tbEUlT_E0_NS1_11comp_targetILNS1_3genE10ELNS1_11target_archE1200ELNS1_3gpuE4ELNS1_3repE0EEENS1_30default_config_static_selectorELNS0_4arch9wavefront6targetE1EEEvSM_: ; @_ZN7rocprim17ROCPRIM_400000_NS6detail17trampoline_kernelINS0_14default_configENS1_22reduce_config_selectorIlEEZNS1_11reduce_implILb1ES3_PlS7_lN6hipcub16HIPCUB_304000_NS6detail34convert_binary_result_type_wrapperINS9_3SumENS9_22TransformInputIteratorIb7NonZeroIaEPalEElEEEE10hipError_tPvRmT1_T2_T3_mT4_P12ihipStream_tbEUlT_E0_NS1_11comp_targetILNS1_3genE10ELNS1_11target_archE1200ELNS1_3gpuE4ELNS1_3repE0EEENS1_30default_config_static_selectorELNS0_4arch9wavefront6targetE1EEEvSM_
; %bb.0:
	.section	.rodata,"a",@progbits
	.p2align	6, 0x0
	.amdhsa_kernel _ZN7rocprim17ROCPRIM_400000_NS6detail17trampoline_kernelINS0_14default_configENS1_22reduce_config_selectorIlEEZNS1_11reduce_implILb1ES3_PlS7_lN6hipcub16HIPCUB_304000_NS6detail34convert_binary_result_type_wrapperINS9_3SumENS9_22TransformInputIteratorIb7NonZeroIaEPalEElEEEE10hipError_tPvRmT1_T2_T3_mT4_P12ihipStream_tbEUlT_E0_NS1_11comp_targetILNS1_3genE10ELNS1_11target_archE1200ELNS1_3gpuE4ELNS1_3repE0EEENS1_30default_config_static_selectorELNS0_4arch9wavefront6targetE1EEEvSM_
		.amdhsa_group_segment_fixed_size 0
		.amdhsa_private_segment_fixed_size 0
		.amdhsa_kernarg_size 64
		.amdhsa_user_sgpr_count 6
		.amdhsa_user_sgpr_private_segment_buffer 1
		.amdhsa_user_sgpr_dispatch_ptr 0
		.amdhsa_user_sgpr_queue_ptr 0
		.amdhsa_user_sgpr_kernarg_segment_ptr 1
		.amdhsa_user_sgpr_dispatch_id 0
		.amdhsa_user_sgpr_flat_scratch_init 0
		.amdhsa_user_sgpr_private_segment_size 0
		.amdhsa_uses_dynamic_stack 0
		.amdhsa_system_sgpr_private_segment_wavefront_offset 0
		.amdhsa_system_sgpr_workgroup_id_x 1
		.amdhsa_system_sgpr_workgroup_id_y 0
		.amdhsa_system_sgpr_workgroup_id_z 0
		.amdhsa_system_sgpr_workgroup_info 0
		.amdhsa_system_vgpr_workitem_id 0
		.amdhsa_next_free_vgpr 1
		.amdhsa_next_free_sgpr 0
		.amdhsa_reserve_vcc 0
		.amdhsa_reserve_flat_scratch 0
		.amdhsa_float_round_mode_32 0
		.amdhsa_float_round_mode_16_64 0
		.amdhsa_float_denorm_mode_32 3
		.amdhsa_float_denorm_mode_16_64 3
		.amdhsa_dx10_clamp 1
		.amdhsa_ieee_mode 1
		.amdhsa_fp16_overflow 0
		.amdhsa_exception_fp_ieee_invalid_op 0
		.amdhsa_exception_fp_denorm_src 0
		.amdhsa_exception_fp_ieee_div_zero 0
		.amdhsa_exception_fp_ieee_overflow 0
		.amdhsa_exception_fp_ieee_underflow 0
		.amdhsa_exception_fp_ieee_inexact 0
		.amdhsa_exception_int_div_zero 0
	.end_amdhsa_kernel
	.section	.text._ZN7rocprim17ROCPRIM_400000_NS6detail17trampoline_kernelINS0_14default_configENS1_22reduce_config_selectorIlEEZNS1_11reduce_implILb1ES3_PlS7_lN6hipcub16HIPCUB_304000_NS6detail34convert_binary_result_type_wrapperINS9_3SumENS9_22TransformInputIteratorIb7NonZeroIaEPalEElEEEE10hipError_tPvRmT1_T2_T3_mT4_P12ihipStream_tbEUlT_E0_NS1_11comp_targetILNS1_3genE10ELNS1_11target_archE1200ELNS1_3gpuE4ELNS1_3repE0EEENS1_30default_config_static_selectorELNS0_4arch9wavefront6targetE1EEEvSM_,"axG",@progbits,_ZN7rocprim17ROCPRIM_400000_NS6detail17trampoline_kernelINS0_14default_configENS1_22reduce_config_selectorIlEEZNS1_11reduce_implILb1ES3_PlS7_lN6hipcub16HIPCUB_304000_NS6detail34convert_binary_result_type_wrapperINS9_3SumENS9_22TransformInputIteratorIb7NonZeroIaEPalEElEEEE10hipError_tPvRmT1_T2_T3_mT4_P12ihipStream_tbEUlT_E0_NS1_11comp_targetILNS1_3genE10ELNS1_11target_archE1200ELNS1_3gpuE4ELNS1_3repE0EEENS1_30default_config_static_selectorELNS0_4arch9wavefront6targetE1EEEvSM_,comdat
.Lfunc_end6:
	.size	_ZN7rocprim17ROCPRIM_400000_NS6detail17trampoline_kernelINS0_14default_configENS1_22reduce_config_selectorIlEEZNS1_11reduce_implILb1ES3_PlS7_lN6hipcub16HIPCUB_304000_NS6detail34convert_binary_result_type_wrapperINS9_3SumENS9_22TransformInputIteratorIb7NonZeroIaEPalEElEEEE10hipError_tPvRmT1_T2_T3_mT4_P12ihipStream_tbEUlT_E0_NS1_11comp_targetILNS1_3genE10ELNS1_11target_archE1200ELNS1_3gpuE4ELNS1_3repE0EEENS1_30default_config_static_selectorELNS0_4arch9wavefront6targetE1EEEvSM_, .Lfunc_end6-_ZN7rocprim17ROCPRIM_400000_NS6detail17trampoline_kernelINS0_14default_configENS1_22reduce_config_selectorIlEEZNS1_11reduce_implILb1ES3_PlS7_lN6hipcub16HIPCUB_304000_NS6detail34convert_binary_result_type_wrapperINS9_3SumENS9_22TransformInputIteratorIb7NonZeroIaEPalEElEEEE10hipError_tPvRmT1_T2_T3_mT4_P12ihipStream_tbEUlT_E0_NS1_11comp_targetILNS1_3genE10ELNS1_11target_archE1200ELNS1_3gpuE4ELNS1_3repE0EEENS1_30default_config_static_selectorELNS0_4arch9wavefront6targetE1EEEvSM_
                                        ; -- End function
	.set _ZN7rocprim17ROCPRIM_400000_NS6detail17trampoline_kernelINS0_14default_configENS1_22reduce_config_selectorIlEEZNS1_11reduce_implILb1ES3_PlS7_lN6hipcub16HIPCUB_304000_NS6detail34convert_binary_result_type_wrapperINS9_3SumENS9_22TransformInputIteratorIb7NonZeroIaEPalEElEEEE10hipError_tPvRmT1_T2_T3_mT4_P12ihipStream_tbEUlT_E0_NS1_11comp_targetILNS1_3genE10ELNS1_11target_archE1200ELNS1_3gpuE4ELNS1_3repE0EEENS1_30default_config_static_selectorELNS0_4arch9wavefront6targetE1EEEvSM_.num_vgpr, 0
	.set _ZN7rocprim17ROCPRIM_400000_NS6detail17trampoline_kernelINS0_14default_configENS1_22reduce_config_selectorIlEEZNS1_11reduce_implILb1ES3_PlS7_lN6hipcub16HIPCUB_304000_NS6detail34convert_binary_result_type_wrapperINS9_3SumENS9_22TransformInputIteratorIb7NonZeroIaEPalEElEEEE10hipError_tPvRmT1_T2_T3_mT4_P12ihipStream_tbEUlT_E0_NS1_11comp_targetILNS1_3genE10ELNS1_11target_archE1200ELNS1_3gpuE4ELNS1_3repE0EEENS1_30default_config_static_selectorELNS0_4arch9wavefront6targetE1EEEvSM_.num_agpr, 0
	.set _ZN7rocprim17ROCPRIM_400000_NS6detail17trampoline_kernelINS0_14default_configENS1_22reduce_config_selectorIlEEZNS1_11reduce_implILb1ES3_PlS7_lN6hipcub16HIPCUB_304000_NS6detail34convert_binary_result_type_wrapperINS9_3SumENS9_22TransformInputIteratorIb7NonZeroIaEPalEElEEEE10hipError_tPvRmT1_T2_T3_mT4_P12ihipStream_tbEUlT_E0_NS1_11comp_targetILNS1_3genE10ELNS1_11target_archE1200ELNS1_3gpuE4ELNS1_3repE0EEENS1_30default_config_static_selectorELNS0_4arch9wavefront6targetE1EEEvSM_.numbered_sgpr, 0
	.set _ZN7rocprim17ROCPRIM_400000_NS6detail17trampoline_kernelINS0_14default_configENS1_22reduce_config_selectorIlEEZNS1_11reduce_implILb1ES3_PlS7_lN6hipcub16HIPCUB_304000_NS6detail34convert_binary_result_type_wrapperINS9_3SumENS9_22TransformInputIteratorIb7NonZeroIaEPalEElEEEE10hipError_tPvRmT1_T2_T3_mT4_P12ihipStream_tbEUlT_E0_NS1_11comp_targetILNS1_3genE10ELNS1_11target_archE1200ELNS1_3gpuE4ELNS1_3repE0EEENS1_30default_config_static_selectorELNS0_4arch9wavefront6targetE1EEEvSM_.num_named_barrier, 0
	.set _ZN7rocprim17ROCPRIM_400000_NS6detail17trampoline_kernelINS0_14default_configENS1_22reduce_config_selectorIlEEZNS1_11reduce_implILb1ES3_PlS7_lN6hipcub16HIPCUB_304000_NS6detail34convert_binary_result_type_wrapperINS9_3SumENS9_22TransformInputIteratorIb7NonZeroIaEPalEElEEEE10hipError_tPvRmT1_T2_T3_mT4_P12ihipStream_tbEUlT_E0_NS1_11comp_targetILNS1_3genE10ELNS1_11target_archE1200ELNS1_3gpuE4ELNS1_3repE0EEENS1_30default_config_static_selectorELNS0_4arch9wavefront6targetE1EEEvSM_.private_seg_size, 0
	.set _ZN7rocprim17ROCPRIM_400000_NS6detail17trampoline_kernelINS0_14default_configENS1_22reduce_config_selectorIlEEZNS1_11reduce_implILb1ES3_PlS7_lN6hipcub16HIPCUB_304000_NS6detail34convert_binary_result_type_wrapperINS9_3SumENS9_22TransformInputIteratorIb7NonZeroIaEPalEElEEEE10hipError_tPvRmT1_T2_T3_mT4_P12ihipStream_tbEUlT_E0_NS1_11comp_targetILNS1_3genE10ELNS1_11target_archE1200ELNS1_3gpuE4ELNS1_3repE0EEENS1_30default_config_static_selectorELNS0_4arch9wavefront6targetE1EEEvSM_.uses_vcc, 0
	.set _ZN7rocprim17ROCPRIM_400000_NS6detail17trampoline_kernelINS0_14default_configENS1_22reduce_config_selectorIlEEZNS1_11reduce_implILb1ES3_PlS7_lN6hipcub16HIPCUB_304000_NS6detail34convert_binary_result_type_wrapperINS9_3SumENS9_22TransformInputIteratorIb7NonZeroIaEPalEElEEEE10hipError_tPvRmT1_T2_T3_mT4_P12ihipStream_tbEUlT_E0_NS1_11comp_targetILNS1_3genE10ELNS1_11target_archE1200ELNS1_3gpuE4ELNS1_3repE0EEENS1_30default_config_static_selectorELNS0_4arch9wavefront6targetE1EEEvSM_.uses_flat_scratch, 0
	.set _ZN7rocprim17ROCPRIM_400000_NS6detail17trampoline_kernelINS0_14default_configENS1_22reduce_config_selectorIlEEZNS1_11reduce_implILb1ES3_PlS7_lN6hipcub16HIPCUB_304000_NS6detail34convert_binary_result_type_wrapperINS9_3SumENS9_22TransformInputIteratorIb7NonZeroIaEPalEElEEEE10hipError_tPvRmT1_T2_T3_mT4_P12ihipStream_tbEUlT_E0_NS1_11comp_targetILNS1_3genE10ELNS1_11target_archE1200ELNS1_3gpuE4ELNS1_3repE0EEENS1_30default_config_static_selectorELNS0_4arch9wavefront6targetE1EEEvSM_.has_dyn_sized_stack, 0
	.set _ZN7rocprim17ROCPRIM_400000_NS6detail17trampoline_kernelINS0_14default_configENS1_22reduce_config_selectorIlEEZNS1_11reduce_implILb1ES3_PlS7_lN6hipcub16HIPCUB_304000_NS6detail34convert_binary_result_type_wrapperINS9_3SumENS9_22TransformInputIteratorIb7NonZeroIaEPalEElEEEE10hipError_tPvRmT1_T2_T3_mT4_P12ihipStream_tbEUlT_E0_NS1_11comp_targetILNS1_3genE10ELNS1_11target_archE1200ELNS1_3gpuE4ELNS1_3repE0EEENS1_30default_config_static_selectorELNS0_4arch9wavefront6targetE1EEEvSM_.has_recursion, 0
	.set _ZN7rocprim17ROCPRIM_400000_NS6detail17trampoline_kernelINS0_14default_configENS1_22reduce_config_selectorIlEEZNS1_11reduce_implILb1ES3_PlS7_lN6hipcub16HIPCUB_304000_NS6detail34convert_binary_result_type_wrapperINS9_3SumENS9_22TransformInputIteratorIb7NonZeroIaEPalEElEEEE10hipError_tPvRmT1_T2_T3_mT4_P12ihipStream_tbEUlT_E0_NS1_11comp_targetILNS1_3genE10ELNS1_11target_archE1200ELNS1_3gpuE4ELNS1_3repE0EEENS1_30default_config_static_selectorELNS0_4arch9wavefront6targetE1EEEvSM_.has_indirect_call, 0
	.section	.AMDGPU.csdata,"",@progbits
; Kernel info:
; codeLenInByte = 0
; TotalNumSgprs: 4
; NumVgprs: 0
; ScratchSize: 0
; MemoryBound: 0
; FloatMode: 240
; IeeeMode: 1
; LDSByteSize: 0 bytes/workgroup (compile time only)
; SGPRBlocks: 0
; VGPRBlocks: 0
; NumSGPRsForWavesPerEU: 4
; NumVGPRsForWavesPerEU: 1
; Occupancy: 10
; WaveLimiterHint : 0
; COMPUTE_PGM_RSRC2:SCRATCH_EN: 0
; COMPUTE_PGM_RSRC2:USER_SGPR: 6
; COMPUTE_PGM_RSRC2:TRAP_HANDLER: 0
; COMPUTE_PGM_RSRC2:TGID_X_EN: 1
; COMPUTE_PGM_RSRC2:TGID_Y_EN: 0
; COMPUTE_PGM_RSRC2:TGID_Z_EN: 0
; COMPUTE_PGM_RSRC2:TIDIG_COMP_CNT: 0
	.section	.text._ZN7rocprim17ROCPRIM_400000_NS6detail17trampoline_kernelINS0_14default_configENS1_22reduce_config_selectorIlEEZNS1_11reduce_implILb1ES3_PlS7_lN6hipcub16HIPCUB_304000_NS6detail34convert_binary_result_type_wrapperINS9_3SumENS9_22TransformInputIteratorIb7NonZeroIaEPalEElEEEE10hipError_tPvRmT1_T2_T3_mT4_P12ihipStream_tbEUlT_E0_NS1_11comp_targetILNS1_3genE9ELNS1_11target_archE1100ELNS1_3gpuE3ELNS1_3repE0EEENS1_30default_config_static_selectorELNS0_4arch9wavefront6targetE1EEEvSM_,"axG",@progbits,_ZN7rocprim17ROCPRIM_400000_NS6detail17trampoline_kernelINS0_14default_configENS1_22reduce_config_selectorIlEEZNS1_11reduce_implILb1ES3_PlS7_lN6hipcub16HIPCUB_304000_NS6detail34convert_binary_result_type_wrapperINS9_3SumENS9_22TransformInputIteratorIb7NonZeroIaEPalEElEEEE10hipError_tPvRmT1_T2_T3_mT4_P12ihipStream_tbEUlT_E0_NS1_11comp_targetILNS1_3genE9ELNS1_11target_archE1100ELNS1_3gpuE3ELNS1_3repE0EEENS1_30default_config_static_selectorELNS0_4arch9wavefront6targetE1EEEvSM_,comdat
	.protected	_ZN7rocprim17ROCPRIM_400000_NS6detail17trampoline_kernelINS0_14default_configENS1_22reduce_config_selectorIlEEZNS1_11reduce_implILb1ES3_PlS7_lN6hipcub16HIPCUB_304000_NS6detail34convert_binary_result_type_wrapperINS9_3SumENS9_22TransformInputIteratorIb7NonZeroIaEPalEElEEEE10hipError_tPvRmT1_T2_T3_mT4_P12ihipStream_tbEUlT_E0_NS1_11comp_targetILNS1_3genE9ELNS1_11target_archE1100ELNS1_3gpuE3ELNS1_3repE0EEENS1_30default_config_static_selectorELNS0_4arch9wavefront6targetE1EEEvSM_ ; -- Begin function _ZN7rocprim17ROCPRIM_400000_NS6detail17trampoline_kernelINS0_14default_configENS1_22reduce_config_selectorIlEEZNS1_11reduce_implILb1ES3_PlS7_lN6hipcub16HIPCUB_304000_NS6detail34convert_binary_result_type_wrapperINS9_3SumENS9_22TransformInputIteratorIb7NonZeroIaEPalEElEEEE10hipError_tPvRmT1_T2_T3_mT4_P12ihipStream_tbEUlT_E0_NS1_11comp_targetILNS1_3genE9ELNS1_11target_archE1100ELNS1_3gpuE3ELNS1_3repE0EEENS1_30default_config_static_selectorELNS0_4arch9wavefront6targetE1EEEvSM_
	.globl	_ZN7rocprim17ROCPRIM_400000_NS6detail17trampoline_kernelINS0_14default_configENS1_22reduce_config_selectorIlEEZNS1_11reduce_implILb1ES3_PlS7_lN6hipcub16HIPCUB_304000_NS6detail34convert_binary_result_type_wrapperINS9_3SumENS9_22TransformInputIteratorIb7NonZeroIaEPalEElEEEE10hipError_tPvRmT1_T2_T3_mT4_P12ihipStream_tbEUlT_E0_NS1_11comp_targetILNS1_3genE9ELNS1_11target_archE1100ELNS1_3gpuE3ELNS1_3repE0EEENS1_30default_config_static_selectorELNS0_4arch9wavefront6targetE1EEEvSM_
	.p2align	8
	.type	_ZN7rocprim17ROCPRIM_400000_NS6detail17trampoline_kernelINS0_14default_configENS1_22reduce_config_selectorIlEEZNS1_11reduce_implILb1ES3_PlS7_lN6hipcub16HIPCUB_304000_NS6detail34convert_binary_result_type_wrapperINS9_3SumENS9_22TransformInputIteratorIb7NonZeroIaEPalEElEEEE10hipError_tPvRmT1_T2_T3_mT4_P12ihipStream_tbEUlT_E0_NS1_11comp_targetILNS1_3genE9ELNS1_11target_archE1100ELNS1_3gpuE3ELNS1_3repE0EEENS1_30default_config_static_selectorELNS0_4arch9wavefront6targetE1EEEvSM_,@function
_ZN7rocprim17ROCPRIM_400000_NS6detail17trampoline_kernelINS0_14default_configENS1_22reduce_config_selectorIlEEZNS1_11reduce_implILb1ES3_PlS7_lN6hipcub16HIPCUB_304000_NS6detail34convert_binary_result_type_wrapperINS9_3SumENS9_22TransformInputIteratorIb7NonZeroIaEPalEElEEEE10hipError_tPvRmT1_T2_T3_mT4_P12ihipStream_tbEUlT_E0_NS1_11comp_targetILNS1_3genE9ELNS1_11target_archE1100ELNS1_3gpuE3ELNS1_3repE0EEENS1_30default_config_static_selectorELNS0_4arch9wavefront6targetE1EEEvSM_: ; @_ZN7rocprim17ROCPRIM_400000_NS6detail17trampoline_kernelINS0_14default_configENS1_22reduce_config_selectorIlEEZNS1_11reduce_implILb1ES3_PlS7_lN6hipcub16HIPCUB_304000_NS6detail34convert_binary_result_type_wrapperINS9_3SumENS9_22TransformInputIteratorIb7NonZeroIaEPalEElEEEE10hipError_tPvRmT1_T2_T3_mT4_P12ihipStream_tbEUlT_E0_NS1_11comp_targetILNS1_3genE9ELNS1_11target_archE1100ELNS1_3gpuE3ELNS1_3repE0EEENS1_30default_config_static_selectorELNS0_4arch9wavefront6targetE1EEEvSM_
; %bb.0:
	.section	.rodata,"a",@progbits
	.p2align	6, 0x0
	.amdhsa_kernel _ZN7rocprim17ROCPRIM_400000_NS6detail17trampoline_kernelINS0_14default_configENS1_22reduce_config_selectorIlEEZNS1_11reduce_implILb1ES3_PlS7_lN6hipcub16HIPCUB_304000_NS6detail34convert_binary_result_type_wrapperINS9_3SumENS9_22TransformInputIteratorIb7NonZeroIaEPalEElEEEE10hipError_tPvRmT1_T2_T3_mT4_P12ihipStream_tbEUlT_E0_NS1_11comp_targetILNS1_3genE9ELNS1_11target_archE1100ELNS1_3gpuE3ELNS1_3repE0EEENS1_30default_config_static_selectorELNS0_4arch9wavefront6targetE1EEEvSM_
		.amdhsa_group_segment_fixed_size 0
		.amdhsa_private_segment_fixed_size 0
		.amdhsa_kernarg_size 64
		.amdhsa_user_sgpr_count 6
		.amdhsa_user_sgpr_private_segment_buffer 1
		.amdhsa_user_sgpr_dispatch_ptr 0
		.amdhsa_user_sgpr_queue_ptr 0
		.amdhsa_user_sgpr_kernarg_segment_ptr 1
		.amdhsa_user_sgpr_dispatch_id 0
		.amdhsa_user_sgpr_flat_scratch_init 0
		.amdhsa_user_sgpr_private_segment_size 0
		.amdhsa_uses_dynamic_stack 0
		.amdhsa_system_sgpr_private_segment_wavefront_offset 0
		.amdhsa_system_sgpr_workgroup_id_x 1
		.amdhsa_system_sgpr_workgroup_id_y 0
		.amdhsa_system_sgpr_workgroup_id_z 0
		.amdhsa_system_sgpr_workgroup_info 0
		.amdhsa_system_vgpr_workitem_id 0
		.amdhsa_next_free_vgpr 1
		.amdhsa_next_free_sgpr 0
		.amdhsa_reserve_vcc 0
		.amdhsa_reserve_flat_scratch 0
		.amdhsa_float_round_mode_32 0
		.amdhsa_float_round_mode_16_64 0
		.amdhsa_float_denorm_mode_32 3
		.amdhsa_float_denorm_mode_16_64 3
		.amdhsa_dx10_clamp 1
		.amdhsa_ieee_mode 1
		.amdhsa_fp16_overflow 0
		.amdhsa_exception_fp_ieee_invalid_op 0
		.amdhsa_exception_fp_denorm_src 0
		.amdhsa_exception_fp_ieee_div_zero 0
		.amdhsa_exception_fp_ieee_overflow 0
		.amdhsa_exception_fp_ieee_underflow 0
		.amdhsa_exception_fp_ieee_inexact 0
		.amdhsa_exception_int_div_zero 0
	.end_amdhsa_kernel
	.section	.text._ZN7rocprim17ROCPRIM_400000_NS6detail17trampoline_kernelINS0_14default_configENS1_22reduce_config_selectorIlEEZNS1_11reduce_implILb1ES3_PlS7_lN6hipcub16HIPCUB_304000_NS6detail34convert_binary_result_type_wrapperINS9_3SumENS9_22TransformInputIteratorIb7NonZeroIaEPalEElEEEE10hipError_tPvRmT1_T2_T3_mT4_P12ihipStream_tbEUlT_E0_NS1_11comp_targetILNS1_3genE9ELNS1_11target_archE1100ELNS1_3gpuE3ELNS1_3repE0EEENS1_30default_config_static_selectorELNS0_4arch9wavefront6targetE1EEEvSM_,"axG",@progbits,_ZN7rocprim17ROCPRIM_400000_NS6detail17trampoline_kernelINS0_14default_configENS1_22reduce_config_selectorIlEEZNS1_11reduce_implILb1ES3_PlS7_lN6hipcub16HIPCUB_304000_NS6detail34convert_binary_result_type_wrapperINS9_3SumENS9_22TransformInputIteratorIb7NonZeroIaEPalEElEEEE10hipError_tPvRmT1_T2_T3_mT4_P12ihipStream_tbEUlT_E0_NS1_11comp_targetILNS1_3genE9ELNS1_11target_archE1100ELNS1_3gpuE3ELNS1_3repE0EEENS1_30default_config_static_selectorELNS0_4arch9wavefront6targetE1EEEvSM_,comdat
.Lfunc_end7:
	.size	_ZN7rocprim17ROCPRIM_400000_NS6detail17trampoline_kernelINS0_14default_configENS1_22reduce_config_selectorIlEEZNS1_11reduce_implILb1ES3_PlS7_lN6hipcub16HIPCUB_304000_NS6detail34convert_binary_result_type_wrapperINS9_3SumENS9_22TransformInputIteratorIb7NonZeroIaEPalEElEEEE10hipError_tPvRmT1_T2_T3_mT4_P12ihipStream_tbEUlT_E0_NS1_11comp_targetILNS1_3genE9ELNS1_11target_archE1100ELNS1_3gpuE3ELNS1_3repE0EEENS1_30default_config_static_selectorELNS0_4arch9wavefront6targetE1EEEvSM_, .Lfunc_end7-_ZN7rocprim17ROCPRIM_400000_NS6detail17trampoline_kernelINS0_14default_configENS1_22reduce_config_selectorIlEEZNS1_11reduce_implILb1ES3_PlS7_lN6hipcub16HIPCUB_304000_NS6detail34convert_binary_result_type_wrapperINS9_3SumENS9_22TransformInputIteratorIb7NonZeroIaEPalEElEEEE10hipError_tPvRmT1_T2_T3_mT4_P12ihipStream_tbEUlT_E0_NS1_11comp_targetILNS1_3genE9ELNS1_11target_archE1100ELNS1_3gpuE3ELNS1_3repE0EEENS1_30default_config_static_selectorELNS0_4arch9wavefront6targetE1EEEvSM_
                                        ; -- End function
	.set _ZN7rocprim17ROCPRIM_400000_NS6detail17trampoline_kernelINS0_14default_configENS1_22reduce_config_selectorIlEEZNS1_11reduce_implILb1ES3_PlS7_lN6hipcub16HIPCUB_304000_NS6detail34convert_binary_result_type_wrapperINS9_3SumENS9_22TransformInputIteratorIb7NonZeroIaEPalEElEEEE10hipError_tPvRmT1_T2_T3_mT4_P12ihipStream_tbEUlT_E0_NS1_11comp_targetILNS1_3genE9ELNS1_11target_archE1100ELNS1_3gpuE3ELNS1_3repE0EEENS1_30default_config_static_selectorELNS0_4arch9wavefront6targetE1EEEvSM_.num_vgpr, 0
	.set _ZN7rocprim17ROCPRIM_400000_NS6detail17trampoline_kernelINS0_14default_configENS1_22reduce_config_selectorIlEEZNS1_11reduce_implILb1ES3_PlS7_lN6hipcub16HIPCUB_304000_NS6detail34convert_binary_result_type_wrapperINS9_3SumENS9_22TransformInputIteratorIb7NonZeroIaEPalEElEEEE10hipError_tPvRmT1_T2_T3_mT4_P12ihipStream_tbEUlT_E0_NS1_11comp_targetILNS1_3genE9ELNS1_11target_archE1100ELNS1_3gpuE3ELNS1_3repE0EEENS1_30default_config_static_selectorELNS0_4arch9wavefront6targetE1EEEvSM_.num_agpr, 0
	.set _ZN7rocprim17ROCPRIM_400000_NS6detail17trampoline_kernelINS0_14default_configENS1_22reduce_config_selectorIlEEZNS1_11reduce_implILb1ES3_PlS7_lN6hipcub16HIPCUB_304000_NS6detail34convert_binary_result_type_wrapperINS9_3SumENS9_22TransformInputIteratorIb7NonZeroIaEPalEElEEEE10hipError_tPvRmT1_T2_T3_mT4_P12ihipStream_tbEUlT_E0_NS1_11comp_targetILNS1_3genE9ELNS1_11target_archE1100ELNS1_3gpuE3ELNS1_3repE0EEENS1_30default_config_static_selectorELNS0_4arch9wavefront6targetE1EEEvSM_.numbered_sgpr, 0
	.set _ZN7rocprim17ROCPRIM_400000_NS6detail17trampoline_kernelINS0_14default_configENS1_22reduce_config_selectorIlEEZNS1_11reduce_implILb1ES3_PlS7_lN6hipcub16HIPCUB_304000_NS6detail34convert_binary_result_type_wrapperINS9_3SumENS9_22TransformInputIteratorIb7NonZeroIaEPalEElEEEE10hipError_tPvRmT1_T2_T3_mT4_P12ihipStream_tbEUlT_E0_NS1_11comp_targetILNS1_3genE9ELNS1_11target_archE1100ELNS1_3gpuE3ELNS1_3repE0EEENS1_30default_config_static_selectorELNS0_4arch9wavefront6targetE1EEEvSM_.num_named_barrier, 0
	.set _ZN7rocprim17ROCPRIM_400000_NS6detail17trampoline_kernelINS0_14default_configENS1_22reduce_config_selectorIlEEZNS1_11reduce_implILb1ES3_PlS7_lN6hipcub16HIPCUB_304000_NS6detail34convert_binary_result_type_wrapperINS9_3SumENS9_22TransformInputIteratorIb7NonZeroIaEPalEElEEEE10hipError_tPvRmT1_T2_T3_mT4_P12ihipStream_tbEUlT_E0_NS1_11comp_targetILNS1_3genE9ELNS1_11target_archE1100ELNS1_3gpuE3ELNS1_3repE0EEENS1_30default_config_static_selectorELNS0_4arch9wavefront6targetE1EEEvSM_.private_seg_size, 0
	.set _ZN7rocprim17ROCPRIM_400000_NS6detail17trampoline_kernelINS0_14default_configENS1_22reduce_config_selectorIlEEZNS1_11reduce_implILb1ES3_PlS7_lN6hipcub16HIPCUB_304000_NS6detail34convert_binary_result_type_wrapperINS9_3SumENS9_22TransformInputIteratorIb7NonZeroIaEPalEElEEEE10hipError_tPvRmT1_T2_T3_mT4_P12ihipStream_tbEUlT_E0_NS1_11comp_targetILNS1_3genE9ELNS1_11target_archE1100ELNS1_3gpuE3ELNS1_3repE0EEENS1_30default_config_static_selectorELNS0_4arch9wavefront6targetE1EEEvSM_.uses_vcc, 0
	.set _ZN7rocprim17ROCPRIM_400000_NS6detail17trampoline_kernelINS0_14default_configENS1_22reduce_config_selectorIlEEZNS1_11reduce_implILb1ES3_PlS7_lN6hipcub16HIPCUB_304000_NS6detail34convert_binary_result_type_wrapperINS9_3SumENS9_22TransformInputIteratorIb7NonZeroIaEPalEElEEEE10hipError_tPvRmT1_T2_T3_mT4_P12ihipStream_tbEUlT_E0_NS1_11comp_targetILNS1_3genE9ELNS1_11target_archE1100ELNS1_3gpuE3ELNS1_3repE0EEENS1_30default_config_static_selectorELNS0_4arch9wavefront6targetE1EEEvSM_.uses_flat_scratch, 0
	.set _ZN7rocprim17ROCPRIM_400000_NS6detail17trampoline_kernelINS0_14default_configENS1_22reduce_config_selectorIlEEZNS1_11reduce_implILb1ES3_PlS7_lN6hipcub16HIPCUB_304000_NS6detail34convert_binary_result_type_wrapperINS9_3SumENS9_22TransformInputIteratorIb7NonZeroIaEPalEElEEEE10hipError_tPvRmT1_T2_T3_mT4_P12ihipStream_tbEUlT_E0_NS1_11comp_targetILNS1_3genE9ELNS1_11target_archE1100ELNS1_3gpuE3ELNS1_3repE0EEENS1_30default_config_static_selectorELNS0_4arch9wavefront6targetE1EEEvSM_.has_dyn_sized_stack, 0
	.set _ZN7rocprim17ROCPRIM_400000_NS6detail17trampoline_kernelINS0_14default_configENS1_22reduce_config_selectorIlEEZNS1_11reduce_implILb1ES3_PlS7_lN6hipcub16HIPCUB_304000_NS6detail34convert_binary_result_type_wrapperINS9_3SumENS9_22TransformInputIteratorIb7NonZeroIaEPalEElEEEE10hipError_tPvRmT1_T2_T3_mT4_P12ihipStream_tbEUlT_E0_NS1_11comp_targetILNS1_3genE9ELNS1_11target_archE1100ELNS1_3gpuE3ELNS1_3repE0EEENS1_30default_config_static_selectorELNS0_4arch9wavefront6targetE1EEEvSM_.has_recursion, 0
	.set _ZN7rocprim17ROCPRIM_400000_NS6detail17trampoline_kernelINS0_14default_configENS1_22reduce_config_selectorIlEEZNS1_11reduce_implILb1ES3_PlS7_lN6hipcub16HIPCUB_304000_NS6detail34convert_binary_result_type_wrapperINS9_3SumENS9_22TransformInputIteratorIb7NonZeroIaEPalEElEEEE10hipError_tPvRmT1_T2_T3_mT4_P12ihipStream_tbEUlT_E0_NS1_11comp_targetILNS1_3genE9ELNS1_11target_archE1100ELNS1_3gpuE3ELNS1_3repE0EEENS1_30default_config_static_selectorELNS0_4arch9wavefront6targetE1EEEvSM_.has_indirect_call, 0
	.section	.AMDGPU.csdata,"",@progbits
; Kernel info:
; codeLenInByte = 0
; TotalNumSgprs: 4
; NumVgprs: 0
; ScratchSize: 0
; MemoryBound: 0
; FloatMode: 240
; IeeeMode: 1
; LDSByteSize: 0 bytes/workgroup (compile time only)
; SGPRBlocks: 0
; VGPRBlocks: 0
; NumSGPRsForWavesPerEU: 4
; NumVGPRsForWavesPerEU: 1
; Occupancy: 10
; WaveLimiterHint : 0
; COMPUTE_PGM_RSRC2:SCRATCH_EN: 0
; COMPUTE_PGM_RSRC2:USER_SGPR: 6
; COMPUTE_PGM_RSRC2:TRAP_HANDLER: 0
; COMPUTE_PGM_RSRC2:TGID_X_EN: 1
; COMPUTE_PGM_RSRC2:TGID_Y_EN: 0
; COMPUTE_PGM_RSRC2:TGID_Z_EN: 0
; COMPUTE_PGM_RSRC2:TIDIG_COMP_CNT: 0
	.section	.text._ZN7rocprim17ROCPRIM_400000_NS6detail17trampoline_kernelINS0_14default_configENS1_22reduce_config_selectorIlEEZNS1_11reduce_implILb1ES3_PlS7_lN6hipcub16HIPCUB_304000_NS6detail34convert_binary_result_type_wrapperINS9_3SumENS9_22TransformInputIteratorIb7NonZeroIaEPalEElEEEE10hipError_tPvRmT1_T2_T3_mT4_P12ihipStream_tbEUlT_E0_NS1_11comp_targetILNS1_3genE8ELNS1_11target_archE1030ELNS1_3gpuE2ELNS1_3repE0EEENS1_30default_config_static_selectorELNS0_4arch9wavefront6targetE1EEEvSM_,"axG",@progbits,_ZN7rocprim17ROCPRIM_400000_NS6detail17trampoline_kernelINS0_14default_configENS1_22reduce_config_selectorIlEEZNS1_11reduce_implILb1ES3_PlS7_lN6hipcub16HIPCUB_304000_NS6detail34convert_binary_result_type_wrapperINS9_3SumENS9_22TransformInputIteratorIb7NonZeroIaEPalEElEEEE10hipError_tPvRmT1_T2_T3_mT4_P12ihipStream_tbEUlT_E0_NS1_11comp_targetILNS1_3genE8ELNS1_11target_archE1030ELNS1_3gpuE2ELNS1_3repE0EEENS1_30default_config_static_selectorELNS0_4arch9wavefront6targetE1EEEvSM_,comdat
	.protected	_ZN7rocprim17ROCPRIM_400000_NS6detail17trampoline_kernelINS0_14default_configENS1_22reduce_config_selectorIlEEZNS1_11reduce_implILb1ES3_PlS7_lN6hipcub16HIPCUB_304000_NS6detail34convert_binary_result_type_wrapperINS9_3SumENS9_22TransformInputIteratorIb7NonZeroIaEPalEElEEEE10hipError_tPvRmT1_T2_T3_mT4_P12ihipStream_tbEUlT_E0_NS1_11comp_targetILNS1_3genE8ELNS1_11target_archE1030ELNS1_3gpuE2ELNS1_3repE0EEENS1_30default_config_static_selectorELNS0_4arch9wavefront6targetE1EEEvSM_ ; -- Begin function _ZN7rocprim17ROCPRIM_400000_NS6detail17trampoline_kernelINS0_14default_configENS1_22reduce_config_selectorIlEEZNS1_11reduce_implILb1ES3_PlS7_lN6hipcub16HIPCUB_304000_NS6detail34convert_binary_result_type_wrapperINS9_3SumENS9_22TransformInputIteratorIb7NonZeroIaEPalEElEEEE10hipError_tPvRmT1_T2_T3_mT4_P12ihipStream_tbEUlT_E0_NS1_11comp_targetILNS1_3genE8ELNS1_11target_archE1030ELNS1_3gpuE2ELNS1_3repE0EEENS1_30default_config_static_selectorELNS0_4arch9wavefront6targetE1EEEvSM_
	.globl	_ZN7rocprim17ROCPRIM_400000_NS6detail17trampoline_kernelINS0_14default_configENS1_22reduce_config_selectorIlEEZNS1_11reduce_implILb1ES3_PlS7_lN6hipcub16HIPCUB_304000_NS6detail34convert_binary_result_type_wrapperINS9_3SumENS9_22TransformInputIteratorIb7NonZeroIaEPalEElEEEE10hipError_tPvRmT1_T2_T3_mT4_P12ihipStream_tbEUlT_E0_NS1_11comp_targetILNS1_3genE8ELNS1_11target_archE1030ELNS1_3gpuE2ELNS1_3repE0EEENS1_30default_config_static_selectorELNS0_4arch9wavefront6targetE1EEEvSM_
	.p2align	8
	.type	_ZN7rocprim17ROCPRIM_400000_NS6detail17trampoline_kernelINS0_14default_configENS1_22reduce_config_selectorIlEEZNS1_11reduce_implILb1ES3_PlS7_lN6hipcub16HIPCUB_304000_NS6detail34convert_binary_result_type_wrapperINS9_3SumENS9_22TransformInputIteratorIb7NonZeroIaEPalEElEEEE10hipError_tPvRmT1_T2_T3_mT4_P12ihipStream_tbEUlT_E0_NS1_11comp_targetILNS1_3genE8ELNS1_11target_archE1030ELNS1_3gpuE2ELNS1_3repE0EEENS1_30default_config_static_selectorELNS0_4arch9wavefront6targetE1EEEvSM_,@function
_ZN7rocprim17ROCPRIM_400000_NS6detail17trampoline_kernelINS0_14default_configENS1_22reduce_config_selectorIlEEZNS1_11reduce_implILb1ES3_PlS7_lN6hipcub16HIPCUB_304000_NS6detail34convert_binary_result_type_wrapperINS9_3SumENS9_22TransformInputIteratorIb7NonZeroIaEPalEElEEEE10hipError_tPvRmT1_T2_T3_mT4_P12ihipStream_tbEUlT_E0_NS1_11comp_targetILNS1_3genE8ELNS1_11target_archE1030ELNS1_3gpuE2ELNS1_3repE0EEENS1_30default_config_static_selectorELNS0_4arch9wavefront6targetE1EEEvSM_: ; @_ZN7rocprim17ROCPRIM_400000_NS6detail17trampoline_kernelINS0_14default_configENS1_22reduce_config_selectorIlEEZNS1_11reduce_implILb1ES3_PlS7_lN6hipcub16HIPCUB_304000_NS6detail34convert_binary_result_type_wrapperINS9_3SumENS9_22TransformInputIteratorIb7NonZeroIaEPalEElEEEE10hipError_tPvRmT1_T2_T3_mT4_P12ihipStream_tbEUlT_E0_NS1_11comp_targetILNS1_3genE8ELNS1_11target_archE1030ELNS1_3gpuE2ELNS1_3repE0EEENS1_30default_config_static_selectorELNS0_4arch9wavefront6targetE1EEEvSM_
; %bb.0:
	.section	.rodata,"a",@progbits
	.p2align	6, 0x0
	.amdhsa_kernel _ZN7rocprim17ROCPRIM_400000_NS6detail17trampoline_kernelINS0_14default_configENS1_22reduce_config_selectorIlEEZNS1_11reduce_implILb1ES3_PlS7_lN6hipcub16HIPCUB_304000_NS6detail34convert_binary_result_type_wrapperINS9_3SumENS9_22TransformInputIteratorIb7NonZeroIaEPalEElEEEE10hipError_tPvRmT1_T2_T3_mT4_P12ihipStream_tbEUlT_E0_NS1_11comp_targetILNS1_3genE8ELNS1_11target_archE1030ELNS1_3gpuE2ELNS1_3repE0EEENS1_30default_config_static_selectorELNS0_4arch9wavefront6targetE1EEEvSM_
		.amdhsa_group_segment_fixed_size 0
		.amdhsa_private_segment_fixed_size 0
		.amdhsa_kernarg_size 64
		.amdhsa_user_sgpr_count 6
		.amdhsa_user_sgpr_private_segment_buffer 1
		.amdhsa_user_sgpr_dispatch_ptr 0
		.amdhsa_user_sgpr_queue_ptr 0
		.amdhsa_user_sgpr_kernarg_segment_ptr 1
		.amdhsa_user_sgpr_dispatch_id 0
		.amdhsa_user_sgpr_flat_scratch_init 0
		.amdhsa_user_sgpr_private_segment_size 0
		.amdhsa_uses_dynamic_stack 0
		.amdhsa_system_sgpr_private_segment_wavefront_offset 0
		.amdhsa_system_sgpr_workgroup_id_x 1
		.amdhsa_system_sgpr_workgroup_id_y 0
		.amdhsa_system_sgpr_workgroup_id_z 0
		.amdhsa_system_sgpr_workgroup_info 0
		.amdhsa_system_vgpr_workitem_id 0
		.amdhsa_next_free_vgpr 1
		.amdhsa_next_free_sgpr 0
		.amdhsa_reserve_vcc 0
		.amdhsa_reserve_flat_scratch 0
		.amdhsa_float_round_mode_32 0
		.amdhsa_float_round_mode_16_64 0
		.amdhsa_float_denorm_mode_32 3
		.amdhsa_float_denorm_mode_16_64 3
		.amdhsa_dx10_clamp 1
		.amdhsa_ieee_mode 1
		.amdhsa_fp16_overflow 0
		.amdhsa_exception_fp_ieee_invalid_op 0
		.amdhsa_exception_fp_denorm_src 0
		.amdhsa_exception_fp_ieee_div_zero 0
		.amdhsa_exception_fp_ieee_overflow 0
		.amdhsa_exception_fp_ieee_underflow 0
		.amdhsa_exception_fp_ieee_inexact 0
		.amdhsa_exception_int_div_zero 0
	.end_amdhsa_kernel
	.section	.text._ZN7rocprim17ROCPRIM_400000_NS6detail17trampoline_kernelINS0_14default_configENS1_22reduce_config_selectorIlEEZNS1_11reduce_implILb1ES3_PlS7_lN6hipcub16HIPCUB_304000_NS6detail34convert_binary_result_type_wrapperINS9_3SumENS9_22TransformInputIteratorIb7NonZeroIaEPalEElEEEE10hipError_tPvRmT1_T2_T3_mT4_P12ihipStream_tbEUlT_E0_NS1_11comp_targetILNS1_3genE8ELNS1_11target_archE1030ELNS1_3gpuE2ELNS1_3repE0EEENS1_30default_config_static_selectorELNS0_4arch9wavefront6targetE1EEEvSM_,"axG",@progbits,_ZN7rocprim17ROCPRIM_400000_NS6detail17trampoline_kernelINS0_14default_configENS1_22reduce_config_selectorIlEEZNS1_11reduce_implILb1ES3_PlS7_lN6hipcub16HIPCUB_304000_NS6detail34convert_binary_result_type_wrapperINS9_3SumENS9_22TransformInputIteratorIb7NonZeroIaEPalEElEEEE10hipError_tPvRmT1_T2_T3_mT4_P12ihipStream_tbEUlT_E0_NS1_11comp_targetILNS1_3genE8ELNS1_11target_archE1030ELNS1_3gpuE2ELNS1_3repE0EEENS1_30default_config_static_selectorELNS0_4arch9wavefront6targetE1EEEvSM_,comdat
.Lfunc_end8:
	.size	_ZN7rocprim17ROCPRIM_400000_NS6detail17trampoline_kernelINS0_14default_configENS1_22reduce_config_selectorIlEEZNS1_11reduce_implILb1ES3_PlS7_lN6hipcub16HIPCUB_304000_NS6detail34convert_binary_result_type_wrapperINS9_3SumENS9_22TransformInputIteratorIb7NonZeroIaEPalEElEEEE10hipError_tPvRmT1_T2_T3_mT4_P12ihipStream_tbEUlT_E0_NS1_11comp_targetILNS1_3genE8ELNS1_11target_archE1030ELNS1_3gpuE2ELNS1_3repE0EEENS1_30default_config_static_selectorELNS0_4arch9wavefront6targetE1EEEvSM_, .Lfunc_end8-_ZN7rocprim17ROCPRIM_400000_NS6detail17trampoline_kernelINS0_14default_configENS1_22reduce_config_selectorIlEEZNS1_11reduce_implILb1ES3_PlS7_lN6hipcub16HIPCUB_304000_NS6detail34convert_binary_result_type_wrapperINS9_3SumENS9_22TransformInputIteratorIb7NonZeroIaEPalEElEEEE10hipError_tPvRmT1_T2_T3_mT4_P12ihipStream_tbEUlT_E0_NS1_11comp_targetILNS1_3genE8ELNS1_11target_archE1030ELNS1_3gpuE2ELNS1_3repE0EEENS1_30default_config_static_selectorELNS0_4arch9wavefront6targetE1EEEvSM_
                                        ; -- End function
	.set _ZN7rocprim17ROCPRIM_400000_NS6detail17trampoline_kernelINS0_14default_configENS1_22reduce_config_selectorIlEEZNS1_11reduce_implILb1ES3_PlS7_lN6hipcub16HIPCUB_304000_NS6detail34convert_binary_result_type_wrapperINS9_3SumENS9_22TransformInputIteratorIb7NonZeroIaEPalEElEEEE10hipError_tPvRmT1_T2_T3_mT4_P12ihipStream_tbEUlT_E0_NS1_11comp_targetILNS1_3genE8ELNS1_11target_archE1030ELNS1_3gpuE2ELNS1_3repE0EEENS1_30default_config_static_selectorELNS0_4arch9wavefront6targetE1EEEvSM_.num_vgpr, 0
	.set _ZN7rocprim17ROCPRIM_400000_NS6detail17trampoline_kernelINS0_14default_configENS1_22reduce_config_selectorIlEEZNS1_11reduce_implILb1ES3_PlS7_lN6hipcub16HIPCUB_304000_NS6detail34convert_binary_result_type_wrapperINS9_3SumENS9_22TransformInputIteratorIb7NonZeroIaEPalEElEEEE10hipError_tPvRmT1_T2_T3_mT4_P12ihipStream_tbEUlT_E0_NS1_11comp_targetILNS1_3genE8ELNS1_11target_archE1030ELNS1_3gpuE2ELNS1_3repE0EEENS1_30default_config_static_selectorELNS0_4arch9wavefront6targetE1EEEvSM_.num_agpr, 0
	.set _ZN7rocprim17ROCPRIM_400000_NS6detail17trampoline_kernelINS0_14default_configENS1_22reduce_config_selectorIlEEZNS1_11reduce_implILb1ES3_PlS7_lN6hipcub16HIPCUB_304000_NS6detail34convert_binary_result_type_wrapperINS9_3SumENS9_22TransformInputIteratorIb7NonZeroIaEPalEElEEEE10hipError_tPvRmT1_T2_T3_mT4_P12ihipStream_tbEUlT_E0_NS1_11comp_targetILNS1_3genE8ELNS1_11target_archE1030ELNS1_3gpuE2ELNS1_3repE0EEENS1_30default_config_static_selectorELNS0_4arch9wavefront6targetE1EEEvSM_.numbered_sgpr, 0
	.set _ZN7rocprim17ROCPRIM_400000_NS6detail17trampoline_kernelINS0_14default_configENS1_22reduce_config_selectorIlEEZNS1_11reduce_implILb1ES3_PlS7_lN6hipcub16HIPCUB_304000_NS6detail34convert_binary_result_type_wrapperINS9_3SumENS9_22TransformInputIteratorIb7NonZeroIaEPalEElEEEE10hipError_tPvRmT1_T2_T3_mT4_P12ihipStream_tbEUlT_E0_NS1_11comp_targetILNS1_3genE8ELNS1_11target_archE1030ELNS1_3gpuE2ELNS1_3repE0EEENS1_30default_config_static_selectorELNS0_4arch9wavefront6targetE1EEEvSM_.num_named_barrier, 0
	.set _ZN7rocprim17ROCPRIM_400000_NS6detail17trampoline_kernelINS0_14default_configENS1_22reduce_config_selectorIlEEZNS1_11reduce_implILb1ES3_PlS7_lN6hipcub16HIPCUB_304000_NS6detail34convert_binary_result_type_wrapperINS9_3SumENS9_22TransformInputIteratorIb7NonZeroIaEPalEElEEEE10hipError_tPvRmT1_T2_T3_mT4_P12ihipStream_tbEUlT_E0_NS1_11comp_targetILNS1_3genE8ELNS1_11target_archE1030ELNS1_3gpuE2ELNS1_3repE0EEENS1_30default_config_static_selectorELNS0_4arch9wavefront6targetE1EEEvSM_.private_seg_size, 0
	.set _ZN7rocprim17ROCPRIM_400000_NS6detail17trampoline_kernelINS0_14default_configENS1_22reduce_config_selectorIlEEZNS1_11reduce_implILb1ES3_PlS7_lN6hipcub16HIPCUB_304000_NS6detail34convert_binary_result_type_wrapperINS9_3SumENS9_22TransformInputIteratorIb7NonZeroIaEPalEElEEEE10hipError_tPvRmT1_T2_T3_mT4_P12ihipStream_tbEUlT_E0_NS1_11comp_targetILNS1_3genE8ELNS1_11target_archE1030ELNS1_3gpuE2ELNS1_3repE0EEENS1_30default_config_static_selectorELNS0_4arch9wavefront6targetE1EEEvSM_.uses_vcc, 0
	.set _ZN7rocprim17ROCPRIM_400000_NS6detail17trampoline_kernelINS0_14default_configENS1_22reduce_config_selectorIlEEZNS1_11reduce_implILb1ES3_PlS7_lN6hipcub16HIPCUB_304000_NS6detail34convert_binary_result_type_wrapperINS9_3SumENS9_22TransformInputIteratorIb7NonZeroIaEPalEElEEEE10hipError_tPvRmT1_T2_T3_mT4_P12ihipStream_tbEUlT_E0_NS1_11comp_targetILNS1_3genE8ELNS1_11target_archE1030ELNS1_3gpuE2ELNS1_3repE0EEENS1_30default_config_static_selectorELNS0_4arch9wavefront6targetE1EEEvSM_.uses_flat_scratch, 0
	.set _ZN7rocprim17ROCPRIM_400000_NS6detail17trampoline_kernelINS0_14default_configENS1_22reduce_config_selectorIlEEZNS1_11reduce_implILb1ES3_PlS7_lN6hipcub16HIPCUB_304000_NS6detail34convert_binary_result_type_wrapperINS9_3SumENS9_22TransformInputIteratorIb7NonZeroIaEPalEElEEEE10hipError_tPvRmT1_T2_T3_mT4_P12ihipStream_tbEUlT_E0_NS1_11comp_targetILNS1_3genE8ELNS1_11target_archE1030ELNS1_3gpuE2ELNS1_3repE0EEENS1_30default_config_static_selectorELNS0_4arch9wavefront6targetE1EEEvSM_.has_dyn_sized_stack, 0
	.set _ZN7rocprim17ROCPRIM_400000_NS6detail17trampoline_kernelINS0_14default_configENS1_22reduce_config_selectorIlEEZNS1_11reduce_implILb1ES3_PlS7_lN6hipcub16HIPCUB_304000_NS6detail34convert_binary_result_type_wrapperINS9_3SumENS9_22TransformInputIteratorIb7NonZeroIaEPalEElEEEE10hipError_tPvRmT1_T2_T3_mT4_P12ihipStream_tbEUlT_E0_NS1_11comp_targetILNS1_3genE8ELNS1_11target_archE1030ELNS1_3gpuE2ELNS1_3repE0EEENS1_30default_config_static_selectorELNS0_4arch9wavefront6targetE1EEEvSM_.has_recursion, 0
	.set _ZN7rocprim17ROCPRIM_400000_NS6detail17trampoline_kernelINS0_14default_configENS1_22reduce_config_selectorIlEEZNS1_11reduce_implILb1ES3_PlS7_lN6hipcub16HIPCUB_304000_NS6detail34convert_binary_result_type_wrapperINS9_3SumENS9_22TransformInputIteratorIb7NonZeroIaEPalEElEEEE10hipError_tPvRmT1_T2_T3_mT4_P12ihipStream_tbEUlT_E0_NS1_11comp_targetILNS1_3genE8ELNS1_11target_archE1030ELNS1_3gpuE2ELNS1_3repE0EEENS1_30default_config_static_selectorELNS0_4arch9wavefront6targetE1EEEvSM_.has_indirect_call, 0
	.section	.AMDGPU.csdata,"",@progbits
; Kernel info:
; codeLenInByte = 0
; TotalNumSgprs: 4
; NumVgprs: 0
; ScratchSize: 0
; MemoryBound: 0
; FloatMode: 240
; IeeeMode: 1
; LDSByteSize: 0 bytes/workgroup (compile time only)
; SGPRBlocks: 0
; VGPRBlocks: 0
; NumSGPRsForWavesPerEU: 4
; NumVGPRsForWavesPerEU: 1
; Occupancy: 10
; WaveLimiterHint : 0
; COMPUTE_PGM_RSRC2:SCRATCH_EN: 0
; COMPUTE_PGM_RSRC2:USER_SGPR: 6
; COMPUTE_PGM_RSRC2:TRAP_HANDLER: 0
; COMPUTE_PGM_RSRC2:TGID_X_EN: 1
; COMPUTE_PGM_RSRC2:TGID_Y_EN: 0
; COMPUTE_PGM_RSRC2:TGID_Z_EN: 0
; COMPUTE_PGM_RSRC2:TIDIG_COMP_CNT: 0
	.section	.text._ZN7rocprim17ROCPRIM_400000_NS6detail17trampoline_kernelINS0_14default_configENS1_22reduce_config_selectorIlEEZNS1_11reduce_implILb1ES3_PlS7_lN6hipcub16HIPCUB_304000_NS6detail34convert_binary_result_type_wrapperINS9_3SumENS9_22TransformInputIteratorIb7NonZeroIaEPalEElEEEE10hipError_tPvRmT1_T2_T3_mT4_P12ihipStream_tbEUlT_E1_NS1_11comp_targetILNS1_3genE0ELNS1_11target_archE4294967295ELNS1_3gpuE0ELNS1_3repE0EEENS1_30default_config_static_selectorELNS0_4arch9wavefront6targetE1EEEvSM_,"axG",@progbits,_ZN7rocprim17ROCPRIM_400000_NS6detail17trampoline_kernelINS0_14default_configENS1_22reduce_config_selectorIlEEZNS1_11reduce_implILb1ES3_PlS7_lN6hipcub16HIPCUB_304000_NS6detail34convert_binary_result_type_wrapperINS9_3SumENS9_22TransformInputIteratorIb7NonZeroIaEPalEElEEEE10hipError_tPvRmT1_T2_T3_mT4_P12ihipStream_tbEUlT_E1_NS1_11comp_targetILNS1_3genE0ELNS1_11target_archE4294967295ELNS1_3gpuE0ELNS1_3repE0EEENS1_30default_config_static_selectorELNS0_4arch9wavefront6targetE1EEEvSM_,comdat
	.protected	_ZN7rocprim17ROCPRIM_400000_NS6detail17trampoline_kernelINS0_14default_configENS1_22reduce_config_selectorIlEEZNS1_11reduce_implILb1ES3_PlS7_lN6hipcub16HIPCUB_304000_NS6detail34convert_binary_result_type_wrapperINS9_3SumENS9_22TransformInputIteratorIb7NonZeroIaEPalEElEEEE10hipError_tPvRmT1_T2_T3_mT4_P12ihipStream_tbEUlT_E1_NS1_11comp_targetILNS1_3genE0ELNS1_11target_archE4294967295ELNS1_3gpuE0ELNS1_3repE0EEENS1_30default_config_static_selectorELNS0_4arch9wavefront6targetE1EEEvSM_ ; -- Begin function _ZN7rocprim17ROCPRIM_400000_NS6detail17trampoline_kernelINS0_14default_configENS1_22reduce_config_selectorIlEEZNS1_11reduce_implILb1ES3_PlS7_lN6hipcub16HIPCUB_304000_NS6detail34convert_binary_result_type_wrapperINS9_3SumENS9_22TransformInputIteratorIb7NonZeroIaEPalEElEEEE10hipError_tPvRmT1_T2_T3_mT4_P12ihipStream_tbEUlT_E1_NS1_11comp_targetILNS1_3genE0ELNS1_11target_archE4294967295ELNS1_3gpuE0ELNS1_3repE0EEENS1_30default_config_static_selectorELNS0_4arch9wavefront6targetE1EEEvSM_
	.globl	_ZN7rocprim17ROCPRIM_400000_NS6detail17trampoline_kernelINS0_14default_configENS1_22reduce_config_selectorIlEEZNS1_11reduce_implILb1ES3_PlS7_lN6hipcub16HIPCUB_304000_NS6detail34convert_binary_result_type_wrapperINS9_3SumENS9_22TransformInputIteratorIb7NonZeroIaEPalEElEEEE10hipError_tPvRmT1_T2_T3_mT4_P12ihipStream_tbEUlT_E1_NS1_11comp_targetILNS1_3genE0ELNS1_11target_archE4294967295ELNS1_3gpuE0ELNS1_3repE0EEENS1_30default_config_static_selectorELNS0_4arch9wavefront6targetE1EEEvSM_
	.p2align	8
	.type	_ZN7rocprim17ROCPRIM_400000_NS6detail17trampoline_kernelINS0_14default_configENS1_22reduce_config_selectorIlEEZNS1_11reduce_implILb1ES3_PlS7_lN6hipcub16HIPCUB_304000_NS6detail34convert_binary_result_type_wrapperINS9_3SumENS9_22TransformInputIteratorIb7NonZeroIaEPalEElEEEE10hipError_tPvRmT1_T2_T3_mT4_P12ihipStream_tbEUlT_E1_NS1_11comp_targetILNS1_3genE0ELNS1_11target_archE4294967295ELNS1_3gpuE0ELNS1_3repE0EEENS1_30default_config_static_selectorELNS0_4arch9wavefront6targetE1EEEvSM_,@function
_ZN7rocprim17ROCPRIM_400000_NS6detail17trampoline_kernelINS0_14default_configENS1_22reduce_config_selectorIlEEZNS1_11reduce_implILb1ES3_PlS7_lN6hipcub16HIPCUB_304000_NS6detail34convert_binary_result_type_wrapperINS9_3SumENS9_22TransformInputIteratorIb7NonZeroIaEPalEElEEEE10hipError_tPvRmT1_T2_T3_mT4_P12ihipStream_tbEUlT_E1_NS1_11comp_targetILNS1_3genE0ELNS1_11target_archE4294967295ELNS1_3gpuE0ELNS1_3repE0EEENS1_30default_config_static_selectorELNS0_4arch9wavefront6targetE1EEEvSM_: ; @_ZN7rocprim17ROCPRIM_400000_NS6detail17trampoline_kernelINS0_14default_configENS1_22reduce_config_selectorIlEEZNS1_11reduce_implILb1ES3_PlS7_lN6hipcub16HIPCUB_304000_NS6detail34convert_binary_result_type_wrapperINS9_3SumENS9_22TransformInputIteratorIb7NonZeroIaEPalEElEEEE10hipError_tPvRmT1_T2_T3_mT4_P12ihipStream_tbEUlT_E1_NS1_11comp_targetILNS1_3genE0ELNS1_11target_archE4294967295ELNS1_3gpuE0ELNS1_3repE0EEENS1_30default_config_static_selectorELNS0_4arch9wavefront6targetE1EEEvSM_
; %bb.0:
	.section	.rodata,"a",@progbits
	.p2align	6, 0x0
	.amdhsa_kernel _ZN7rocprim17ROCPRIM_400000_NS6detail17trampoline_kernelINS0_14default_configENS1_22reduce_config_selectorIlEEZNS1_11reduce_implILb1ES3_PlS7_lN6hipcub16HIPCUB_304000_NS6detail34convert_binary_result_type_wrapperINS9_3SumENS9_22TransformInputIteratorIb7NonZeroIaEPalEElEEEE10hipError_tPvRmT1_T2_T3_mT4_P12ihipStream_tbEUlT_E1_NS1_11comp_targetILNS1_3genE0ELNS1_11target_archE4294967295ELNS1_3gpuE0ELNS1_3repE0EEENS1_30default_config_static_selectorELNS0_4arch9wavefront6targetE1EEEvSM_
		.amdhsa_group_segment_fixed_size 0
		.amdhsa_private_segment_fixed_size 0
		.amdhsa_kernarg_size 48
		.amdhsa_user_sgpr_count 6
		.amdhsa_user_sgpr_private_segment_buffer 1
		.amdhsa_user_sgpr_dispatch_ptr 0
		.amdhsa_user_sgpr_queue_ptr 0
		.amdhsa_user_sgpr_kernarg_segment_ptr 1
		.amdhsa_user_sgpr_dispatch_id 0
		.amdhsa_user_sgpr_flat_scratch_init 0
		.amdhsa_user_sgpr_private_segment_size 0
		.amdhsa_uses_dynamic_stack 0
		.amdhsa_system_sgpr_private_segment_wavefront_offset 0
		.amdhsa_system_sgpr_workgroup_id_x 1
		.amdhsa_system_sgpr_workgroup_id_y 0
		.amdhsa_system_sgpr_workgroup_id_z 0
		.amdhsa_system_sgpr_workgroup_info 0
		.amdhsa_system_vgpr_workitem_id 0
		.amdhsa_next_free_vgpr 1
		.amdhsa_next_free_sgpr 0
		.amdhsa_reserve_vcc 0
		.amdhsa_reserve_flat_scratch 0
		.amdhsa_float_round_mode_32 0
		.amdhsa_float_round_mode_16_64 0
		.amdhsa_float_denorm_mode_32 3
		.amdhsa_float_denorm_mode_16_64 3
		.amdhsa_dx10_clamp 1
		.amdhsa_ieee_mode 1
		.amdhsa_fp16_overflow 0
		.amdhsa_exception_fp_ieee_invalid_op 0
		.amdhsa_exception_fp_denorm_src 0
		.amdhsa_exception_fp_ieee_div_zero 0
		.amdhsa_exception_fp_ieee_overflow 0
		.amdhsa_exception_fp_ieee_underflow 0
		.amdhsa_exception_fp_ieee_inexact 0
		.amdhsa_exception_int_div_zero 0
	.end_amdhsa_kernel
	.section	.text._ZN7rocprim17ROCPRIM_400000_NS6detail17trampoline_kernelINS0_14default_configENS1_22reduce_config_selectorIlEEZNS1_11reduce_implILb1ES3_PlS7_lN6hipcub16HIPCUB_304000_NS6detail34convert_binary_result_type_wrapperINS9_3SumENS9_22TransformInputIteratorIb7NonZeroIaEPalEElEEEE10hipError_tPvRmT1_T2_T3_mT4_P12ihipStream_tbEUlT_E1_NS1_11comp_targetILNS1_3genE0ELNS1_11target_archE4294967295ELNS1_3gpuE0ELNS1_3repE0EEENS1_30default_config_static_selectorELNS0_4arch9wavefront6targetE1EEEvSM_,"axG",@progbits,_ZN7rocprim17ROCPRIM_400000_NS6detail17trampoline_kernelINS0_14default_configENS1_22reduce_config_selectorIlEEZNS1_11reduce_implILb1ES3_PlS7_lN6hipcub16HIPCUB_304000_NS6detail34convert_binary_result_type_wrapperINS9_3SumENS9_22TransformInputIteratorIb7NonZeroIaEPalEElEEEE10hipError_tPvRmT1_T2_T3_mT4_P12ihipStream_tbEUlT_E1_NS1_11comp_targetILNS1_3genE0ELNS1_11target_archE4294967295ELNS1_3gpuE0ELNS1_3repE0EEENS1_30default_config_static_selectorELNS0_4arch9wavefront6targetE1EEEvSM_,comdat
.Lfunc_end9:
	.size	_ZN7rocprim17ROCPRIM_400000_NS6detail17trampoline_kernelINS0_14default_configENS1_22reduce_config_selectorIlEEZNS1_11reduce_implILb1ES3_PlS7_lN6hipcub16HIPCUB_304000_NS6detail34convert_binary_result_type_wrapperINS9_3SumENS9_22TransformInputIteratorIb7NonZeroIaEPalEElEEEE10hipError_tPvRmT1_T2_T3_mT4_P12ihipStream_tbEUlT_E1_NS1_11comp_targetILNS1_3genE0ELNS1_11target_archE4294967295ELNS1_3gpuE0ELNS1_3repE0EEENS1_30default_config_static_selectorELNS0_4arch9wavefront6targetE1EEEvSM_, .Lfunc_end9-_ZN7rocprim17ROCPRIM_400000_NS6detail17trampoline_kernelINS0_14default_configENS1_22reduce_config_selectorIlEEZNS1_11reduce_implILb1ES3_PlS7_lN6hipcub16HIPCUB_304000_NS6detail34convert_binary_result_type_wrapperINS9_3SumENS9_22TransformInputIteratorIb7NonZeroIaEPalEElEEEE10hipError_tPvRmT1_T2_T3_mT4_P12ihipStream_tbEUlT_E1_NS1_11comp_targetILNS1_3genE0ELNS1_11target_archE4294967295ELNS1_3gpuE0ELNS1_3repE0EEENS1_30default_config_static_selectorELNS0_4arch9wavefront6targetE1EEEvSM_
                                        ; -- End function
	.set _ZN7rocprim17ROCPRIM_400000_NS6detail17trampoline_kernelINS0_14default_configENS1_22reduce_config_selectorIlEEZNS1_11reduce_implILb1ES3_PlS7_lN6hipcub16HIPCUB_304000_NS6detail34convert_binary_result_type_wrapperINS9_3SumENS9_22TransformInputIteratorIb7NonZeroIaEPalEElEEEE10hipError_tPvRmT1_T2_T3_mT4_P12ihipStream_tbEUlT_E1_NS1_11comp_targetILNS1_3genE0ELNS1_11target_archE4294967295ELNS1_3gpuE0ELNS1_3repE0EEENS1_30default_config_static_selectorELNS0_4arch9wavefront6targetE1EEEvSM_.num_vgpr, 0
	.set _ZN7rocprim17ROCPRIM_400000_NS6detail17trampoline_kernelINS0_14default_configENS1_22reduce_config_selectorIlEEZNS1_11reduce_implILb1ES3_PlS7_lN6hipcub16HIPCUB_304000_NS6detail34convert_binary_result_type_wrapperINS9_3SumENS9_22TransformInputIteratorIb7NonZeroIaEPalEElEEEE10hipError_tPvRmT1_T2_T3_mT4_P12ihipStream_tbEUlT_E1_NS1_11comp_targetILNS1_3genE0ELNS1_11target_archE4294967295ELNS1_3gpuE0ELNS1_3repE0EEENS1_30default_config_static_selectorELNS0_4arch9wavefront6targetE1EEEvSM_.num_agpr, 0
	.set _ZN7rocprim17ROCPRIM_400000_NS6detail17trampoline_kernelINS0_14default_configENS1_22reduce_config_selectorIlEEZNS1_11reduce_implILb1ES3_PlS7_lN6hipcub16HIPCUB_304000_NS6detail34convert_binary_result_type_wrapperINS9_3SumENS9_22TransformInputIteratorIb7NonZeroIaEPalEElEEEE10hipError_tPvRmT1_T2_T3_mT4_P12ihipStream_tbEUlT_E1_NS1_11comp_targetILNS1_3genE0ELNS1_11target_archE4294967295ELNS1_3gpuE0ELNS1_3repE0EEENS1_30default_config_static_selectorELNS0_4arch9wavefront6targetE1EEEvSM_.numbered_sgpr, 0
	.set _ZN7rocprim17ROCPRIM_400000_NS6detail17trampoline_kernelINS0_14default_configENS1_22reduce_config_selectorIlEEZNS1_11reduce_implILb1ES3_PlS7_lN6hipcub16HIPCUB_304000_NS6detail34convert_binary_result_type_wrapperINS9_3SumENS9_22TransformInputIteratorIb7NonZeroIaEPalEElEEEE10hipError_tPvRmT1_T2_T3_mT4_P12ihipStream_tbEUlT_E1_NS1_11comp_targetILNS1_3genE0ELNS1_11target_archE4294967295ELNS1_3gpuE0ELNS1_3repE0EEENS1_30default_config_static_selectorELNS0_4arch9wavefront6targetE1EEEvSM_.num_named_barrier, 0
	.set _ZN7rocprim17ROCPRIM_400000_NS6detail17trampoline_kernelINS0_14default_configENS1_22reduce_config_selectorIlEEZNS1_11reduce_implILb1ES3_PlS7_lN6hipcub16HIPCUB_304000_NS6detail34convert_binary_result_type_wrapperINS9_3SumENS9_22TransformInputIteratorIb7NonZeroIaEPalEElEEEE10hipError_tPvRmT1_T2_T3_mT4_P12ihipStream_tbEUlT_E1_NS1_11comp_targetILNS1_3genE0ELNS1_11target_archE4294967295ELNS1_3gpuE0ELNS1_3repE0EEENS1_30default_config_static_selectorELNS0_4arch9wavefront6targetE1EEEvSM_.private_seg_size, 0
	.set _ZN7rocprim17ROCPRIM_400000_NS6detail17trampoline_kernelINS0_14default_configENS1_22reduce_config_selectorIlEEZNS1_11reduce_implILb1ES3_PlS7_lN6hipcub16HIPCUB_304000_NS6detail34convert_binary_result_type_wrapperINS9_3SumENS9_22TransformInputIteratorIb7NonZeroIaEPalEElEEEE10hipError_tPvRmT1_T2_T3_mT4_P12ihipStream_tbEUlT_E1_NS1_11comp_targetILNS1_3genE0ELNS1_11target_archE4294967295ELNS1_3gpuE0ELNS1_3repE0EEENS1_30default_config_static_selectorELNS0_4arch9wavefront6targetE1EEEvSM_.uses_vcc, 0
	.set _ZN7rocprim17ROCPRIM_400000_NS6detail17trampoline_kernelINS0_14default_configENS1_22reduce_config_selectorIlEEZNS1_11reduce_implILb1ES3_PlS7_lN6hipcub16HIPCUB_304000_NS6detail34convert_binary_result_type_wrapperINS9_3SumENS9_22TransformInputIteratorIb7NonZeroIaEPalEElEEEE10hipError_tPvRmT1_T2_T3_mT4_P12ihipStream_tbEUlT_E1_NS1_11comp_targetILNS1_3genE0ELNS1_11target_archE4294967295ELNS1_3gpuE0ELNS1_3repE0EEENS1_30default_config_static_selectorELNS0_4arch9wavefront6targetE1EEEvSM_.uses_flat_scratch, 0
	.set _ZN7rocprim17ROCPRIM_400000_NS6detail17trampoline_kernelINS0_14default_configENS1_22reduce_config_selectorIlEEZNS1_11reduce_implILb1ES3_PlS7_lN6hipcub16HIPCUB_304000_NS6detail34convert_binary_result_type_wrapperINS9_3SumENS9_22TransformInputIteratorIb7NonZeroIaEPalEElEEEE10hipError_tPvRmT1_T2_T3_mT4_P12ihipStream_tbEUlT_E1_NS1_11comp_targetILNS1_3genE0ELNS1_11target_archE4294967295ELNS1_3gpuE0ELNS1_3repE0EEENS1_30default_config_static_selectorELNS0_4arch9wavefront6targetE1EEEvSM_.has_dyn_sized_stack, 0
	.set _ZN7rocprim17ROCPRIM_400000_NS6detail17trampoline_kernelINS0_14default_configENS1_22reduce_config_selectorIlEEZNS1_11reduce_implILb1ES3_PlS7_lN6hipcub16HIPCUB_304000_NS6detail34convert_binary_result_type_wrapperINS9_3SumENS9_22TransformInputIteratorIb7NonZeroIaEPalEElEEEE10hipError_tPvRmT1_T2_T3_mT4_P12ihipStream_tbEUlT_E1_NS1_11comp_targetILNS1_3genE0ELNS1_11target_archE4294967295ELNS1_3gpuE0ELNS1_3repE0EEENS1_30default_config_static_selectorELNS0_4arch9wavefront6targetE1EEEvSM_.has_recursion, 0
	.set _ZN7rocprim17ROCPRIM_400000_NS6detail17trampoline_kernelINS0_14default_configENS1_22reduce_config_selectorIlEEZNS1_11reduce_implILb1ES3_PlS7_lN6hipcub16HIPCUB_304000_NS6detail34convert_binary_result_type_wrapperINS9_3SumENS9_22TransformInputIteratorIb7NonZeroIaEPalEElEEEE10hipError_tPvRmT1_T2_T3_mT4_P12ihipStream_tbEUlT_E1_NS1_11comp_targetILNS1_3genE0ELNS1_11target_archE4294967295ELNS1_3gpuE0ELNS1_3repE0EEENS1_30default_config_static_selectorELNS0_4arch9wavefront6targetE1EEEvSM_.has_indirect_call, 0
	.section	.AMDGPU.csdata,"",@progbits
; Kernel info:
; codeLenInByte = 0
; TotalNumSgprs: 4
; NumVgprs: 0
; ScratchSize: 0
; MemoryBound: 0
; FloatMode: 240
; IeeeMode: 1
; LDSByteSize: 0 bytes/workgroup (compile time only)
; SGPRBlocks: 0
; VGPRBlocks: 0
; NumSGPRsForWavesPerEU: 4
; NumVGPRsForWavesPerEU: 1
; Occupancy: 10
; WaveLimiterHint : 0
; COMPUTE_PGM_RSRC2:SCRATCH_EN: 0
; COMPUTE_PGM_RSRC2:USER_SGPR: 6
; COMPUTE_PGM_RSRC2:TRAP_HANDLER: 0
; COMPUTE_PGM_RSRC2:TGID_X_EN: 1
; COMPUTE_PGM_RSRC2:TGID_Y_EN: 0
; COMPUTE_PGM_RSRC2:TGID_Z_EN: 0
; COMPUTE_PGM_RSRC2:TIDIG_COMP_CNT: 0
	.section	.text._ZN7rocprim17ROCPRIM_400000_NS6detail17trampoline_kernelINS0_14default_configENS1_22reduce_config_selectorIlEEZNS1_11reduce_implILb1ES3_PlS7_lN6hipcub16HIPCUB_304000_NS6detail34convert_binary_result_type_wrapperINS9_3SumENS9_22TransformInputIteratorIb7NonZeroIaEPalEElEEEE10hipError_tPvRmT1_T2_T3_mT4_P12ihipStream_tbEUlT_E1_NS1_11comp_targetILNS1_3genE5ELNS1_11target_archE942ELNS1_3gpuE9ELNS1_3repE0EEENS1_30default_config_static_selectorELNS0_4arch9wavefront6targetE1EEEvSM_,"axG",@progbits,_ZN7rocprim17ROCPRIM_400000_NS6detail17trampoline_kernelINS0_14default_configENS1_22reduce_config_selectorIlEEZNS1_11reduce_implILb1ES3_PlS7_lN6hipcub16HIPCUB_304000_NS6detail34convert_binary_result_type_wrapperINS9_3SumENS9_22TransformInputIteratorIb7NonZeroIaEPalEElEEEE10hipError_tPvRmT1_T2_T3_mT4_P12ihipStream_tbEUlT_E1_NS1_11comp_targetILNS1_3genE5ELNS1_11target_archE942ELNS1_3gpuE9ELNS1_3repE0EEENS1_30default_config_static_selectorELNS0_4arch9wavefront6targetE1EEEvSM_,comdat
	.protected	_ZN7rocprim17ROCPRIM_400000_NS6detail17trampoline_kernelINS0_14default_configENS1_22reduce_config_selectorIlEEZNS1_11reduce_implILb1ES3_PlS7_lN6hipcub16HIPCUB_304000_NS6detail34convert_binary_result_type_wrapperINS9_3SumENS9_22TransformInputIteratorIb7NonZeroIaEPalEElEEEE10hipError_tPvRmT1_T2_T3_mT4_P12ihipStream_tbEUlT_E1_NS1_11comp_targetILNS1_3genE5ELNS1_11target_archE942ELNS1_3gpuE9ELNS1_3repE0EEENS1_30default_config_static_selectorELNS0_4arch9wavefront6targetE1EEEvSM_ ; -- Begin function _ZN7rocprim17ROCPRIM_400000_NS6detail17trampoline_kernelINS0_14default_configENS1_22reduce_config_selectorIlEEZNS1_11reduce_implILb1ES3_PlS7_lN6hipcub16HIPCUB_304000_NS6detail34convert_binary_result_type_wrapperINS9_3SumENS9_22TransformInputIteratorIb7NonZeroIaEPalEElEEEE10hipError_tPvRmT1_T2_T3_mT4_P12ihipStream_tbEUlT_E1_NS1_11comp_targetILNS1_3genE5ELNS1_11target_archE942ELNS1_3gpuE9ELNS1_3repE0EEENS1_30default_config_static_selectorELNS0_4arch9wavefront6targetE1EEEvSM_
	.globl	_ZN7rocprim17ROCPRIM_400000_NS6detail17trampoline_kernelINS0_14default_configENS1_22reduce_config_selectorIlEEZNS1_11reduce_implILb1ES3_PlS7_lN6hipcub16HIPCUB_304000_NS6detail34convert_binary_result_type_wrapperINS9_3SumENS9_22TransformInputIteratorIb7NonZeroIaEPalEElEEEE10hipError_tPvRmT1_T2_T3_mT4_P12ihipStream_tbEUlT_E1_NS1_11comp_targetILNS1_3genE5ELNS1_11target_archE942ELNS1_3gpuE9ELNS1_3repE0EEENS1_30default_config_static_selectorELNS0_4arch9wavefront6targetE1EEEvSM_
	.p2align	8
	.type	_ZN7rocprim17ROCPRIM_400000_NS6detail17trampoline_kernelINS0_14default_configENS1_22reduce_config_selectorIlEEZNS1_11reduce_implILb1ES3_PlS7_lN6hipcub16HIPCUB_304000_NS6detail34convert_binary_result_type_wrapperINS9_3SumENS9_22TransformInputIteratorIb7NonZeroIaEPalEElEEEE10hipError_tPvRmT1_T2_T3_mT4_P12ihipStream_tbEUlT_E1_NS1_11comp_targetILNS1_3genE5ELNS1_11target_archE942ELNS1_3gpuE9ELNS1_3repE0EEENS1_30default_config_static_selectorELNS0_4arch9wavefront6targetE1EEEvSM_,@function
_ZN7rocprim17ROCPRIM_400000_NS6detail17trampoline_kernelINS0_14default_configENS1_22reduce_config_selectorIlEEZNS1_11reduce_implILb1ES3_PlS7_lN6hipcub16HIPCUB_304000_NS6detail34convert_binary_result_type_wrapperINS9_3SumENS9_22TransformInputIteratorIb7NonZeroIaEPalEElEEEE10hipError_tPvRmT1_T2_T3_mT4_P12ihipStream_tbEUlT_E1_NS1_11comp_targetILNS1_3genE5ELNS1_11target_archE942ELNS1_3gpuE9ELNS1_3repE0EEENS1_30default_config_static_selectorELNS0_4arch9wavefront6targetE1EEEvSM_: ; @_ZN7rocprim17ROCPRIM_400000_NS6detail17trampoline_kernelINS0_14default_configENS1_22reduce_config_selectorIlEEZNS1_11reduce_implILb1ES3_PlS7_lN6hipcub16HIPCUB_304000_NS6detail34convert_binary_result_type_wrapperINS9_3SumENS9_22TransformInputIteratorIb7NonZeroIaEPalEElEEEE10hipError_tPvRmT1_T2_T3_mT4_P12ihipStream_tbEUlT_E1_NS1_11comp_targetILNS1_3genE5ELNS1_11target_archE942ELNS1_3gpuE9ELNS1_3repE0EEENS1_30default_config_static_selectorELNS0_4arch9wavefront6targetE1EEEvSM_
; %bb.0:
	.section	.rodata,"a",@progbits
	.p2align	6, 0x0
	.amdhsa_kernel _ZN7rocprim17ROCPRIM_400000_NS6detail17trampoline_kernelINS0_14default_configENS1_22reduce_config_selectorIlEEZNS1_11reduce_implILb1ES3_PlS7_lN6hipcub16HIPCUB_304000_NS6detail34convert_binary_result_type_wrapperINS9_3SumENS9_22TransformInputIteratorIb7NonZeroIaEPalEElEEEE10hipError_tPvRmT1_T2_T3_mT4_P12ihipStream_tbEUlT_E1_NS1_11comp_targetILNS1_3genE5ELNS1_11target_archE942ELNS1_3gpuE9ELNS1_3repE0EEENS1_30default_config_static_selectorELNS0_4arch9wavefront6targetE1EEEvSM_
		.amdhsa_group_segment_fixed_size 0
		.amdhsa_private_segment_fixed_size 0
		.amdhsa_kernarg_size 48
		.amdhsa_user_sgpr_count 6
		.amdhsa_user_sgpr_private_segment_buffer 1
		.amdhsa_user_sgpr_dispatch_ptr 0
		.amdhsa_user_sgpr_queue_ptr 0
		.amdhsa_user_sgpr_kernarg_segment_ptr 1
		.amdhsa_user_sgpr_dispatch_id 0
		.amdhsa_user_sgpr_flat_scratch_init 0
		.amdhsa_user_sgpr_private_segment_size 0
		.amdhsa_uses_dynamic_stack 0
		.amdhsa_system_sgpr_private_segment_wavefront_offset 0
		.amdhsa_system_sgpr_workgroup_id_x 1
		.amdhsa_system_sgpr_workgroup_id_y 0
		.amdhsa_system_sgpr_workgroup_id_z 0
		.amdhsa_system_sgpr_workgroup_info 0
		.amdhsa_system_vgpr_workitem_id 0
		.amdhsa_next_free_vgpr 1
		.amdhsa_next_free_sgpr 0
		.amdhsa_reserve_vcc 0
		.amdhsa_reserve_flat_scratch 0
		.amdhsa_float_round_mode_32 0
		.amdhsa_float_round_mode_16_64 0
		.amdhsa_float_denorm_mode_32 3
		.amdhsa_float_denorm_mode_16_64 3
		.amdhsa_dx10_clamp 1
		.amdhsa_ieee_mode 1
		.amdhsa_fp16_overflow 0
		.amdhsa_exception_fp_ieee_invalid_op 0
		.amdhsa_exception_fp_denorm_src 0
		.amdhsa_exception_fp_ieee_div_zero 0
		.amdhsa_exception_fp_ieee_overflow 0
		.amdhsa_exception_fp_ieee_underflow 0
		.amdhsa_exception_fp_ieee_inexact 0
		.amdhsa_exception_int_div_zero 0
	.end_amdhsa_kernel
	.section	.text._ZN7rocprim17ROCPRIM_400000_NS6detail17trampoline_kernelINS0_14default_configENS1_22reduce_config_selectorIlEEZNS1_11reduce_implILb1ES3_PlS7_lN6hipcub16HIPCUB_304000_NS6detail34convert_binary_result_type_wrapperINS9_3SumENS9_22TransformInputIteratorIb7NonZeroIaEPalEElEEEE10hipError_tPvRmT1_T2_T3_mT4_P12ihipStream_tbEUlT_E1_NS1_11comp_targetILNS1_3genE5ELNS1_11target_archE942ELNS1_3gpuE9ELNS1_3repE0EEENS1_30default_config_static_selectorELNS0_4arch9wavefront6targetE1EEEvSM_,"axG",@progbits,_ZN7rocprim17ROCPRIM_400000_NS6detail17trampoline_kernelINS0_14default_configENS1_22reduce_config_selectorIlEEZNS1_11reduce_implILb1ES3_PlS7_lN6hipcub16HIPCUB_304000_NS6detail34convert_binary_result_type_wrapperINS9_3SumENS9_22TransformInputIteratorIb7NonZeroIaEPalEElEEEE10hipError_tPvRmT1_T2_T3_mT4_P12ihipStream_tbEUlT_E1_NS1_11comp_targetILNS1_3genE5ELNS1_11target_archE942ELNS1_3gpuE9ELNS1_3repE0EEENS1_30default_config_static_selectorELNS0_4arch9wavefront6targetE1EEEvSM_,comdat
.Lfunc_end10:
	.size	_ZN7rocprim17ROCPRIM_400000_NS6detail17trampoline_kernelINS0_14default_configENS1_22reduce_config_selectorIlEEZNS1_11reduce_implILb1ES3_PlS7_lN6hipcub16HIPCUB_304000_NS6detail34convert_binary_result_type_wrapperINS9_3SumENS9_22TransformInputIteratorIb7NonZeroIaEPalEElEEEE10hipError_tPvRmT1_T2_T3_mT4_P12ihipStream_tbEUlT_E1_NS1_11comp_targetILNS1_3genE5ELNS1_11target_archE942ELNS1_3gpuE9ELNS1_3repE0EEENS1_30default_config_static_selectorELNS0_4arch9wavefront6targetE1EEEvSM_, .Lfunc_end10-_ZN7rocprim17ROCPRIM_400000_NS6detail17trampoline_kernelINS0_14default_configENS1_22reduce_config_selectorIlEEZNS1_11reduce_implILb1ES3_PlS7_lN6hipcub16HIPCUB_304000_NS6detail34convert_binary_result_type_wrapperINS9_3SumENS9_22TransformInputIteratorIb7NonZeroIaEPalEElEEEE10hipError_tPvRmT1_T2_T3_mT4_P12ihipStream_tbEUlT_E1_NS1_11comp_targetILNS1_3genE5ELNS1_11target_archE942ELNS1_3gpuE9ELNS1_3repE0EEENS1_30default_config_static_selectorELNS0_4arch9wavefront6targetE1EEEvSM_
                                        ; -- End function
	.set _ZN7rocprim17ROCPRIM_400000_NS6detail17trampoline_kernelINS0_14default_configENS1_22reduce_config_selectorIlEEZNS1_11reduce_implILb1ES3_PlS7_lN6hipcub16HIPCUB_304000_NS6detail34convert_binary_result_type_wrapperINS9_3SumENS9_22TransformInputIteratorIb7NonZeroIaEPalEElEEEE10hipError_tPvRmT1_T2_T3_mT4_P12ihipStream_tbEUlT_E1_NS1_11comp_targetILNS1_3genE5ELNS1_11target_archE942ELNS1_3gpuE9ELNS1_3repE0EEENS1_30default_config_static_selectorELNS0_4arch9wavefront6targetE1EEEvSM_.num_vgpr, 0
	.set _ZN7rocprim17ROCPRIM_400000_NS6detail17trampoline_kernelINS0_14default_configENS1_22reduce_config_selectorIlEEZNS1_11reduce_implILb1ES3_PlS7_lN6hipcub16HIPCUB_304000_NS6detail34convert_binary_result_type_wrapperINS9_3SumENS9_22TransformInputIteratorIb7NonZeroIaEPalEElEEEE10hipError_tPvRmT1_T2_T3_mT4_P12ihipStream_tbEUlT_E1_NS1_11comp_targetILNS1_3genE5ELNS1_11target_archE942ELNS1_3gpuE9ELNS1_3repE0EEENS1_30default_config_static_selectorELNS0_4arch9wavefront6targetE1EEEvSM_.num_agpr, 0
	.set _ZN7rocprim17ROCPRIM_400000_NS6detail17trampoline_kernelINS0_14default_configENS1_22reduce_config_selectorIlEEZNS1_11reduce_implILb1ES3_PlS7_lN6hipcub16HIPCUB_304000_NS6detail34convert_binary_result_type_wrapperINS9_3SumENS9_22TransformInputIteratorIb7NonZeroIaEPalEElEEEE10hipError_tPvRmT1_T2_T3_mT4_P12ihipStream_tbEUlT_E1_NS1_11comp_targetILNS1_3genE5ELNS1_11target_archE942ELNS1_3gpuE9ELNS1_3repE0EEENS1_30default_config_static_selectorELNS0_4arch9wavefront6targetE1EEEvSM_.numbered_sgpr, 0
	.set _ZN7rocprim17ROCPRIM_400000_NS6detail17trampoline_kernelINS0_14default_configENS1_22reduce_config_selectorIlEEZNS1_11reduce_implILb1ES3_PlS7_lN6hipcub16HIPCUB_304000_NS6detail34convert_binary_result_type_wrapperINS9_3SumENS9_22TransformInputIteratorIb7NonZeroIaEPalEElEEEE10hipError_tPvRmT1_T2_T3_mT4_P12ihipStream_tbEUlT_E1_NS1_11comp_targetILNS1_3genE5ELNS1_11target_archE942ELNS1_3gpuE9ELNS1_3repE0EEENS1_30default_config_static_selectorELNS0_4arch9wavefront6targetE1EEEvSM_.num_named_barrier, 0
	.set _ZN7rocprim17ROCPRIM_400000_NS6detail17trampoline_kernelINS0_14default_configENS1_22reduce_config_selectorIlEEZNS1_11reduce_implILb1ES3_PlS7_lN6hipcub16HIPCUB_304000_NS6detail34convert_binary_result_type_wrapperINS9_3SumENS9_22TransformInputIteratorIb7NonZeroIaEPalEElEEEE10hipError_tPvRmT1_T2_T3_mT4_P12ihipStream_tbEUlT_E1_NS1_11comp_targetILNS1_3genE5ELNS1_11target_archE942ELNS1_3gpuE9ELNS1_3repE0EEENS1_30default_config_static_selectorELNS0_4arch9wavefront6targetE1EEEvSM_.private_seg_size, 0
	.set _ZN7rocprim17ROCPRIM_400000_NS6detail17trampoline_kernelINS0_14default_configENS1_22reduce_config_selectorIlEEZNS1_11reduce_implILb1ES3_PlS7_lN6hipcub16HIPCUB_304000_NS6detail34convert_binary_result_type_wrapperINS9_3SumENS9_22TransformInputIteratorIb7NonZeroIaEPalEElEEEE10hipError_tPvRmT1_T2_T3_mT4_P12ihipStream_tbEUlT_E1_NS1_11comp_targetILNS1_3genE5ELNS1_11target_archE942ELNS1_3gpuE9ELNS1_3repE0EEENS1_30default_config_static_selectorELNS0_4arch9wavefront6targetE1EEEvSM_.uses_vcc, 0
	.set _ZN7rocprim17ROCPRIM_400000_NS6detail17trampoline_kernelINS0_14default_configENS1_22reduce_config_selectorIlEEZNS1_11reduce_implILb1ES3_PlS7_lN6hipcub16HIPCUB_304000_NS6detail34convert_binary_result_type_wrapperINS9_3SumENS9_22TransformInputIteratorIb7NonZeroIaEPalEElEEEE10hipError_tPvRmT1_T2_T3_mT4_P12ihipStream_tbEUlT_E1_NS1_11comp_targetILNS1_3genE5ELNS1_11target_archE942ELNS1_3gpuE9ELNS1_3repE0EEENS1_30default_config_static_selectorELNS0_4arch9wavefront6targetE1EEEvSM_.uses_flat_scratch, 0
	.set _ZN7rocprim17ROCPRIM_400000_NS6detail17trampoline_kernelINS0_14default_configENS1_22reduce_config_selectorIlEEZNS1_11reduce_implILb1ES3_PlS7_lN6hipcub16HIPCUB_304000_NS6detail34convert_binary_result_type_wrapperINS9_3SumENS9_22TransformInputIteratorIb7NonZeroIaEPalEElEEEE10hipError_tPvRmT1_T2_T3_mT4_P12ihipStream_tbEUlT_E1_NS1_11comp_targetILNS1_3genE5ELNS1_11target_archE942ELNS1_3gpuE9ELNS1_3repE0EEENS1_30default_config_static_selectorELNS0_4arch9wavefront6targetE1EEEvSM_.has_dyn_sized_stack, 0
	.set _ZN7rocprim17ROCPRIM_400000_NS6detail17trampoline_kernelINS0_14default_configENS1_22reduce_config_selectorIlEEZNS1_11reduce_implILb1ES3_PlS7_lN6hipcub16HIPCUB_304000_NS6detail34convert_binary_result_type_wrapperINS9_3SumENS9_22TransformInputIteratorIb7NonZeroIaEPalEElEEEE10hipError_tPvRmT1_T2_T3_mT4_P12ihipStream_tbEUlT_E1_NS1_11comp_targetILNS1_3genE5ELNS1_11target_archE942ELNS1_3gpuE9ELNS1_3repE0EEENS1_30default_config_static_selectorELNS0_4arch9wavefront6targetE1EEEvSM_.has_recursion, 0
	.set _ZN7rocprim17ROCPRIM_400000_NS6detail17trampoline_kernelINS0_14default_configENS1_22reduce_config_selectorIlEEZNS1_11reduce_implILb1ES3_PlS7_lN6hipcub16HIPCUB_304000_NS6detail34convert_binary_result_type_wrapperINS9_3SumENS9_22TransformInputIteratorIb7NonZeroIaEPalEElEEEE10hipError_tPvRmT1_T2_T3_mT4_P12ihipStream_tbEUlT_E1_NS1_11comp_targetILNS1_3genE5ELNS1_11target_archE942ELNS1_3gpuE9ELNS1_3repE0EEENS1_30default_config_static_selectorELNS0_4arch9wavefront6targetE1EEEvSM_.has_indirect_call, 0
	.section	.AMDGPU.csdata,"",@progbits
; Kernel info:
; codeLenInByte = 0
; TotalNumSgprs: 4
; NumVgprs: 0
; ScratchSize: 0
; MemoryBound: 0
; FloatMode: 240
; IeeeMode: 1
; LDSByteSize: 0 bytes/workgroup (compile time only)
; SGPRBlocks: 0
; VGPRBlocks: 0
; NumSGPRsForWavesPerEU: 4
; NumVGPRsForWavesPerEU: 1
; Occupancy: 10
; WaveLimiterHint : 0
; COMPUTE_PGM_RSRC2:SCRATCH_EN: 0
; COMPUTE_PGM_RSRC2:USER_SGPR: 6
; COMPUTE_PGM_RSRC2:TRAP_HANDLER: 0
; COMPUTE_PGM_RSRC2:TGID_X_EN: 1
; COMPUTE_PGM_RSRC2:TGID_Y_EN: 0
; COMPUTE_PGM_RSRC2:TGID_Z_EN: 0
; COMPUTE_PGM_RSRC2:TIDIG_COMP_CNT: 0
	.section	.text._ZN7rocprim17ROCPRIM_400000_NS6detail17trampoline_kernelINS0_14default_configENS1_22reduce_config_selectorIlEEZNS1_11reduce_implILb1ES3_PlS7_lN6hipcub16HIPCUB_304000_NS6detail34convert_binary_result_type_wrapperINS9_3SumENS9_22TransformInputIteratorIb7NonZeroIaEPalEElEEEE10hipError_tPvRmT1_T2_T3_mT4_P12ihipStream_tbEUlT_E1_NS1_11comp_targetILNS1_3genE4ELNS1_11target_archE910ELNS1_3gpuE8ELNS1_3repE0EEENS1_30default_config_static_selectorELNS0_4arch9wavefront6targetE1EEEvSM_,"axG",@progbits,_ZN7rocprim17ROCPRIM_400000_NS6detail17trampoline_kernelINS0_14default_configENS1_22reduce_config_selectorIlEEZNS1_11reduce_implILb1ES3_PlS7_lN6hipcub16HIPCUB_304000_NS6detail34convert_binary_result_type_wrapperINS9_3SumENS9_22TransformInputIteratorIb7NonZeroIaEPalEElEEEE10hipError_tPvRmT1_T2_T3_mT4_P12ihipStream_tbEUlT_E1_NS1_11comp_targetILNS1_3genE4ELNS1_11target_archE910ELNS1_3gpuE8ELNS1_3repE0EEENS1_30default_config_static_selectorELNS0_4arch9wavefront6targetE1EEEvSM_,comdat
	.protected	_ZN7rocprim17ROCPRIM_400000_NS6detail17trampoline_kernelINS0_14default_configENS1_22reduce_config_selectorIlEEZNS1_11reduce_implILb1ES3_PlS7_lN6hipcub16HIPCUB_304000_NS6detail34convert_binary_result_type_wrapperINS9_3SumENS9_22TransformInputIteratorIb7NonZeroIaEPalEElEEEE10hipError_tPvRmT1_T2_T3_mT4_P12ihipStream_tbEUlT_E1_NS1_11comp_targetILNS1_3genE4ELNS1_11target_archE910ELNS1_3gpuE8ELNS1_3repE0EEENS1_30default_config_static_selectorELNS0_4arch9wavefront6targetE1EEEvSM_ ; -- Begin function _ZN7rocprim17ROCPRIM_400000_NS6detail17trampoline_kernelINS0_14default_configENS1_22reduce_config_selectorIlEEZNS1_11reduce_implILb1ES3_PlS7_lN6hipcub16HIPCUB_304000_NS6detail34convert_binary_result_type_wrapperINS9_3SumENS9_22TransformInputIteratorIb7NonZeroIaEPalEElEEEE10hipError_tPvRmT1_T2_T3_mT4_P12ihipStream_tbEUlT_E1_NS1_11comp_targetILNS1_3genE4ELNS1_11target_archE910ELNS1_3gpuE8ELNS1_3repE0EEENS1_30default_config_static_selectorELNS0_4arch9wavefront6targetE1EEEvSM_
	.globl	_ZN7rocprim17ROCPRIM_400000_NS6detail17trampoline_kernelINS0_14default_configENS1_22reduce_config_selectorIlEEZNS1_11reduce_implILb1ES3_PlS7_lN6hipcub16HIPCUB_304000_NS6detail34convert_binary_result_type_wrapperINS9_3SumENS9_22TransformInputIteratorIb7NonZeroIaEPalEElEEEE10hipError_tPvRmT1_T2_T3_mT4_P12ihipStream_tbEUlT_E1_NS1_11comp_targetILNS1_3genE4ELNS1_11target_archE910ELNS1_3gpuE8ELNS1_3repE0EEENS1_30default_config_static_selectorELNS0_4arch9wavefront6targetE1EEEvSM_
	.p2align	8
	.type	_ZN7rocprim17ROCPRIM_400000_NS6detail17trampoline_kernelINS0_14default_configENS1_22reduce_config_selectorIlEEZNS1_11reduce_implILb1ES3_PlS7_lN6hipcub16HIPCUB_304000_NS6detail34convert_binary_result_type_wrapperINS9_3SumENS9_22TransformInputIteratorIb7NonZeroIaEPalEElEEEE10hipError_tPvRmT1_T2_T3_mT4_P12ihipStream_tbEUlT_E1_NS1_11comp_targetILNS1_3genE4ELNS1_11target_archE910ELNS1_3gpuE8ELNS1_3repE0EEENS1_30default_config_static_selectorELNS0_4arch9wavefront6targetE1EEEvSM_,@function
_ZN7rocprim17ROCPRIM_400000_NS6detail17trampoline_kernelINS0_14default_configENS1_22reduce_config_selectorIlEEZNS1_11reduce_implILb1ES3_PlS7_lN6hipcub16HIPCUB_304000_NS6detail34convert_binary_result_type_wrapperINS9_3SumENS9_22TransformInputIteratorIb7NonZeroIaEPalEElEEEE10hipError_tPvRmT1_T2_T3_mT4_P12ihipStream_tbEUlT_E1_NS1_11comp_targetILNS1_3genE4ELNS1_11target_archE910ELNS1_3gpuE8ELNS1_3repE0EEENS1_30default_config_static_selectorELNS0_4arch9wavefront6targetE1EEEvSM_: ; @_ZN7rocprim17ROCPRIM_400000_NS6detail17trampoline_kernelINS0_14default_configENS1_22reduce_config_selectorIlEEZNS1_11reduce_implILb1ES3_PlS7_lN6hipcub16HIPCUB_304000_NS6detail34convert_binary_result_type_wrapperINS9_3SumENS9_22TransformInputIteratorIb7NonZeroIaEPalEElEEEE10hipError_tPvRmT1_T2_T3_mT4_P12ihipStream_tbEUlT_E1_NS1_11comp_targetILNS1_3genE4ELNS1_11target_archE910ELNS1_3gpuE8ELNS1_3repE0EEENS1_30default_config_static_selectorELNS0_4arch9wavefront6targetE1EEEvSM_
; %bb.0:
	.section	.rodata,"a",@progbits
	.p2align	6, 0x0
	.amdhsa_kernel _ZN7rocprim17ROCPRIM_400000_NS6detail17trampoline_kernelINS0_14default_configENS1_22reduce_config_selectorIlEEZNS1_11reduce_implILb1ES3_PlS7_lN6hipcub16HIPCUB_304000_NS6detail34convert_binary_result_type_wrapperINS9_3SumENS9_22TransformInputIteratorIb7NonZeroIaEPalEElEEEE10hipError_tPvRmT1_T2_T3_mT4_P12ihipStream_tbEUlT_E1_NS1_11comp_targetILNS1_3genE4ELNS1_11target_archE910ELNS1_3gpuE8ELNS1_3repE0EEENS1_30default_config_static_selectorELNS0_4arch9wavefront6targetE1EEEvSM_
		.amdhsa_group_segment_fixed_size 0
		.amdhsa_private_segment_fixed_size 0
		.amdhsa_kernarg_size 48
		.amdhsa_user_sgpr_count 6
		.amdhsa_user_sgpr_private_segment_buffer 1
		.amdhsa_user_sgpr_dispatch_ptr 0
		.amdhsa_user_sgpr_queue_ptr 0
		.amdhsa_user_sgpr_kernarg_segment_ptr 1
		.amdhsa_user_sgpr_dispatch_id 0
		.amdhsa_user_sgpr_flat_scratch_init 0
		.amdhsa_user_sgpr_private_segment_size 0
		.amdhsa_uses_dynamic_stack 0
		.amdhsa_system_sgpr_private_segment_wavefront_offset 0
		.amdhsa_system_sgpr_workgroup_id_x 1
		.amdhsa_system_sgpr_workgroup_id_y 0
		.amdhsa_system_sgpr_workgroup_id_z 0
		.amdhsa_system_sgpr_workgroup_info 0
		.amdhsa_system_vgpr_workitem_id 0
		.amdhsa_next_free_vgpr 1
		.amdhsa_next_free_sgpr 0
		.amdhsa_reserve_vcc 0
		.amdhsa_reserve_flat_scratch 0
		.amdhsa_float_round_mode_32 0
		.amdhsa_float_round_mode_16_64 0
		.amdhsa_float_denorm_mode_32 3
		.amdhsa_float_denorm_mode_16_64 3
		.amdhsa_dx10_clamp 1
		.amdhsa_ieee_mode 1
		.amdhsa_fp16_overflow 0
		.amdhsa_exception_fp_ieee_invalid_op 0
		.amdhsa_exception_fp_denorm_src 0
		.amdhsa_exception_fp_ieee_div_zero 0
		.amdhsa_exception_fp_ieee_overflow 0
		.amdhsa_exception_fp_ieee_underflow 0
		.amdhsa_exception_fp_ieee_inexact 0
		.amdhsa_exception_int_div_zero 0
	.end_amdhsa_kernel
	.section	.text._ZN7rocprim17ROCPRIM_400000_NS6detail17trampoline_kernelINS0_14default_configENS1_22reduce_config_selectorIlEEZNS1_11reduce_implILb1ES3_PlS7_lN6hipcub16HIPCUB_304000_NS6detail34convert_binary_result_type_wrapperINS9_3SumENS9_22TransformInputIteratorIb7NonZeroIaEPalEElEEEE10hipError_tPvRmT1_T2_T3_mT4_P12ihipStream_tbEUlT_E1_NS1_11comp_targetILNS1_3genE4ELNS1_11target_archE910ELNS1_3gpuE8ELNS1_3repE0EEENS1_30default_config_static_selectorELNS0_4arch9wavefront6targetE1EEEvSM_,"axG",@progbits,_ZN7rocprim17ROCPRIM_400000_NS6detail17trampoline_kernelINS0_14default_configENS1_22reduce_config_selectorIlEEZNS1_11reduce_implILb1ES3_PlS7_lN6hipcub16HIPCUB_304000_NS6detail34convert_binary_result_type_wrapperINS9_3SumENS9_22TransformInputIteratorIb7NonZeroIaEPalEElEEEE10hipError_tPvRmT1_T2_T3_mT4_P12ihipStream_tbEUlT_E1_NS1_11comp_targetILNS1_3genE4ELNS1_11target_archE910ELNS1_3gpuE8ELNS1_3repE0EEENS1_30default_config_static_selectorELNS0_4arch9wavefront6targetE1EEEvSM_,comdat
.Lfunc_end11:
	.size	_ZN7rocprim17ROCPRIM_400000_NS6detail17trampoline_kernelINS0_14default_configENS1_22reduce_config_selectorIlEEZNS1_11reduce_implILb1ES3_PlS7_lN6hipcub16HIPCUB_304000_NS6detail34convert_binary_result_type_wrapperINS9_3SumENS9_22TransformInputIteratorIb7NonZeroIaEPalEElEEEE10hipError_tPvRmT1_T2_T3_mT4_P12ihipStream_tbEUlT_E1_NS1_11comp_targetILNS1_3genE4ELNS1_11target_archE910ELNS1_3gpuE8ELNS1_3repE0EEENS1_30default_config_static_selectorELNS0_4arch9wavefront6targetE1EEEvSM_, .Lfunc_end11-_ZN7rocprim17ROCPRIM_400000_NS6detail17trampoline_kernelINS0_14default_configENS1_22reduce_config_selectorIlEEZNS1_11reduce_implILb1ES3_PlS7_lN6hipcub16HIPCUB_304000_NS6detail34convert_binary_result_type_wrapperINS9_3SumENS9_22TransformInputIteratorIb7NonZeroIaEPalEElEEEE10hipError_tPvRmT1_T2_T3_mT4_P12ihipStream_tbEUlT_E1_NS1_11comp_targetILNS1_3genE4ELNS1_11target_archE910ELNS1_3gpuE8ELNS1_3repE0EEENS1_30default_config_static_selectorELNS0_4arch9wavefront6targetE1EEEvSM_
                                        ; -- End function
	.set _ZN7rocprim17ROCPRIM_400000_NS6detail17trampoline_kernelINS0_14default_configENS1_22reduce_config_selectorIlEEZNS1_11reduce_implILb1ES3_PlS7_lN6hipcub16HIPCUB_304000_NS6detail34convert_binary_result_type_wrapperINS9_3SumENS9_22TransformInputIteratorIb7NonZeroIaEPalEElEEEE10hipError_tPvRmT1_T2_T3_mT4_P12ihipStream_tbEUlT_E1_NS1_11comp_targetILNS1_3genE4ELNS1_11target_archE910ELNS1_3gpuE8ELNS1_3repE0EEENS1_30default_config_static_selectorELNS0_4arch9wavefront6targetE1EEEvSM_.num_vgpr, 0
	.set _ZN7rocprim17ROCPRIM_400000_NS6detail17trampoline_kernelINS0_14default_configENS1_22reduce_config_selectorIlEEZNS1_11reduce_implILb1ES3_PlS7_lN6hipcub16HIPCUB_304000_NS6detail34convert_binary_result_type_wrapperINS9_3SumENS9_22TransformInputIteratorIb7NonZeroIaEPalEElEEEE10hipError_tPvRmT1_T2_T3_mT4_P12ihipStream_tbEUlT_E1_NS1_11comp_targetILNS1_3genE4ELNS1_11target_archE910ELNS1_3gpuE8ELNS1_3repE0EEENS1_30default_config_static_selectorELNS0_4arch9wavefront6targetE1EEEvSM_.num_agpr, 0
	.set _ZN7rocprim17ROCPRIM_400000_NS6detail17trampoline_kernelINS0_14default_configENS1_22reduce_config_selectorIlEEZNS1_11reduce_implILb1ES3_PlS7_lN6hipcub16HIPCUB_304000_NS6detail34convert_binary_result_type_wrapperINS9_3SumENS9_22TransformInputIteratorIb7NonZeroIaEPalEElEEEE10hipError_tPvRmT1_T2_T3_mT4_P12ihipStream_tbEUlT_E1_NS1_11comp_targetILNS1_3genE4ELNS1_11target_archE910ELNS1_3gpuE8ELNS1_3repE0EEENS1_30default_config_static_selectorELNS0_4arch9wavefront6targetE1EEEvSM_.numbered_sgpr, 0
	.set _ZN7rocprim17ROCPRIM_400000_NS6detail17trampoline_kernelINS0_14default_configENS1_22reduce_config_selectorIlEEZNS1_11reduce_implILb1ES3_PlS7_lN6hipcub16HIPCUB_304000_NS6detail34convert_binary_result_type_wrapperINS9_3SumENS9_22TransformInputIteratorIb7NonZeroIaEPalEElEEEE10hipError_tPvRmT1_T2_T3_mT4_P12ihipStream_tbEUlT_E1_NS1_11comp_targetILNS1_3genE4ELNS1_11target_archE910ELNS1_3gpuE8ELNS1_3repE0EEENS1_30default_config_static_selectorELNS0_4arch9wavefront6targetE1EEEvSM_.num_named_barrier, 0
	.set _ZN7rocprim17ROCPRIM_400000_NS6detail17trampoline_kernelINS0_14default_configENS1_22reduce_config_selectorIlEEZNS1_11reduce_implILb1ES3_PlS7_lN6hipcub16HIPCUB_304000_NS6detail34convert_binary_result_type_wrapperINS9_3SumENS9_22TransformInputIteratorIb7NonZeroIaEPalEElEEEE10hipError_tPvRmT1_T2_T3_mT4_P12ihipStream_tbEUlT_E1_NS1_11comp_targetILNS1_3genE4ELNS1_11target_archE910ELNS1_3gpuE8ELNS1_3repE0EEENS1_30default_config_static_selectorELNS0_4arch9wavefront6targetE1EEEvSM_.private_seg_size, 0
	.set _ZN7rocprim17ROCPRIM_400000_NS6detail17trampoline_kernelINS0_14default_configENS1_22reduce_config_selectorIlEEZNS1_11reduce_implILb1ES3_PlS7_lN6hipcub16HIPCUB_304000_NS6detail34convert_binary_result_type_wrapperINS9_3SumENS9_22TransformInputIteratorIb7NonZeroIaEPalEElEEEE10hipError_tPvRmT1_T2_T3_mT4_P12ihipStream_tbEUlT_E1_NS1_11comp_targetILNS1_3genE4ELNS1_11target_archE910ELNS1_3gpuE8ELNS1_3repE0EEENS1_30default_config_static_selectorELNS0_4arch9wavefront6targetE1EEEvSM_.uses_vcc, 0
	.set _ZN7rocprim17ROCPRIM_400000_NS6detail17trampoline_kernelINS0_14default_configENS1_22reduce_config_selectorIlEEZNS1_11reduce_implILb1ES3_PlS7_lN6hipcub16HIPCUB_304000_NS6detail34convert_binary_result_type_wrapperINS9_3SumENS9_22TransformInputIteratorIb7NonZeroIaEPalEElEEEE10hipError_tPvRmT1_T2_T3_mT4_P12ihipStream_tbEUlT_E1_NS1_11comp_targetILNS1_3genE4ELNS1_11target_archE910ELNS1_3gpuE8ELNS1_3repE0EEENS1_30default_config_static_selectorELNS0_4arch9wavefront6targetE1EEEvSM_.uses_flat_scratch, 0
	.set _ZN7rocprim17ROCPRIM_400000_NS6detail17trampoline_kernelINS0_14default_configENS1_22reduce_config_selectorIlEEZNS1_11reduce_implILb1ES3_PlS7_lN6hipcub16HIPCUB_304000_NS6detail34convert_binary_result_type_wrapperINS9_3SumENS9_22TransformInputIteratorIb7NonZeroIaEPalEElEEEE10hipError_tPvRmT1_T2_T3_mT4_P12ihipStream_tbEUlT_E1_NS1_11comp_targetILNS1_3genE4ELNS1_11target_archE910ELNS1_3gpuE8ELNS1_3repE0EEENS1_30default_config_static_selectorELNS0_4arch9wavefront6targetE1EEEvSM_.has_dyn_sized_stack, 0
	.set _ZN7rocprim17ROCPRIM_400000_NS6detail17trampoline_kernelINS0_14default_configENS1_22reduce_config_selectorIlEEZNS1_11reduce_implILb1ES3_PlS7_lN6hipcub16HIPCUB_304000_NS6detail34convert_binary_result_type_wrapperINS9_3SumENS9_22TransformInputIteratorIb7NonZeroIaEPalEElEEEE10hipError_tPvRmT1_T2_T3_mT4_P12ihipStream_tbEUlT_E1_NS1_11comp_targetILNS1_3genE4ELNS1_11target_archE910ELNS1_3gpuE8ELNS1_3repE0EEENS1_30default_config_static_selectorELNS0_4arch9wavefront6targetE1EEEvSM_.has_recursion, 0
	.set _ZN7rocprim17ROCPRIM_400000_NS6detail17trampoline_kernelINS0_14default_configENS1_22reduce_config_selectorIlEEZNS1_11reduce_implILb1ES3_PlS7_lN6hipcub16HIPCUB_304000_NS6detail34convert_binary_result_type_wrapperINS9_3SumENS9_22TransformInputIteratorIb7NonZeroIaEPalEElEEEE10hipError_tPvRmT1_T2_T3_mT4_P12ihipStream_tbEUlT_E1_NS1_11comp_targetILNS1_3genE4ELNS1_11target_archE910ELNS1_3gpuE8ELNS1_3repE0EEENS1_30default_config_static_selectorELNS0_4arch9wavefront6targetE1EEEvSM_.has_indirect_call, 0
	.section	.AMDGPU.csdata,"",@progbits
; Kernel info:
; codeLenInByte = 0
; TotalNumSgprs: 4
; NumVgprs: 0
; ScratchSize: 0
; MemoryBound: 0
; FloatMode: 240
; IeeeMode: 1
; LDSByteSize: 0 bytes/workgroup (compile time only)
; SGPRBlocks: 0
; VGPRBlocks: 0
; NumSGPRsForWavesPerEU: 4
; NumVGPRsForWavesPerEU: 1
; Occupancy: 10
; WaveLimiterHint : 0
; COMPUTE_PGM_RSRC2:SCRATCH_EN: 0
; COMPUTE_PGM_RSRC2:USER_SGPR: 6
; COMPUTE_PGM_RSRC2:TRAP_HANDLER: 0
; COMPUTE_PGM_RSRC2:TGID_X_EN: 1
; COMPUTE_PGM_RSRC2:TGID_Y_EN: 0
; COMPUTE_PGM_RSRC2:TGID_Z_EN: 0
; COMPUTE_PGM_RSRC2:TIDIG_COMP_CNT: 0
	.section	.text._ZN7rocprim17ROCPRIM_400000_NS6detail17trampoline_kernelINS0_14default_configENS1_22reduce_config_selectorIlEEZNS1_11reduce_implILb1ES3_PlS7_lN6hipcub16HIPCUB_304000_NS6detail34convert_binary_result_type_wrapperINS9_3SumENS9_22TransformInputIteratorIb7NonZeroIaEPalEElEEEE10hipError_tPvRmT1_T2_T3_mT4_P12ihipStream_tbEUlT_E1_NS1_11comp_targetILNS1_3genE3ELNS1_11target_archE908ELNS1_3gpuE7ELNS1_3repE0EEENS1_30default_config_static_selectorELNS0_4arch9wavefront6targetE1EEEvSM_,"axG",@progbits,_ZN7rocprim17ROCPRIM_400000_NS6detail17trampoline_kernelINS0_14default_configENS1_22reduce_config_selectorIlEEZNS1_11reduce_implILb1ES3_PlS7_lN6hipcub16HIPCUB_304000_NS6detail34convert_binary_result_type_wrapperINS9_3SumENS9_22TransformInputIteratorIb7NonZeroIaEPalEElEEEE10hipError_tPvRmT1_T2_T3_mT4_P12ihipStream_tbEUlT_E1_NS1_11comp_targetILNS1_3genE3ELNS1_11target_archE908ELNS1_3gpuE7ELNS1_3repE0EEENS1_30default_config_static_selectorELNS0_4arch9wavefront6targetE1EEEvSM_,comdat
	.protected	_ZN7rocprim17ROCPRIM_400000_NS6detail17trampoline_kernelINS0_14default_configENS1_22reduce_config_selectorIlEEZNS1_11reduce_implILb1ES3_PlS7_lN6hipcub16HIPCUB_304000_NS6detail34convert_binary_result_type_wrapperINS9_3SumENS9_22TransformInputIteratorIb7NonZeroIaEPalEElEEEE10hipError_tPvRmT1_T2_T3_mT4_P12ihipStream_tbEUlT_E1_NS1_11comp_targetILNS1_3genE3ELNS1_11target_archE908ELNS1_3gpuE7ELNS1_3repE0EEENS1_30default_config_static_selectorELNS0_4arch9wavefront6targetE1EEEvSM_ ; -- Begin function _ZN7rocprim17ROCPRIM_400000_NS6detail17trampoline_kernelINS0_14default_configENS1_22reduce_config_selectorIlEEZNS1_11reduce_implILb1ES3_PlS7_lN6hipcub16HIPCUB_304000_NS6detail34convert_binary_result_type_wrapperINS9_3SumENS9_22TransformInputIteratorIb7NonZeroIaEPalEElEEEE10hipError_tPvRmT1_T2_T3_mT4_P12ihipStream_tbEUlT_E1_NS1_11comp_targetILNS1_3genE3ELNS1_11target_archE908ELNS1_3gpuE7ELNS1_3repE0EEENS1_30default_config_static_selectorELNS0_4arch9wavefront6targetE1EEEvSM_
	.globl	_ZN7rocprim17ROCPRIM_400000_NS6detail17trampoline_kernelINS0_14default_configENS1_22reduce_config_selectorIlEEZNS1_11reduce_implILb1ES3_PlS7_lN6hipcub16HIPCUB_304000_NS6detail34convert_binary_result_type_wrapperINS9_3SumENS9_22TransformInputIteratorIb7NonZeroIaEPalEElEEEE10hipError_tPvRmT1_T2_T3_mT4_P12ihipStream_tbEUlT_E1_NS1_11comp_targetILNS1_3genE3ELNS1_11target_archE908ELNS1_3gpuE7ELNS1_3repE0EEENS1_30default_config_static_selectorELNS0_4arch9wavefront6targetE1EEEvSM_
	.p2align	8
	.type	_ZN7rocprim17ROCPRIM_400000_NS6detail17trampoline_kernelINS0_14default_configENS1_22reduce_config_selectorIlEEZNS1_11reduce_implILb1ES3_PlS7_lN6hipcub16HIPCUB_304000_NS6detail34convert_binary_result_type_wrapperINS9_3SumENS9_22TransformInputIteratorIb7NonZeroIaEPalEElEEEE10hipError_tPvRmT1_T2_T3_mT4_P12ihipStream_tbEUlT_E1_NS1_11comp_targetILNS1_3genE3ELNS1_11target_archE908ELNS1_3gpuE7ELNS1_3repE0EEENS1_30default_config_static_selectorELNS0_4arch9wavefront6targetE1EEEvSM_,@function
_ZN7rocprim17ROCPRIM_400000_NS6detail17trampoline_kernelINS0_14default_configENS1_22reduce_config_selectorIlEEZNS1_11reduce_implILb1ES3_PlS7_lN6hipcub16HIPCUB_304000_NS6detail34convert_binary_result_type_wrapperINS9_3SumENS9_22TransformInputIteratorIb7NonZeroIaEPalEElEEEE10hipError_tPvRmT1_T2_T3_mT4_P12ihipStream_tbEUlT_E1_NS1_11comp_targetILNS1_3genE3ELNS1_11target_archE908ELNS1_3gpuE7ELNS1_3repE0EEENS1_30default_config_static_selectorELNS0_4arch9wavefront6targetE1EEEvSM_: ; @_ZN7rocprim17ROCPRIM_400000_NS6detail17trampoline_kernelINS0_14default_configENS1_22reduce_config_selectorIlEEZNS1_11reduce_implILb1ES3_PlS7_lN6hipcub16HIPCUB_304000_NS6detail34convert_binary_result_type_wrapperINS9_3SumENS9_22TransformInputIteratorIb7NonZeroIaEPalEElEEEE10hipError_tPvRmT1_T2_T3_mT4_P12ihipStream_tbEUlT_E1_NS1_11comp_targetILNS1_3genE3ELNS1_11target_archE908ELNS1_3gpuE7ELNS1_3repE0EEENS1_30default_config_static_selectorELNS0_4arch9wavefront6targetE1EEEvSM_
; %bb.0:
	.section	.rodata,"a",@progbits
	.p2align	6, 0x0
	.amdhsa_kernel _ZN7rocprim17ROCPRIM_400000_NS6detail17trampoline_kernelINS0_14default_configENS1_22reduce_config_selectorIlEEZNS1_11reduce_implILb1ES3_PlS7_lN6hipcub16HIPCUB_304000_NS6detail34convert_binary_result_type_wrapperINS9_3SumENS9_22TransformInputIteratorIb7NonZeroIaEPalEElEEEE10hipError_tPvRmT1_T2_T3_mT4_P12ihipStream_tbEUlT_E1_NS1_11comp_targetILNS1_3genE3ELNS1_11target_archE908ELNS1_3gpuE7ELNS1_3repE0EEENS1_30default_config_static_selectorELNS0_4arch9wavefront6targetE1EEEvSM_
		.amdhsa_group_segment_fixed_size 0
		.amdhsa_private_segment_fixed_size 0
		.amdhsa_kernarg_size 48
		.amdhsa_user_sgpr_count 6
		.amdhsa_user_sgpr_private_segment_buffer 1
		.amdhsa_user_sgpr_dispatch_ptr 0
		.amdhsa_user_sgpr_queue_ptr 0
		.amdhsa_user_sgpr_kernarg_segment_ptr 1
		.amdhsa_user_sgpr_dispatch_id 0
		.amdhsa_user_sgpr_flat_scratch_init 0
		.amdhsa_user_sgpr_private_segment_size 0
		.amdhsa_uses_dynamic_stack 0
		.amdhsa_system_sgpr_private_segment_wavefront_offset 0
		.amdhsa_system_sgpr_workgroup_id_x 1
		.amdhsa_system_sgpr_workgroup_id_y 0
		.amdhsa_system_sgpr_workgroup_id_z 0
		.amdhsa_system_sgpr_workgroup_info 0
		.amdhsa_system_vgpr_workitem_id 0
		.amdhsa_next_free_vgpr 1
		.amdhsa_next_free_sgpr 0
		.amdhsa_reserve_vcc 0
		.amdhsa_reserve_flat_scratch 0
		.amdhsa_float_round_mode_32 0
		.amdhsa_float_round_mode_16_64 0
		.amdhsa_float_denorm_mode_32 3
		.amdhsa_float_denorm_mode_16_64 3
		.amdhsa_dx10_clamp 1
		.amdhsa_ieee_mode 1
		.amdhsa_fp16_overflow 0
		.amdhsa_exception_fp_ieee_invalid_op 0
		.amdhsa_exception_fp_denorm_src 0
		.amdhsa_exception_fp_ieee_div_zero 0
		.amdhsa_exception_fp_ieee_overflow 0
		.amdhsa_exception_fp_ieee_underflow 0
		.amdhsa_exception_fp_ieee_inexact 0
		.amdhsa_exception_int_div_zero 0
	.end_amdhsa_kernel
	.section	.text._ZN7rocprim17ROCPRIM_400000_NS6detail17trampoline_kernelINS0_14default_configENS1_22reduce_config_selectorIlEEZNS1_11reduce_implILb1ES3_PlS7_lN6hipcub16HIPCUB_304000_NS6detail34convert_binary_result_type_wrapperINS9_3SumENS9_22TransformInputIteratorIb7NonZeroIaEPalEElEEEE10hipError_tPvRmT1_T2_T3_mT4_P12ihipStream_tbEUlT_E1_NS1_11comp_targetILNS1_3genE3ELNS1_11target_archE908ELNS1_3gpuE7ELNS1_3repE0EEENS1_30default_config_static_selectorELNS0_4arch9wavefront6targetE1EEEvSM_,"axG",@progbits,_ZN7rocprim17ROCPRIM_400000_NS6detail17trampoline_kernelINS0_14default_configENS1_22reduce_config_selectorIlEEZNS1_11reduce_implILb1ES3_PlS7_lN6hipcub16HIPCUB_304000_NS6detail34convert_binary_result_type_wrapperINS9_3SumENS9_22TransformInputIteratorIb7NonZeroIaEPalEElEEEE10hipError_tPvRmT1_T2_T3_mT4_P12ihipStream_tbEUlT_E1_NS1_11comp_targetILNS1_3genE3ELNS1_11target_archE908ELNS1_3gpuE7ELNS1_3repE0EEENS1_30default_config_static_selectorELNS0_4arch9wavefront6targetE1EEEvSM_,comdat
.Lfunc_end12:
	.size	_ZN7rocprim17ROCPRIM_400000_NS6detail17trampoline_kernelINS0_14default_configENS1_22reduce_config_selectorIlEEZNS1_11reduce_implILb1ES3_PlS7_lN6hipcub16HIPCUB_304000_NS6detail34convert_binary_result_type_wrapperINS9_3SumENS9_22TransformInputIteratorIb7NonZeroIaEPalEElEEEE10hipError_tPvRmT1_T2_T3_mT4_P12ihipStream_tbEUlT_E1_NS1_11comp_targetILNS1_3genE3ELNS1_11target_archE908ELNS1_3gpuE7ELNS1_3repE0EEENS1_30default_config_static_selectorELNS0_4arch9wavefront6targetE1EEEvSM_, .Lfunc_end12-_ZN7rocprim17ROCPRIM_400000_NS6detail17trampoline_kernelINS0_14default_configENS1_22reduce_config_selectorIlEEZNS1_11reduce_implILb1ES3_PlS7_lN6hipcub16HIPCUB_304000_NS6detail34convert_binary_result_type_wrapperINS9_3SumENS9_22TransformInputIteratorIb7NonZeroIaEPalEElEEEE10hipError_tPvRmT1_T2_T3_mT4_P12ihipStream_tbEUlT_E1_NS1_11comp_targetILNS1_3genE3ELNS1_11target_archE908ELNS1_3gpuE7ELNS1_3repE0EEENS1_30default_config_static_selectorELNS0_4arch9wavefront6targetE1EEEvSM_
                                        ; -- End function
	.set _ZN7rocprim17ROCPRIM_400000_NS6detail17trampoline_kernelINS0_14default_configENS1_22reduce_config_selectorIlEEZNS1_11reduce_implILb1ES3_PlS7_lN6hipcub16HIPCUB_304000_NS6detail34convert_binary_result_type_wrapperINS9_3SumENS9_22TransformInputIteratorIb7NonZeroIaEPalEElEEEE10hipError_tPvRmT1_T2_T3_mT4_P12ihipStream_tbEUlT_E1_NS1_11comp_targetILNS1_3genE3ELNS1_11target_archE908ELNS1_3gpuE7ELNS1_3repE0EEENS1_30default_config_static_selectorELNS0_4arch9wavefront6targetE1EEEvSM_.num_vgpr, 0
	.set _ZN7rocprim17ROCPRIM_400000_NS6detail17trampoline_kernelINS0_14default_configENS1_22reduce_config_selectorIlEEZNS1_11reduce_implILb1ES3_PlS7_lN6hipcub16HIPCUB_304000_NS6detail34convert_binary_result_type_wrapperINS9_3SumENS9_22TransformInputIteratorIb7NonZeroIaEPalEElEEEE10hipError_tPvRmT1_T2_T3_mT4_P12ihipStream_tbEUlT_E1_NS1_11comp_targetILNS1_3genE3ELNS1_11target_archE908ELNS1_3gpuE7ELNS1_3repE0EEENS1_30default_config_static_selectorELNS0_4arch9wavefront6targetE1EEEvSM_.num_agpr, 0
	.set _ZN7rocprim17ROCPRIM_400000_NS6detail17trampoline_kernelINS0_14default_configENS1_22reduce_config_selectorIlEEZNS1_11reduce_implILb1ES3_PlS7_lN6hipcub16HIPCUB_304000_NS6detail34convert_binary_result_type_wrapperINS9_3SumENS9_22TransformInputIteratorIb7NonZeroIaEPalEElEEEE10hipError_tPvRmT1_T2_T3_mT4_P12ihipStream_tbEUlT_E1_NS1_11comp_targetILNS1_3genE3ELNS1_11target_archE908ELNS1_3gpuE7ELNS1_3repE0EEENS1_30default_config_static_selectorELNS0_4arch9wavefront6targetE1EEEvSM_.numbered_sgpr, 0
	.set _ZN7rocprim17ROCPRIM_400000_NS6detail17trampoline_kernelINS0_14default_configENS1_22reduce_config_selectorIlEEZNS1_11reduce_implILb1ES3_PlS7_lN6hipcub16HIPCUB_304000_NS6detail34convert_binary_result_type_wrapperINS9_3SumENS9_22TransformInputIteratorIb7NonZeroIaEPalEElEEEE10hipError_tPvRmT1_T2_T3_mT4_P12ihipStream_tbEUlT_E1_NS1_11comp_targetILNS1_3genE3ELNS1_11target_archE908ELNS1_3gpuE7ELNS1_3repE0EEENS1_30default_config_static_selectorELNS0_4arch9wavefront6targetE1EEEvSM_.num_named_barrier, 0
	.set _ZN7rocprim17ROCPRIM_400000_NS6detail17trampoline_kernelINS0_14default_configENS1_22reduce_config_selectorIlEEZNS1_11reduce_implILb1ES3_PlS7_lN6hipcub16HIPCUB_304000_NS6detail34convert_binary_result_type_wrapperINS9_3SumENS9_22TransformInputIteratorIb7NonZeroIaEPalEElEEEE10hipError_tPvRmT1_T2_T3_mT4_P12ihipStream_tbEUlT_E1_NS1_11comp_targetILNS1_3genE3ELNS1_11target_archE908ELNS1_3gpuE7ELNS1_3repE0EEENS1_30default_config_static_selectorELNS0_4arch9wavefront6targetE1EEEvSM_.private_seg_size, 0
	.set _ZN7rocprim17ROCPRIM_400000_NS6detail17trampoline_kernelINS0_14default_configENS1_22reduce_config_selectorIlEEZNS1_11reduce_implILb1ES3_PlS7_lN6hipcub16HIPCUB_304000_NS6detail34convert_binary_result_type_wrapperINS9_3SumENS9_22TransformInputIteratorIb7NonZeroIaEPalEElEEEE10hipError_tPvRmT1_T2_T3_mT4_P12ihipStream_tbEUlT_E1_NS1_11comp_targetILNS1_3genE3ELNS1_11target_archE908ELNS1_3gpuE7ELNS1_3repE0EEENS1_30default_config_static_selectorELNS0_4arch9wavefront6targetE1EEEvSM_.uses_vcc, 0
	.set _ZN7rocprim17ROCPRIM_400000_NS6detail17trampoline_kernelINS0_14default_configENS1_22reduce_config_selectorIlEEZNS1_11reduce_implILb1ES3_PlS7_lN6hipcub16HIPCUB_304000_NS6detail34convert_binary_result_type_wrapperINS9_3SumENS9_22TransformInputIteratorIb7NonZeroIaEPalEElEEEE10hipError_tPvRmT1_T2_T3_mT4_P12ihipStream_tbEUlT_E1_NS1_11comp_targetILNS1_3genE3ELNS1_11target_archE908ELNS1_3gpuE7ELNS1_3repE0EEENS1_30default_config_static_selectorELNS0_4arch9wavefront6targetE1EEEvSM_.uses_flat_scratch, 0
	.set _ZN7rocprim17ROCPRIM_400000_NS6detail17trampoline_kernelINS0_14default_configENS1_22reduce_config_selectorIlEEZNS1_11reduce_implILb1ES3_PlS7_lN6hipcub16HIPCUB_304000_NS6detail34convert_binary_result_type_wrapperINS9_3SumENS9_22TransformInputIteratorIb7NonZeroIaEPalEElEEEE10hipError_tPvRmT1_T2_T3_mT4_P12ihipStream_tbEUlT_E1_NS1_11comp_targetILNS1_3genE3ELNS1_11target_archE908ELNS1_3gpuE7ELNS1_3repE0EEENS1_30default_config_static_selectorELNS0_4arch9wavefront6targetE1EEEvSM_.has_dyn_sized_stack, 0
	.set _ZN7rocprim17ROCPRIM_400000_NS6detail17trampoline_kernelINS0_14default_configENS1_22reduce_config_selectorIlEEZNS1_11reduce_implILb1ES3_PlS7_lN6hipcub16HIPCUB_304000_NS6detail34convert_binary_result_type_wrapperINS9_3SumENS9_22TransformInputIteratorIb7NonZeroIaEPalEElEEEE10hipError_tPvRmT1_T2_T3_mT4_P12ihipStream_tbEUlT_E1_NS1_11comp_targetILNS1_3genE3ELNS1_11target_archE908ELNS1_3gpuE7ELNS1_3repE0EEENS1_30default_config_static_selectorELNS0_4arch9wavefront6targetE1EEEvSM_.has_recursion, 0
	.set _ZN7rocprim17ROCPRIM_400000_NS6detail17trampoline_kernelINS0_14default_configENS1_22reduce_config_selectorIlEEZNS1_11reduce_implILb1ES3_PlS7_lN6hipcub16HIPCUB_304000_NS6detail34convert_binary_result_type_wrapperINS9_3SumENS9_22TransformInputIteratorIb7NonZeroIaEPalEElEEEE10hipError_tPvRmT1_T2_T3_mT4_P12ihipStream_tbEUlT_E1_NS1_11comp_targetILNS1_3genE3ELNS1_11target_archE908ELNS1_3gpuE7ELNS1_3repE0EEENS1_30default_config_static_selectorELNS0_4arch9wavefront6targetE1EEEvSM_.has_indirect_call, 0
	.section	.AMDGPU.csdata,"",@progbits
; Kernel info:
; codeLenInByte = 0
; TotalNumSgprs: 4
; NumVgprs: 0
; ScratchSize: 0
; MemoryBound: 0
; FloatMode: 240
; IeeeMode: 1
; LDSByteSize: 0 bytes/workgroup (compile time only)
; SGPRBlocks: 0
; VGPRBlocks: 0
; NumSGPRsForWavesPerEU: 4
; NumVGPRsForWavesPerEU: 1
; Occupancy: 10
; WaveLimiterHint : 0
; COMPUTE_PGM_RSRC2:SCRATCH_EN: 0
; COMPUTE_PGM_RSRC2:USER_SGPR: 6
; COMPUTE_PGM_RSRC2:TRAP_HANDLER: 0
; COMPUTE_PGM_RSRC2:TGID_X_EN: 1
; COMPUTE_PGM_RSRC2:TGID_Y_EN: 0
; COMPUTE_PGM_RSRC2:TGID_Z_EN: 0
; COMPUTE_PGM_RSRC2:TIDIG_COMP_CNT: 0
	.section	.text._ZN7rocprim17ROCPRIM_400000_NS6detail17trampoline_kernelINS0_14default_configENS1_22reduce_config_selectorIlEEZNS1_11reduce_implILb1ES3_PlS7_lN6hipcub16HIPCUB_304000_NS6detail34convert_binary_result_type_wrapperINS9_3SumENS9_22TransformInputIteratorIb7NonZeroIaEPalEElEEEE10hipError_tPvRmT1_T2_T3_mT4_P12ihipStream_tbEUlT_E1_NS1_11comp_targetILNS1_3genE2ELNS1_11target_archE906ELNS1_3gpuE6ELNS1_3repE0EEENS1_30default_config_static_selectorELNS0_4arch9wavefront6targetE1EEEvSM_,"axG",@progbits,_ZN7rocprim17ROCPRIM_400000_NS6detail17trampoline_kernelINS0_14default_configENS1_22reduce_config_selectorIlEEZNS1_11reduce_implILb1ES3_PlS7_lN6hipcub16HIPCUB_304000_NS6detail34convert_binary_result_type_wrapperINS9_3SumENS9_22TransformInputIteratorIb7NonZeroIaEPalEElEEEE10hipError_tPvRmT1_T2_T3_mT4_P12ihipStream_tbEUlT_E1_NS1_11comp_targetILNS1_3genE2ELNS1_11target_archE906ELNS1_3gpuE6ELNS1_3repE0EEENS1_30default_config_static_selectorELNS0_4arch9wavefront6targetE1EEEvSM_,comdat
	.protected	_ZN7rocprim17ROCPRIM_400000_NS6detail17trampoline_kernelINS0_14default_configENS1_22reduce_config_selectorIlEEZNS1_11reduce_implILb1ES3_PlS7_lN6hipcub16HIPCUB_304000_NS6detail34convert_binary_result_type_wrapperINS9_3SumENS9_22TransformInputIteratorIb7NonZeroIaEPalEElEEEE10hipError_tPvRmT1_T2_T3_mT4_P12ihipStream_tbEUlT_E1_NS1_11comp_targetILNS1_3genE2ELNS1_11target_archE906ELNS1_3gpuE6ELNS1_3repE0EEENS1_30default_config_static_selectorELNS0_4arch9wavefront6targetE1EEEvSM_ ; -- Begin function _ZN7rocprim17ROCPRIM_400000_NS6detail17trampoline_kernelINS0_14default_configENS1_22reduce_config_selectorIlEEZNS1_11reduce_implILb1ES3_PlS7_lN6hipcub16HIPCUB_304000_NS6detail34convert_binary_result_type_wrapperINS9_3SumENS9_22TransformInputIteratorIb7NonZeroIaEPalEElEEEE10hipError_tPvRmT1_T2_T3_mT4_P12ihipStream_tbEUlT_E1_NS1_11comp_targetILNS1_3genE2ELNS1_11target_archE906ELNS1_3gpuE6ELNS1_3repE0EEENS1_30default_config_static_selectorELNS0_4arch9wavefront6targetE1EEEvSM_
	.globl	_ZN7rocprim17ROCPRIM_400000_NS6detail17trampoline_kernelINS0_14default_configENS1_22reduce_config_selectorIlEEZNS1_11reduce_implILb1ES3_PlS7_lN6hipcub16HIPCUB_304000_NS6detail34convert_binary_result_type_wrapperINS9_3SumENS9_22TransformInputIteratorIb7NonZeroIaEPalEElEEEE10hipError_tPvRmT1_T2_T3_mT4_P12ihipStream_tbEUlT_E1_NS1_11comp_targetILNS1_3genE2ELNS1_11target_archE906ELNS1_3gpuE6ELNS1_3repE0EEENS1_30default_config_static_selectorELNS0_4arch9wavefront6targetE1EEEvSM_
	.p2align	8
	.type	_ZN7rocprim17ROCPRIM_400000_NS6detail17trampoline_kernelINS0_14default_configENS1_22reduce_config_selectorIlEEZNS1_11reduce_implILb1ES3_PlS7_lN6hipcub16HIPCUB_304000_NS6detail34convert_binary_result_type_wrapperINS9_3SumENS9_22TransformInputIteratorIb7NonZeroIaEPalEElEEEE10hipError_tPvRmT1_T2_T3_mT4_P12ihipStream_tbEUlT_E1_NS1_11comp_targetILNS1_3genE2ELNS1_11target_archE906ELNS1_3gpuE6ELNS1_3repE0EEENS1_30default_config_static_selectorELNS0_4arch9wavefront6targetE1EEEvSM_,@function
_ZN7rocprim17ROCPRIM_400000_NS6detail17trampoline_kernelINS0_14default_configENS1_22reduce_config_selectorIlEEZNS1_11reduce_implILb1ES3_PlS7_lN6hipcub16HIPCUB_304000_NS6detail34convert_binary_result_type_wrapperINS9_3SumENS9_22TransformInputIteratorIb7NonZeroIaEPalEElEEEE10hipError_tPvRmT1_T2_T3_mT4_P12ihipStream_tbEUlT_E1_NS1_11comp_targetILNS1_3genE2ELNS1_11target_archE906ELNS1_3gpuE6ELNS1_3repE0EEENS1_30default_config_static_selectorELNS0_4arch9wavefront6targetE1EEEvSM_: ; @_ZN7rocprim17ROCPRIM_400000_NS6detail17trampoline_kernelINS0_14default_configENS1_22reduce_config_selectorIlEEZNS1_11reduce_implILb1ES3_PlS7_lN6hipcub16HIPCUB_304000_NS6detail34convert_binary_result_type_wrapperINS9_3SumENS9_22TransformInputIteratorIb7NonZeroIaEPalEElEEEE10hipError_tPvRmT1_T2_T3_mT4_P12ihipStream_tbEUlT_E1_NS1_11comp_targetILNS1_3genE2ELNS1_11target_archE906ELNS1_3gpuE6ELNS1_3repE0EEENS1_30default_config_static_selectorELNS0_4arch9wavefront6targetE1EEEvSM_
; %bb.0:
	s_load_dword s26, s[4:5], 0x4
	s_load_dwordx8 s[16:23], s[4:5], 0x8
	s_waitcnt lgkmcnt(0)
	s_cmp_lt_i32 s26, 4
	s_cbranch_scc1 .LBB13_10
; %bb.1:
	s_cmp_gt_i32 s26, 7
	s_cbranch_scc0 .LBB13_11
; %bb.2:
	s_cmp_gt_i32 s26, 15
	s_cbranch_scc0 .LBB13_12
; %bb.3:
	s_mov_b64 s[0:1], 0
	s_cmp_eq_u32 s26, 16
	s_mov_b64 s[2:3], 0
                                        ; implicit-def: $vgpr1_vgpr2
                                        ; implicit-def: $vgpr3_vgpr4
	s_cbranch_scc0 .LBB13_13
; %bb.4:
	s_mov_b32 s7, 0
	s_lshl_b32 s4, s6, 12
	s_mov_b32 s5, s7
	s_lshr_b64 s[8:9], s[18:19], 12
	s_lshl_b64 s[2:3], s[4:5], 3
	s_add_u32 s2, s16, s2
	s_addc_u32 s3, s17, s3
	s_cmp_lg_u64 s[8:9], s[6:7]
	s_cbranch_scc0 .LBB13_21
; %bb.5:
	v_lshlrev_b32_e32 v5, 3, v0
	global_load_dwordx2 v[1:2], v5, s[2:3]
	global_load_dwordx2 v[3:4], v5, s[2:3] offset:2048
	v_mov_b32_e32 v6, s3
	v_add_co_u32_e32 v29, vcc, s2, v5
	v_addc_co_u32_e32 v33, vcc, 0, v6, vcc
	v_add_co_u32_e32 v5, vcc, 0x1000, v29
	v_addc_co_u32_e32 v6, vcc, 0, v33, vcc
	v_add_co_u32_e32 v9, vcc, 0x2000, v29
	v_addc_co_u32_e32 v10, vcc, 0, v33, vcc
	v_add_co_u32_e32 v13, vcc, 0x3000, v29
	v_addc_co_u32_e32 v14, vcc, 0, v33, vcc
	global_load_dwordx2 v[7:8], v[5:6], off
	global_load_dwordx2 v[11:12], v[9:10], off
	;; [unrolled: 1-line block ×3, first 2 shown]
	v_add_co_u32_e32 v17, vcc, 0x4000, v29
	v_addc_co_u32_e32 v18, vcc, 0, v33, vcc
	global_load_dwordx2 v[19:20], v[17:18], off
	v_add_co_u32_e32 v21, vcc, 0x5000, v29
	global_load_dwordx2 v[5:6], v[5:6], off offset:2048
	v_addc_co_u32_e32 v22, vcc, 0, v33, vcc
	global_load_dwordx2 v[9:10], v[9:10], off offset:2048
	v_add_co_u32_e32 v23, vcc, 0x6000, v29
	global_load_dwordx2 v[13:14], v[13:14], off offset:2048
	v_addc_co_u32_e32 v24, vcc, 0, v33, vcc
	global_load_dwordx2 v[17:18], v[17:18], off offset:2048
	s_nop 0
	global_load_dwordx2 v[25:26], v[21:22], off
	global_load_dwordx2 v[27:28], v[21:22], off offset:2048
	v_add_co_u32_e32 v21, vcc, 0x7000, v29
	global_load_dwordx2 v[29:30], v[23:24], off
	global_load_dwordx2 v[31:32], v[23:24], off offset:2048
	v_addc_co_u32_e32 v22, vcc, 0, v33, vcc
	s_waitcnt vmcnt(12)
	v_add_co_u32_e32 v23, vcc, v3, v1
	v_addc_co_u32_e32 v24, vcc, v4, v2, vcc
	global_load_dwordx2 v[1:2], v[21:22], off
	global_load_dwordx2 v[3:4], v[21:22], off offset:2048
	s_waitcnt vmcnt(13)
	v_add_co_u32_e32 v7, vcc, v23, v7
	v_addc_co_u32_e32 v8, vcc, v24, v8, vcc
	s_waitcnt vmcnt(9)
	v_add_co_u32_e32 v5, vcc, v7, v5
	v_addc_co_u32_e32 v6, vcc, v8, v6, vcc
	v_add_co_u32_e32 v5, vcc, v5, v11
	v_addc_co_u32_e32 v6, vcc, v6, v12, vcc
	s_waitcnt vmcnt(8)
	v_add_co_u32_e32 v5, vcc, v5, v9
	v_addc_co_u32_e32 v6, vcc, v6, v10, vcc
	;; [unrolled: 5-line block ×4, first 2 shown]
	s_waitcnt vmcnt(5)
	v_add_co_u32_e32 v5, vcc, v5, v25
	v_addc_co_u32_e32 v6, vcc, v6, v26, vcc
	s_waitcnt vmcnt(4)
	v_add_co_u32_e32 v5, vcc, v5, v27
	v_addc_co_u32_e32 v6, vcc, v6, v28, vcc
	;; [unrolled: 3-line block ×6, first 2 shown]
	s_nop 0
	v_mov_b32_dpp v4, v1 quad_perm:[1,0,3,2] row_mask:0xf bank_mask:0xf bound_ctrl:1
	v_add_co_u32_e32 v1, vcc, v1, v4
	v_mov_b32_dpp v5, v2 quad_perm:[1,0,3,2] row_mask:0xf bank_mask:0xf bound_ctrl:1
	v_addc_co_u32_e32 v2, vcc, 0, v2, vcc
	v_add_co_u32_e32 v4, vcc, 0, v1
	v_addc_co_u32_e32 v2, vcc, v5, v2, vcc
	v_mov_b32_dpp v1, v1 quad_perm:[2,3,0,1] row_mask:0xf bank_mask:0xf bound_ctrl:1
	v_add_co_u32_e32 v1, vcc, v4, v1
	v_mov_b32_dpp v5, v2 quad_perm:[2,3,0,1] row_mask:0xf bank_mask:0xf bound_ctrl:1
	v_addc_co_u32_e32 v2, vcc, 0, v2, vcc
	v_add_co_u32_e32 v4, vcc, 0, v1
	v_addc_co_u32_e32 v2, vcc, v2, v5, vcc
	v_mov_b32_dpp v1, v1 row_ror:4 row_mask:0xf bank_mask:0xf bound_ctrl:1
	v_add_co_u32_e32 v1, vcc, v4, v1
	v_mov_b32_dpp v5, v2 row_ror:4 row_mask:0xf bank_mask:0xf bound_ctrl:1
	v_addc_co_u32_e32 v2, vcc, 0, v2, vcc
	v_add_co_u32_e32 v4, vcc, 0, v1
	v_addc_co_u32_e32 v2, vcc, v2, v5, vcc
	v_mov_b32_dpp v1, v1 row_ror:8 row_mask:0xf bank_mask:0xf bound_ctrl:1
	v_add_co_u32_e32 v1, vcc, v4, v1
	v_mov_b32_dpp v5, v2 row_ror:8 row_mask:0xf bank_mask:0xf bound_ctrl:1
	v_addc_co_u32_e32 v2, vcc, 0, v2, vcc
	v_add_co_u32_e32 v4, vcc, 0, v1
	v_addc_co_u32_e32 v2, vcc, v2, v5, vcc
	v_mov_b32_dpp v1, v1 row_bcast:15 row_mask:0xf bank_mask:0xf bound_ctrl:1
	v_add_co_u32_e32 v1, vcc, v4, v1
	v_mov_b32_dpp v5, v2 row_bcast:15 row_mask:0xf bank_mask:0xf bound_ctrl:1
	v_addc_co_u32_e32 v2, vcc, 0, v2, vcc
	v_add_co_u32_e32 v4, vcc, 0, v1
	v_addc_co_u32_e32 v2, vcc, v2, v5, vcc
	v_mov_b32_dpp v1, v1 row_bcast:31 row_mask:0xf bank_mask:0xf bound_ctrl:1
	v_mbcnt_lo_u32_b32 v3, -1, 0
	v_add_co_u32_e32 v1, vcc, v4, v1
	v_mbcnt_hi_u32_b32 v3, -1, v3
	v_addc_co_u32_e32 v4, vcc, 0, v2, vcc
	v_cmp_eq_u32_e32 vcc, 0, v3
	s_nop 0
	v_add_u32_dpp v2, v2, v4 row_bcast:31 row_mask:0xf bank_mask:0xf bound_ctrl:1
	v_lshlrev_b32_e32 v4, 2, v3
	v_or_b32_e32 v5, 0xfc, v4
	ds_bpermute_b32 v1, v5, v1
	ds_bpermute_b32 v2, v5, v2
	s_and_saveexec_b64 s[8:9], vcc
	s_cbranch_execz .LBB13_7
; %bb.6:
	v_lshrrev_b32_e32 v5, 3, v0
	v_and_b32_e32 v5, 24, v5
	s_waitcnt lgkmcnt(0)
	ds_write_b64 v5, v[1:2]
.LBB13_7:
	s_or_b64 exec, exec, s[8:9]
	v_cmp_gt_u32_e32 vcc, 64, v0
	s_waitcnt lgkmcnt(0)
	s_barrier
	s_and_saveexec_b64 s[8:9], vcc
	s_cbranch_execz .LBB13_9
; %bb.8:
	v_and_b32_e32 v5, 3, v3
	v_lshlrev_b32_e32 v1, 3, v5
	ds_read_b64 v[1:2], v1
	v_cmp_ne_u32_e32 vcc, 3, v5
	v_addc_co_u32_e32 v3, vcc, 0, v3, vcc
	v_lshlrev_b32_e32 v3, 2, v3
	s_waitcnt lgkmcnt(0)
	ds_bpermute_b32 v5, v3, v1
	ds_bpermute_b32 v3, v3, v2
	v_or_b32_e32 v4, 8, v4
	s_waitcnt lgkmcnt(1)
	v_add_co_u32_e32 v1, vcc, v1, v5
	v_addc_co_u32_e32 v2, vcc, 0, v2, vcc
	ds_bpermute_b32 v5, v4, v1
	v_add_co_u32_e32 v1, vcc, 0, v1
	s_waitcnt lgkmcnt(1)
	v_addc_co_u32_e32 v2, vcc, v3, v2, vcc
	ds_bpermute_b32 v3, v4, v2
	s_waitcnt lgkmcnt(1)
	v_add_co_u32_e32 v1, vcc, v1, v5
	v_addc_co_u32_e32 v2, vcc, 0, v2, vcc
	v_add_co_u32_e32 v1, vcc, 0, v1
	s_waitcnt lgkmcnt(0)
	v_addc_co_u32_e32 v2, vcc, v2, v3, vcc
.LBB13_9:
	s_or_b64 exec, exec, s[8:9]
	s_mov_b64 s[8:9], 0
	s_branch .LBB13_22
.LBB13_10:
	s_mov_b64 s[2:3], 0
                                        ; implicit-def: $vgpr1_vgpr2
                                        ; implicit-def: $vgpr3_vgpr4
	s_cbranch_execnz .LBB13_145
	s_branch .LBB13_206
.LBB13_11:
	s_mov_b64 s[2:3], 0
                                        ; implicit-def: $vgpr1_vgpr2
                                        ; implicit-def: $vgpr3_vgpr4
	s_cbranch_execnz .LBB13_110
	s_branch .LBB13_144
.LBB13_12:
	s_mov_b64 s[0:1], -1
	s_mov_b64 s[2:3], 0
                                        ; implicit-def: $vgpr1_vgpr2
                                        ; implicit-def: $vgpr3_vgpr4
.LBB13_13:
	s_and_b64 vcc, exec, s[0:1]
	s_cbranch_vccz .LBB13_109
.LBB13_14:
	s_cmp_eq_u32 s26, 8
                                        ; implicit-def: $vgpr1_vgpr2
                                        ; implicit-def: $vgpr3_vgpr4
	s_cbranch_scc0 .LBB13_109
; %bb.15:
	s_mov_b32 s7, 0
	s_lshl_b32 s0, s6, 11
	s_mov_b32 s1, s7
	s_lshr_b64 s[2:3], s[18:19], 11
	s_lshl_b64 s[4:5], s[0:1], 3
	s_add_u32 s14, s16, s4
	s_addc_u32 s15, s17, s5
	s_cmp_lg_u64 s[2:3], s[6:7]
	s_cbranch_scc0 .LBB13_73
; %bb.16:
	v_lshlrev_b32_e32 v3, 3, v0
	v_mov_b32_e32 v1, s15
	v_add_co_u32_e32 v16, vcc, s14, v3
	v_addc_co_u32_e32 v17, vcc, 0, v1, vcc
	global_load_dwordx2 v[1:2], v3, s[14:15]
	global_load_dwordx2 v[4:5], v3, s[14:15] offset:2048
	v_add_co_u32_e32 v6, vcc, 0x1000, v16
	v_addc_co_u32_e32 v7, vcc, 0, v17, vcc
	global_load_dwordx2 v[8:9], v[6:7], off
	global_load_dwordx2 v[10:11], v[6:7], off offset:2048
	v_add_co_u32_e32 v6, vcc, 0x2000, v16
	v_addc_co_u32_e32 v7, vcc, 0, v17, vcc
	global_load_dwordx2 v[12:13], v[6:7], off
	global_load_dwordx2 v[14:15], v[6:7], off offset:2048
	;; [unrolled: 4-line block ×3, first 2 shown]
	v_mbcnt_lo_u32_b32 v3, -1, 0
	v_mbcnt_hi_u32_b32 v3, -1, v3
	s_waitcnt vmcnt(6)
	v_add_co_u32_e32 v1, vcc, v4, v1
	v_addc_co_u32_e32 v2, vcc, v5, v2, vcc
	s_waitcnt vmcnt(5)
	v_add_co_u32_e32 v1, vcc, v1, v8
	v_addc_co_u32_e32 v2, vcc, v2, v9, vcc
	;; [unrolled: 3-line block ×7, first 2 shown]
	s_nop 0
	v_mov_b32_dpp v4, v1 quad_perm:[1,0,3,2] row_mask:0xf bank_mask:0xf bound_ctrl:1
	v_add_co_u32_e32 v1, vcc, v1, v4
	v_mov_b32_dpp v5, v2 quad_perm:[1,0,3,2] row_mask:0xf bank_mask:0xf bound_ctrl:1
	v_addc_co_u32_e32 v2, vcc, 0, v2, vcc
	v_add_co_u32_e32 v4, vcc, 0, v1
	v_addc_co_u32_e32 v2, vcc, v5, v2, vcc
	v_mov_b32_dpp v1, v1 quad_perm:[2,3,0,1] row_mask:0xf bank_mask:0xf bound_ctrl:1
	v_add_co_u32_e32 v1, vcc, v4, v1
	v_mov_b32_dpp v5, v2 quad_perm:[2,3,0,1] row_mask:0xf bank_mask:0xf bound_ctrl:1
	v_addc_co_u32_e32 v2, vcc, 0, v2, vcc
	v_add_co_u32_e32 v4, vcc, 0, v1
	v_addc_co_u32_e32 v2, vcc, v2, v5, vcc
	v_mov_b32_dpp v1, v1 row_ror:4 row_mask:0xf bank_mask:0xf bound_ctrl:1
	v_add_co_u32_e32 v1, vcc, v4, v1
	v_mov_b32_dpp v5, v2 row_ror:4 row_mask:0xf bank_mask:0xf bound_ctrl:1
	v_addc_co_u32_e32 v2, vcc, 0, v2, vcc
	v_add_co_u32_e32 v4, vcc, 0, v1
	v_addc_co_u32_e32 v2, vcc, v2, v5, vcc
	v_mov_b32_dpp v1, v1 row_ror:8 row_mask:0xf bank_mask:0xf bound_ctrl:1
	v_add_co_u32_e32 v1, vcc, v4, v1
	v_mov_b32_dpp v5, v2 row_ror:8 row_mask:0xf bank_mask:0xf bound_ctrl:1
	v_addc_co_u32_e32 v2, vcc, 0, v2, vcc
	v_add_co_u32_e32 v4, vcc, 0, v1
	v_addc_co_u32_e32 v2, vcc, v2, v5, vcc
	v_mov_b32_dpp v1, v1 row_bcast:15 row_mask:0xf bank_mask:0xf bound_ctrl:1
	v_add_co_u32_e32 v1, vcc, v4, v1
	v_mov_b32_dpp v5, v2 row_bcast:15 row_mask:0xf bank_mask:0xf bound_ctrl:1
	v_addc_co_u32_e32 v2, vcc, 0, v2, vcc
	v_add_co_u32_e32 v4, vcc, 0, v1
	v_addc_co_u32_e32 v2, vcc, v2, v5, vcc
	v_mov_b32_dpp v1, v1 row_bcast:31 row_mask:0xf bank_mask:0xf bound_ctrl:1
	v_add_co_u32_e32 v1, vcc, v4, v1
	v_addc_co_u32_e32 v4, vcc, 0, v2, vcc
	v_cmp_eq_u32_e32 vcc, 0, v3
	s_nop 0
	v_add_u32_dpp v2, v2, v4 row_bcast:31 row_mask:0xf bank_mask:0xf bound_ctrl:1
	v_lshlrev_b32_e32 v4, 2, v3
	v_or_b32_e32 v5, 0xfc, v4
	ds_bpermute_b32 v1, v5, v1
	ds_bpermute_b32 v2, v5, v2
	s_and_saveexec_b64 s[2:3], vcc
	s_cbranch_execz .LBB13_18
; %bb.17:
	v_lshrrev_b32_e32 v5, 3, v0
	v_and_b32_e32 v5, 24, v5
	s_waitcnt lgkmcnt(0)
	ds_write_b64 v5, v[1:2] offset:128
.LBB13_18:
	s_or_b64 exec, exec, s[2:3]
	v_cmp_gt_u32_e32 vcc, 64, v0
	s_waitcnt lgkmcnt(0)
	s_barrier
	s_and_saveexec_b64 s[2:3], vcc
	s_cbranch_execz .LBB13_20
; %bb.19:
	v_and_b32_e32 v5, 3, v3
	v_lshlrev_b32_e32 v1, 3, v5
	ds_read_b64 v[1:2], v1 offset:128
	v_cmp_ne_u32_e32 vcc, 3, v5
	v_addc_co_u32_e32 v3, vcc, 0, v3, vcc
	v_lshlrev_b32_e32 v3, 2, v3
	s_waitcnt lgkmcnt(0)
	ds_bpermute_b32 v5, v3, v1
	ds_bpermute_b32 v3, v3, v2
	v_or_b32_e32 v4, 8, v4
	s_waitcnt lgkmcnt(1)
	v_add_co_u32_e32 v1, vcc, v1, v5
	v_addc_co_u32_e32 v2, vcc, 0, v2, vcc
	ds_bpermute_b32 v5, v4, v1
	v_add_co_u32_e32 v1, vcc, 0, v1
	s_waitcnt lgkmcnt(1)
	v_addc_co_u32_e32 v2, vcc, v3, v2, vcc
	ds_bpermute_b32 v3, v4, v2
	s_waitcnt lgkmcnt(1)
	v_add_co_u32_e32 v1, vcc, v1, v5
	v_addc_co_u32_e32 v2, vcc, 0, v2, vcc
	v_add_co_u32_e32 v1, vcc, 0, v1
	s_waitcnt lgkmcnt(0)
	v_addc_co_u32_e32 v2, vcc, v2, v3, vcc
.LBB13_20:
	s_or_b64 exec, exec, s[2:3]
	s_mov_b64 s[2:3], 0
	s_branch .LBB13_74
.LBB13_21:
	s_mov_b64 s[8:9], -1
                                        ; implicit-def: $vgpr1_vgpr2
.LBB13_22:
	s_and_b64 vcc, exec, s[8:9]
	s_cbranch_vccz .LBB13_72
; %bb.23:
	s_sub_i32 s8, s18, s4
	v_cmp_gt_u32_e32 vcc, s8, v0
                                        ; implicit-def: $vgpr1_vgpr2
	s_and_saveexec_b64 s[4:5], vcc
	s_cbranch_execz .LBB13_25
; %bb.24:
	v_lshlrev_b32_e32 v1, 3, v0
	global_load_dwordx2 v[1:2], v1, s[2:3]
.LBB13_25:
	s_or_b64 exec, exec, s[4:5]
	v_or_b32_e32 v7, 0x100, v0
	v_mov_b32_e32 v3, 0
	v_mov_b32_e32 v5, 0
	;; [unrolled: 1-line block ×4, first 2 shown]
	v_cmp_gt_u32_e32 vcc, s8, v7
	s_and_saveexec_b64 s[4:5], vcc
	s_cbranch_execz .LBB13_27
; %bb.26:
	v_lshlrev_b32_e32 v5, 3, v0
	global_load_dwordx2 v[5:6], v5, s[2:3] offset:2048
.LBB13_27:
	s_or_b64 exec, exec, s[4:5]
	v_or_b32_e32 v7, 0x200, v0
	v_cmp_gt_u32_e32 vcc, s8, v7
	s_and_saveexec_b64 s[4:5], vcc
	s_cbranch_execz .LBB13_29
; %bb.28:
	v_lshlrev_b32_e32 v3, 3, v7
	global_load_dwordx2 v[3:4], v3, s[2:3]
.LBB13_29:
	s_or_b64 exec, exec, s[4:5]
	v_or_b32_e32 v11, 0x300, v0
	v_mov_b32_e32 v7, 0
	v_mov_b32_e32 v9, 0
	v_mov_b32_e32 v8, 0
	v_mov_b32_e32 v10, 0
	v_cmp_gt_u32_e32 vcc, s8, v11
	s_and_saveexec_b64 s[4:5], vcc
	s_cbranch_execz .LBB13_31
; %bb.30:
	v_lshlrev_b32_e32 v9, 3, v11
	global_load_dwordx2 v[9:10], v9, s[2:3]
.LBB13_31:
	s_or_b64 exec, exec, s[4:5]
	v_or_b32_e32 v11, 0x400, v0
	v_cmp_gt_u32_e32 vcc, s8, v11
	s_and_saveexec_b64 s[4:5], vcc
	s_cbranch_execz .LBB13_33
; %bb.32:
	v_lshlrev_b32_e32 v7, 3, v11
	global_load_dwordx2 v[7:8], v7, s[2:3]
.LBB13_33:
	s_or_b64 exec, exec, s[4:5]
	v_or_b32_e32 v15, 0x500, v0
	v_mov_b32_e32 v11, 0
	v_mov_b32_e32 v13, 0
	v_mov_b32_e32 v12, 0
	v_mov_b32_e32 v14, 0
	v_cmp_gt_u32_e32 vcc, s8, v15
	s_and_saveexec_b64 s[4:5], vcc
	s_cbranch_execz .LBB13_35
; %bb.34:
	v_lshlrev_b32_e32 v13, 3, v15
	global_load_dwordx2 v[13:14], v13, s[2:3]
.LBB13_35:
	;; [unrolled: 22-line block ×6, first 2 shown]
	s_or_b64 exec, exec, s[4:5]
	v_or_b32_e32 v31, 0xe00, v0
	v_cmp_gt_u32_e32 vcc, s8, v31
	s_and_saveexec_b64 s[4:5], vcc
	s_cbranch_execz .LBB13_53
; %bb.52:
	v_lshlrev_b32_e32 v27, 3, v31
	global_load_dwordx2 v[27:28], v27, s[2:3]
.LBB13_53:
	s_or_b64 exec, exec, s[4:5]
	v_or_b32_e32 v33, 0xf00, v0
	v_mov_b32_e32 v31, 0
	v_mov_b32_e32 v32, 0
	v_cmp_gt_u32_e32 vcc, s8, v33
	s_and_saveexec_b64 s[4:5], vcc
	s_cbranch_execz .LBB13_55
; %bb.54:
	v_lshlrev_b32_e32 v31, 3, v33
	global_load_dwordx2 v[31:32], v31, s[2:3]
.LBB13_55:
	s_or_b64 exec, exec, s[4:5]
	s_waitcnt vmcnt(0)
	v_add_co_u32_e32 v1, vcc, v5, v1
	v_addc_co_u32_e32 v2, vcc, v6, v2, vcc
	v_add_co_u32_e32 v1, vcc, v1, v3
	v_addc_co_u32_e32 v2, vcc, v2, v4, vcc
	;; [unrolled: 2-line block ×14, first 2 shown]
	v_mbcnt_lo_u32_b32 v3, -1, 0
	v_add_co_u32_e32 v1, vcc, v1, v31
	v_mbcnt_hi_u32_b32 v3, -1, v3
	v_addc_co_u32_e32 v2, vcc, v2, v32, vcc
	v_and_b32_e32 v4, 63, v3
	v_cmp_ne_u32_e32 vcc, 63, v4
	v_addc_co_u32_e32 v6, vcc, 0, v3, vcc
	v_lshlrev_b32_e32 v6, 2, v6
	ds_bpermute_b32 v8, v6, v1
	ds_bpermute_b32 v7, v6, v2
	s_min_u32 s4, s8, 0x100
	v_and_b32_e32 v5, 0xc0, v0
	v_sub_u32_e64 v5, s4, v5 clamp
	v_add_u32_e32 v6, 1, v4
	v_cmp_lt_u32_e32 vcc, v6, v5
	v_mov_b32_e32 v6, v1
	s_and_saveexec_b64 s[2:3], vcc
	s_cbranch_execz .LBB13_57
; %bb.56:
	s_waitcnt lgkmcnt(1)
	v_add_co_u32_e32 v6, vcc, v1, v8
	v_addc_co_u32_e32 v2, vcc, 0, v2, vcc
	v_add_co_u32_e32 v1, vcc, 0, v6
	s_waitcnt lgkmcnt(0)
	v_addc_co_u32_e32 v2, vcc, v7, v2, vcc
.LBB13_57:
	s_or_b64 exec, exec, s[2:3]
	v_cmp_gt_u32_e32 vcc, 62, v4
	s_waitcnt lgkmcnt(0)
	v_cndmask_b32_e64 v7, 0, 2, vcc
	v_add_lshl_u32 v7, v7, v3, 2
	ds_bpermute_b32 v8, v7, v6
	ds_bpermute_b32 v7, v7, v2
	v_add_u32_e32 v9, 2, v4
	v_cmp_lt_u32_e32 vcc, v9, v5
	s_and_saveexec_b64 s[2:3], vcc
	s_cbranch_execz .LBB13_59
; %bb.58:
	s_waitcnt lgkmcnt(1)
	v_add_co_u32_e32 v6, vcc, v1, v8
	v_addc_co_u32_e32 v2, vcc, 0, v2, vcc
	v_add_co_u32_e32 v1, vcc, 0, v6
	s_waitcnt lgkmcnt(0)
	v_addc_co_u32_e32 v2, vcc, v7, v2, vcc
.LBB13_59:
	s_or_b64 exec, exec, s[2:3]
	v_cmp_gt_u32_e32 vcc, 60, v4
	s_waitcnt lgkmcnt(0)
	v_cndmask_b32_e64 v7, 0, 4, vcc
	v_add_lshl_u32 v7, v7, v3, 2
	ds_bpermute_b32 v8, v7, v6
	ds_bpermute_b32 v7, v7, v2
	v_add_u32_e32 v9, 4, v4
	v_cmp_lt_u32_e32 vcc, v9, v5
	;; [unrolled: 19-line block ×4, first 2 shown]
	s_and_saveexec_b64 s[2:3], vcc
	s_cbranch_execz .LBB13_65
; %bb.64:
	s_waitcnt lgkmcnt(1)
	v_add_co_u32_e32 v6, vcc, v1, v8
	v_addc_co_u32_e32 v2, vcc, 0, v2, vcc
	v_add_co_u32_e32 v1, vcc, 0, v6
	s_waitcnt lgkmcnt(0)
	v_addc_co_u32_e32 v2, vcc, v7, v2, vcc
.LBB13_65:
	s_or_b64 exec, exec, s[2:3]
	s_waitcnt lgkmcnt(0)
	v_lshlrev_b32_e32 v7, 2, v3
	v_or_b32_e32 v8, 0x80, v7
	ds_bpermute_b32 v6, v8, v6
	ds_bpermute_b32 v8, v8, v2
	v_add_u32_e32 v4, 32, v4
	s_waitcnt lgkmcnt(1)
	v_add_co_u32_e32 v6, vcc, v1, v6
	v_addc_co_u32_e32 v9, vcc, 0, v2, vcc
	v_add_co_u32_e32 v6, vcc, 0, v6
	s_waitcnt lgkmcnt(0)
	v_addc_co_u32_e32 v8, vcc, v9, v8, vcc
	v_cmp_lt_u32_e32 vcc, v4, v5
	v_cndmask_b32_e32 v2, v2, v8, vcc
	v_cndmask_b32_e32 v1, v1, v6, vcc
	v_cmp_eq_u32_e32 vcc, 0, v3
	s_and_saveexec_b64 s[2:3], vcc
; %bb.66:
	v_lshrrev_b32_e32 v4, 3, v0
	v_and_b32_e32 v4, 24, v4
	ds_write_b64 v4, v[1:2] offset:160
; %bb.67:
	s_or_b64 exec, exec, s[2:3]
	v_cmp_gt_u32_e32 vcc, 4, v0
	s_waitcnt lgkmcnt(0)
	s_barrier
	s_and_saveexec_b64 s[2:3], vcc
	s_cbranch_execz .LBB13_71
; %bb.68:
	v_lshlrev_b32_e32 v1, 3, v3
	ds_read_b64 v[1:2], v1 offset:160
	v_and_b32_e32 v4, 3, v3
	v_cmp_ne_u32_e32 vcc, 3, v4
	v_addc_co_u32_e32 v3, vcc, 0, v3, vcc
	v_lshlrev_b32_e32 v3, 2, v3
	s_waitcnt lgkmcnt(0)
	ds_bpermute_b32 v6, v3, v1
	ds_bpermute_b32 v5, v3, v2
	s_add_i32 s4, s4, 63
	s_lshr_b32 s8, s4, 6
	v_add_u32_e32 v3, 1, v4
	v_cmp_gt_u32_e32 vcc, s8, v3
	v_mov_b32_e32 v3, v1
	s_and_saveexec_b64 s[4:5], vcc
	s_cbranch_execz .LBB13_70
; %bb.69:
	s_waitcnt lgkmcnt(1)
	v_add_co_u32_e32 v3, vcc, v1, v6
	v_addc_co_u32_e32 v2, vcc, 0, v2, vcc
	v_add_co_u32_e32 v1, vcc, 0, v3
	s_waitcnt lgkmcnt(0)
	v_addc_co_u32_e32 v2, vcc, v5, v2, vcc
.LBB13_70:
	s_or_b64 exec, exec, s[4:5]
	s_waitcnt lgkmcnt(0)
	v_or_b32_e32 v5, 8, v7
	ds_bpermute_b32 v3, v5, v3
	ds_bpermute_b32 v5, v5, v2
	v_add_u32_e32 v4, 2, v4
	s_waitcnt lgkmcnt(1)
	v_add_co_u32_e32 v3, vcc, v1, v3
	v_addc_co_u32_e32 v6, vcc, 0, v2, vcc
	v_add_co_u32_e32 v3, vcc, 0, v3
	s_waitcnt lgkmcnt(0)
	v_addc_co_u32_e32 v5, vcc, v6, v5, vcc
	v_cmp_gt_u32_e32 vcc, s8, v4
	v_cndmask_b32_e32 v2, v2, v5, vcc
	v_cndmask_b32_e32 v1, v1, v3, vcc
.LBB13_71:
	s_or_b64 exec, exec, s[2:3]
.LBB13_72:
	v_mov_b32_e32 v3, s6
	v_cmp_eq_u32_e64 s[2:3], 0, v0
	v_mov_b32_e32 v4, s7
	s_and_b64 vcc, exec, s[0:1]
	s_cbranch_vccnz .LBB13_14
	s_branch .LBB13_109
.LBB13_73:
	s_mov_b64 s[2:3], -1
                                        ; implicit-def: $vgpr1_vgpr2
.LBB13_74:
	s_and_b64 vcc, exec, s[2:3]
	s_cbranch_vccz .LBB13_108
; %bb.75:
	s_sub_i32 s27, s18, s0
	v_mov_b32_e32 v1, 0
	v_cmp_gt_u32_e32 vcc, s27, v0
	v_mov_b32_e32 v2, v1
	v_mov_b32_e32 v3, v1
	;; [unrolled: 1-line block ×15, first 2 shown]
	s_and_saveexec_b64 s[0:1], vcc
	s_cbranch_execz .LBB13_77
; %bb.76:
	v_mov_b32_e32 v3, v1
	v_mov_b32_e32 v4, v1
	;; [unrolled: 1-line block ×14, first 2 shown]
	v_lshlrev_b32_e32 v1, 3, v0
	global_load_dwordx2 v[1:2], v1, s[14:15]
.LBB13_77:
	s_or_b64 exec, exec, s[0:1]
	v_or_b32_e32 v17, 0x100, v0
	v_cmp_gt_u32_e32 vcc, s27, v17
	s_and_saveexec_b64 s[0:1], vcc
	s_cbranch_execz .LBB13_79
; %bb.78:
	v_lshlrev_b32_e32 v3, 3, v0
	global_load_dwordx2 v[3:4], v3, s[14:15] offset:2048
.LBB13_79:
	s_or_b64 exec, exec, s[0:1]
	v_or_b32_e32 v17, 0x200, v0
	v_cmp_gt_u32_e64 s[0:1], s27, v17
	s_and_saveexec_b64 s[2:3], s[0:1]
	s_cbranch_execz .LBB13_81
; %bb.80:
	v_lshlrev_b32_e32 v5, 3, v17
	global_load_dwordx2 v[5:6], v5, s[14:15]
.LBB13_81:
	s_or_b64 exec, exec, s[2:3]
	v_or_b32_e32 v17, 0x300, v0
	v_cmp_gt_u32_e64 s[2:3], s27, v17
	s_and_saveexec_b64 s[4:5], s[2:3]
	s_cbranch_execz .LBB13_83
; %bb.82:
	v_lshlrev_b32_e32 v7, 3, v17
	global_load_dwordx2 v[7:8], v7, s[14:15]
.LBB13_83:
	;; [unrolled: 9-line block ×6, first 2 shown]
	s_or_b64 exec, exec, s[24:25]
	s_waitcnt vmcnt(0)
	v_cndmask_b32_e32 v3, 0, v3, vcc
	v_cndmask_b32_e32 v4, 0, v4, vcc
	v_add_co_u32_e32 v1, vcc, v3, v1
	v_addc_co_u32_e32 v2, vcc, v4, v2, vcc
	v_cndmask_b32_e64 v4, 0, v5, s[0:1]
	v_cndmask_b32_e64 v3, 0, v6, s[0:1]
	v_add_co_u32_e32 v1, vcc, v1, v4
	v_addc_co_u32_e32 v2, vcc, v2, v3, vcc
	v_cndmask_b32_e64 v4, 0, v7, s[2:3]
	v_cndmask_b32_e64 v3, 0, v8, s[2:3]
	;; [unrolled: 4-line block ×6, first 2 shown]
	v_add_co_u32_e32 v1, vcc, v1, v4
	v_addc_co_u32_e32 v2, vcc, v2, v3, vcc
	v_mbcnt_lo_u32_b32 v3, -1, 0
	v_mbcnt_hi_u32_b32 v3, -1, v3
	v_and_b32_e32 v4, 63, v3
	v_cmp_ne_u32_e32 vcc, 63, v4
	v_addc_co_u32_e32 v6, vcc, 0, v3, vcc
	v_lshlrev_b32_e32 v6, 2, v6
	ds_bpermute_b32 v8, v6, v1
	ds_bpermute_b32 v7, v6, v2
	s_min_u32 s2, s27, 0x100
	v_and_b32_e32 v5, 0xc0, v0
	v_sub_u32_e64 v5, s2, v5 clamp
	v_add_u32_e32 v6, 1, v4
	v_cmp_lt_u32_e32 vcc, v6, v5
	v_mov_b32_e32 v6, v1
	s_and_saveexec_b64 s[0:1], vcc
	s_cbranch_execz .LBB13_93
; %bb.92:
	s_waitcnt lgkmcnt(1)
	v_add_co_u32_e32 v6, vcc, v1, v8
	v_addc_co_u32_e32 v2, vcc, 0, v2, vcc
	v_add_co_u32_e32 v1, vcc, 0, v6
	s_waitcnt lgkmcnt(0)
	v_addc_co_u32_e32 v2, vcc, v2, v7, vcc
.LBB13_93:
	s_or_b64 exec, exec, s[0:1]
	v_cmp_gt_u32_e32 vcc, 62, v4
	s_waitcnt lgkmcnt(0)
	v_cndmask_b32_e64 v7, 0, 2, vcc
	v_add_lshl_u32 v7, v7, v3, 2
	ds_bpermute_b32 v8, v7, v6
	ds_bpermute_b32 v7, v7, v2
	v_add_u32_e32 v9, 2, v4
	v_cmp_lt_u32_e32 vcc, v9, v5
	s_and_saveexec_b64 s[0:1], vcc
	s_cbranch_execz .LBB13_95
; %bb.94:
	s_waitcnt lgkmcnt(1)
	v_add_co_u32_e32 v6, vcc, v1, v8
	v_addc_co_u32_e32 v2, vcc, 0, v2, vcc
	v_add_co_u32_e32 v1, vcc, 0, v6
	s_waitcnt lgkmcnt(0)
	v_addc_co_u32_e32 v2, vcc, v7, v2, vcc
.LBB13_95:
	s_or_b64 exec, exec, s[0:1]
	v_cmp_gt_u32_e32 vcc, 60, v4
	s_waitcnt lgkmcnt(0)
	v_cndmask_b32_e64 v7, 0, 4, vcc
	v_add_lshl_u32 v7, v7, v3, 2
	ds_bpermute_b32 v8, v7, v6
	ds_bpermute_b32 v7, v7, v2
	v_add_u32_e32 v9, 4, v4
	v_cmp_lt_u32_e32 vcc, v9, v5
	;; [unrolled: 19-line block ×4, first 2 shown]
	s_and_saveexec_b64 s[0:1], vcc
	s_cbranch_execz .LBB13_101
; %bb.100:
	s_waitcnt lgkmcnt(1)
	v_add_co_u32_e32 v6, vcc, v1, v8
	v_addc_co_u32_e32 v2, vcc, 0, v2, vcc
	v_add_co_u32_e32 v1, vcc, 0, v6
	s_waitcnt lgkmcnt(0)
	v_addc_co_u32_e32 v2, vcc, v7, v2, vcc
.LBB13_101:
	s_or_b64 exec, exec, s[0:1]
	s_waitcnt lgkmcnt(0)
	v_lshlrev_b32_e32 v7, 2, v3
	v_or_b32_e32 v8, 0x80, v7
	ds_bpermute_b32 v6, v8, v6
	ds_bpermute_b32 v8, v8, v2
	v_add_u32_e32 v4, 32, v4
	s_waitcnt lgkmcnt(1)
	v_add_co_u32_e32 v6, vcc, v1, v6
	v_addc_co_u32_e32 v9, vcc, 0, v2, vcc
	v_add_co_u32_e32 v6, vcc, 0, v6
	s_waitcnt lgkmcnt(0)
	v_addc_co_u32_e32 v8, vcc, v9, v8, vcc
	v_cmp_lt_u32_e32 vcc, v4, v5
	v_cndmask_b32_e32 v2, v2, v8, vcc
	v_cndmask_b32_e32 v1, v1, v6, vcc
	v_cmp_eq_u32_e32 vcc, 0, v3
	s_and_saveexec_b64 s[0:1], vcc
; %bb.102:
	v_lshrrev_b32_e32 v4, 3, v0
	v_and_b32_e32 v4, 24, v4
	ds_write_b64 v4, v[1:2] offset:160
; %bb.103:
	s_or_b64 exec, exec, s[0:1]
	v_cmp_gt_u32_e32 vcc, 4, v0
	s_waitcnt lgkmcnt(0)
	s_barrier
	s_and_saveexec_b64 s[0:1], vcc
	s_cbranch_execz .LBB13_107
; %bb.104:
	v_lshlrev_b32_e32 v1, 3, v3
	ds_read_b64 v[1:2], v1 offset:160
	v_and_b32_e32 v4, 3, v3
	v_cmp_ne_u32_e32 vcc, 3, v4
	v_addc_co_u32_e32 v3, vcc, 0, v3, vcc
	v_lshlrev_b32_e32 v3, 2, v3
	s_waitcnt lgkmcnt(0)
	ds_bpermute_b32 v6, v3, v1
	ds_bpermute_b32 v5, v3, v2
	s_add_i32 s2, s2, 63
	s_lshr_b32 s4, s2, 6
	v_add_u32_e32 v3, 1, v4
	v_cmp_gt_u32_e32 vcc, s4, v3
	v_mov_b32_e32 v3, v1
	s_and_saveexec_b64 s[2:3], vcc
	s_cbranch_execz .LBB13_106
; %bb.105:
	s_waitcnt lgkmcnt(1)
	v_add_co_u32_e32 v3, vcc, v1, v6
	v_addc_co_u32_e32 v2, vcc, 0, v2, vcc
	v_add_co_u32_e32 v1, vcc, 0, v3
	s_waitcnt lgkmcnt(0)
	v_addc_co_u32_e32 v2, vcc, v5, v2, vcc
.LBB13_106:
	s_or_b64 exec, exec, s[2:3]
	s_waitcnt lgkmcnt(0)
	v_or_b32_e32 v5, 8, v7
	ds_bpermute_b32 v3, v5, v3
	ds_bpermute_b32 v5, v5, v2
	v_add_u32_e32 v4, 2, v4
	s_waitcnt lgkmcnt(1)
	v_add_co_u32_e32 v3, vcc, v1, v3
	v_addc_co_u32_e32 v6, vcc, 0, v2, vcc
	v_add_co_u32_e32 v3, vcc, 0, v3
	s_waitcnt lgkmcnt(0)
	v_addc_co_u32_e32 v5, vcc, v6, v5, vcc
	v_cmp_gt_u32_e32 vcc, s4, v4
	v_cndmask_b32_e32 v2, v2, v5, vcc
	v_cndmask_b32_e32 v1, v1, v3, vcc
.LBB13_107:
	s_or_b64 exec, exec, s[0:1]
.LBB13_108:
	v_mov_b32_e32 v3, s6
	v_cmp_eq_u32_e64 s[2:3], 0, v0
	v_mov_b32_e32 v4, s7
.LBB13_109:
	s_branch .LBB13_144
.LBB13_110:
	s_cmp_eq_u32 s26, 4
                                        ; implicit-def: $vgpr1_vgpr2
                                        ; implicit-def: $vgpr3_vgpr4
	s_cbranch_scc0 .LBB13_144
; %bb.111:
	s_mov_b32 s7, 0
	s_lshl_b32 s0, s6, 10
	s_mov_b32 s1, s7
	s_lshr_b64 s[2:3], s[18:19], 10
	s_lshl_b64 s[4:5], s[0:1], 3
	s_add_u32 s4, s16, s4
	s_addc_u32 s5, s17, s5
	s_cmp_lg_u64 s[2:3], s[6:7]
	s_cbranch_scc0 .LBB13_117
; %bb.112:
	v_lshlrev_b32_e32 v3, 3, v0
	v_mov_b32_e32 v1, s5
	v_add_co_u32_e32 v4, vcc, s4, v3
	v_addc_co_u32_e32 v7, vcc, 0, v1, vcc
	global_load_dwordx2 v[1:2], v3, s[4:5]
	global_load_dwordx2 v[5:6], v3, s[4:5] offset:2048
	v_add_co_u32_e32 v3, vcc, 0x1000, v4
	v_addc_co_u32_e32 v4, vcc, 0, v7, vcc
	global_load_dwordx2 v[7:8], v[3:4], off
	global_load_dwordx2 v[9:10], v[3:4], off offset:2048
	v_mbcnt_lo_u32_b32 v3, -1, 0
	v_mbcnt_hi_u32_b32 v3, -1, v3
	v_lshlrev_b32_e32 v4, 2, v3
	v_or_b32_e32 v11, 0xfc, v4
	s_waitcnt vmcnt(2)
	v_add_co_u32_e32 v1, vcc, v5, v1
	v_addc_co_u32_e32 v2, vcc, v6, v2, vcc
	s_waitcnt vmcnt(1)
	v_add_co_u32_e32 v1, vcc, v1, v7
	v_addc_co_u32_e32 v2, vcc, v2, v8, vcc
	;; [unrolled: 3-line block ×3, first 2 shown]
	s_nop 0
	v_mov_b32_dpp v5, v1 quad_perm:[1,0,3,2] row_mask:0xf bank_mask:0xf bound_ctrl:1
	v_add_co_u32_e32 v1, vcc, v1, v5
	v_mov_b32_dpp v6, v2 quad_perm:[1,0,3,2] row_mask:0xf bank_mask:0xf bound_ctrl:1
	v_addc_co_u32_e32 v2, vcc, 0, v2, vcc
	v_add_co_u32_e32 v5, vcc, 0, v1
	v_addc_co_u32_e32 v2, vcc, v6, v2, vcc
	v_mov_b32_dpp v1, v1 quad_perm:[2,3,0,1] row_mask:0xf bank_mask:0xf bound_ctrl:1
	v_add_co_u32_e32 v1, vcc, v5, v1
	v_mov_b32_dpp v6, v2 quad_perm:[2,3,0,1] row_mask:0xf bank_mask:0xf bound_ctrl:1
	v_addc_co_u32_e32 v2, vcc, 0, v2, vcc
	v_add_co_u32_e32 v5, vcc, 0, v1
	v_addc_co_u32_e32 v2, vcc, v2, v6, vcc
	v_mov_b32_dpp v1, v1 row_ror:4 row_mask:0xf bank_mask:0xf bound_ctrl:1
	v_add_co_u32_e32 v1, vcc, v5, v1
	v_mov_b32_dpp v6, v2 row_ror:4 row_mask:0xf bank_mask:0xf bound_ctrl:1
	v_addc_co_u32_e32 v2, vcc, 0, v2, vcc
	v_add_co_u32_e32 v5, vcc, 0, v1
	v_addc_co_u32_e32 v2, vcc, v2, v6, vcc
	v_mov_b32_dpp v1, v1 row_ror:8 row_mask:0xf bank_mask:0xf bound_ctrl:1
	v_add_co_u32_e32 v1, vcc, v5, v1
	v_mov_b32_dpp v6, v2 row_ror:8 row_mask:0xf bank_mask:0xf bound_ctrl:1
	v_addc_co_u32_e32 v2, vcc, 0, v2, vcc
	v_add_co_u32_e32 v5, vcc, 0, v1
	v_addc_co_u32_e32 v2, vcc, v2, v6, vcc
	v_mov_b32_dpp v1, v1 row_bcast:15 row_mask:0xf bank_mask:0xf bound_ctrl:1
	v_add_co_u32_e32 v1, vcc, v5, v1
	v_mov_b32_dpp v6, v2 row_bcast:15 row_mask:0xf bank_mask:0xf bound_ctrl:1
	v_addc_co_u32_e32 v2, vcc, 0, v2, vcc
	v_add_co_u32_e32 v5, vcc, 0, v1
	v_addc_co_u32_e32 v2, vcc, v2, v6, vcc
	v_mov_b32_dpp v1, v1 row_bcast:31 row_mask:0xf bank_mask:0xf bound_ctrl:1
	v_add_co_u32_e32 v1, vcc, v5, v1
	v_addc_co_u32_e32 v5, vcc, 0, v2, vcc
	ds_bpermute_b32 v1, v11, v1
	s_nop 0
	v_add_u32_dpp v2, v2, v5 row_bcast:31 row_mask:0xf bank_mask:0xf bound_ctrl:1
	ds_bpermute_b32 v2, v11, v2
	v_cmp_eq_u32_e32 vcc, 0, v3
	s_and_saveexec_b64 s[2:3], vcc
	s_cbranch_execz .LBB13_114
; %bb.113:
	v_lshrrev_b32_e32 v5, 3, v0
	v_and_b32_e32 v5, 24, v5
	s_waitcnt lgkmcnt(0)
	ds_write_b64 v5, v[1:2] offset:96
.LBB13_114:
	s_or_b64 exec, exec, s[2:3]
	v_cmp_gt_u32_e32 vcc, 64, v0
	s_waitcnt lgkmcnt(0)
	s_barrier
	s_and_saveexec_b64 s[2:3], vcc
	s_cbranch_execz .LBB13_116
; %bb.115:
	v_and_b32_e32 v5, 3, v3
	v_lshlrev_b32_e32 v1, 3, v5
	ds_read_b64 v[1:2], v1 offset:96
	v_cmp_ne_u32_e32 vcc, 3, v5
	v_addc_co_u32_e32 v3, vcc, 0, v3, vcc
	v_lshlrev_b32_e32 v3, 2, v3
	s_waitcnt lgkmcnt(0)
	ds_bpermute_b32 v5, v3, v1
	ds_bpermute_b32 v3, v3, v2
	v_or_b32_e32 v4, 8, v4
	s_waitcnt lgkmcnt(1)
	v_add_co_u32_e32 v1, vcc, v1, v5
	v_addc_co_u32_e32 v2, vcc, 0, v2, vcc
	ds_bpermute_b32 v5, v4, v1
	v_add_co_u32_e32 v1, vcc, 0, v1
	s_waitcnt lgkmcnt(1)
	v_addc_co_u32_e32 v2, vcc, v3, v2, vcc
	ds_bpermute_b32 v3, v4, v2
	s_waitcnt lgkmcnt(1)
	v_add_co_u32_e32 v1, vcc, v1, v5
	v_addc_co_u32_e32 v2, vcc, 0, v2, vcc
	v_add_co_u32_e32 v1, vcc, 0, v1
	s_waitcnt lgkmcnt(0)
	v_addc_co_u32_e32 v2, vcc, v2, v3, vcc
.LBB13_116:
	s_or_b64 exec, exec, s[2:3]
	s_branch .LBB13_143
.LBB13_117:
                                        ; implicit-def: $vgpr1_vgpr2
	s_cbranch_execz .LBB13_143
; %bb.118:
	s_sub_i32 s10, s18, s0
	v_mov_b32_e32 v1, 0
	v_cmp_gt_u32_e32 vcc, s10, v0
	v_mov_b32_e32 v2, v1
	v_mov_b32_e32 v3, v1
	;; [unrolled: 1-line block ×7, first 2 shown]
	s_and_saveexec_b64 s[0:1], vcc
	s_cbranch_execz .LBB13_120
; %bb.119:
	v_lshlrev_b32_e32 v2, 3, v0
	global_load_dwordx2 v[2:3], v2, s[4:5]
	v_mov_b32_e32 v4, v1
	v_mov_b32_e32 v5, v1
	;; [unrolled: 1-line block ×6, first 2 shown]
	s_waitcnt vmcnt(0)
	v_mov_b32_e32 v1, v2
	v_mov_b32_e32 v2, v3
	;; [unrolled: 1-line block ×8, first 2 shown]
.LBB13_120:
	s_or_b64 exec, exec, s[0:1]
	v_or_b32_e32 v9, 0x100, v0
	v_cmp_gt_u32_e32 vcc, s10, v9
	s_and_saveexec_b64 s[0:1], vcc
	s_cbranch_execz .LBB13_122
; %bb.121:
	v_lshlrev_b32_e32 v3, 3, v0
	global_load_dwordx2 v[3:4], v3, s[4:5] offset:2048
.LBB13_122:
	s_or_b64 exec, exec, s[0:1]
	v_or_b32_e32 v9, 0x200, v0
	v_cmp_gt_u32_e64 s[0:1], s10, v9
	s_and_saveexec_b64 s[2:3], s[0:1]
	s_cbranch_execz .LBB13_124
; %bb.123:
	v_lshlrev_b32_e32 v5, 3, v9
	global_load_dwordx2 v[5:6], v5, s[4:5]
.LBB13_124:
	s_or_b64 exec, exec, s[2:3]
	v_or_b32_e32 v9, 0x300, v0
	v_cmp_gt_u32_e64 s[2:3], s10, v9
	s_and_saveexec_b64 s[8:9], s[2:3]
	s_cbranch_execz .LBB13_126
; %bb.125:
	v_lshlrev_b32_e32 v7, 3, v9
	global_load_dwordx2 v[7:8], v7, s[4:5]
.LBB13_126:
	s_or_b64 exec, exec, s[8:9]
	s_waitcnt vmcnt(0)
	v_cndmask_b32_e32 v3, 0, v3, vcc
	v_cndmask_b32_e32 v4, 0, v4, vcc
	v_add_co_u32_e32 v1, vcc, v3, v1
	v_addc_co_u32_e32 v2, vcc, v4, v2, vcc
	v_cndmask_b32_e64 v4, 0, v5, s[0:1]
	v_cndmask_b32_e64 v3, 0, v6, s[0:1]
	v_add_co_u32_e32 v1, vcc, v1, v4
	v_addc_co_u32_e32 v2, vcc, v2, v3, vcc
	v_cndmask_b32_e64 v4, 0, v7, s[2:3]
	v_cndmask_b32_e64 v3, 0, v8, s[2:3]
	v_add_co_u32_e32 v1, vcc, v1, v4
	v_addc_co_u32_e32 v2, vcc, v2, v3, vcc
	v_mbcnt_lo_u32_b32 v3, -1, 0
	v_mbcnt_hi_u32_b32 v3, -1, v3
	v_and_b32_e32 v4, 63, v3
	v_cmp_ne_u32_e32 vcc, 63, v4
	v_addc_co_u32_e32 v6, vcc, 0, v3, vcc
	v_lshlrev_b32_e32 v6, 2, v6
	ds_bpermute_b32 v8, v6, v1
	ds_bpermute_b32 v7, v6, v2
	s_min_u32 s2, s10, 0x100
	v_and_b32_e32 v5, 0xc0, v0
	v_sub_u32_e64 v5, s2, v5 clamp
	v_add_u32_e32 v6, 1, v4
	v_cmp_lt_u32_e32 vcc, v6, v5
	v_mov_b32_e32 v6, v1
	s_and_saveexec_b64 s[0:1], vcc
	s_cbranch_execz .LBB13_128
; %bb.127:
	s_waitcnt lgkmcnt(1)
	v_add_co_u32_e32 v6, vcc, v1, v8
	v_addc_co_u32_e32 v2, vcc, 0, v2, vcc
	v_add_co_u32_e32 v1, vcc, 0, v6
	s_waitcnt lgkmcnt(0)
	v_addc_co_u32_e32 v2, vcc, v7, v2, vcc
.LBB13_128:
	s_or_b64 exec, exec, s[0:1]
	v_cmp_gt_u32_e32 vcc, 62, v4
	s_waitcnt lgkmcnt(0)
	v_cndmask_b32_e64 v7, 0, 2, vcc
	v_add_lshl_u32 v7, v7, v3, 2
	ds_bpermute_b32 v8, v7, v6
	ds_bpermute_b32 v7, v7, v2
	v_add_u32_e32 v9, 2, v4
	v_cmp_lt_u32_e32 vcc, v9, v5
	s_and_saveexec_b64 s[0:1], vcc
	s_cbranch_execz .LBB13_130
; %bb.129:
	s_waitcnt lgkmcnt(1)
	v_add_co_u32_e32 v6, vcc, v1, v8
	v_addc_co_u32_e32 v2, vcc, 0, v2, vcc
	v_add_co_u32_e32 v1, vcc, 0, v6
	s_waitcnt lgkmcnt(0)
	v_addc_co_u32_e32 v2, vcc, v7, v2, vcc
.LBB13_130:
	s_or_b64 exec, exec, s[0:1]
	v_cmp_gt_u32_e32 vcc, 60, v4
	s_waitcnt lgkmcnt(0)
	v_cndmask_b32_e64 v7, 0, 4, vcc
	v_add_lshl_u32 v7, v7, v3, 2
	ds_bpermute_b32 v8, v7, v6
	ds_bpermute_b32 v7, v7, v2
	v_add_u32_e32 v9, 4, v4
	v_cmp_lt_u32_e32 vcc, v9, v5
	;; [unrolled: 19-line block ×4, first 2 shown]
	s_and_saveexec_b64 s[0:1], vcc
	s_cbranch_execz .LBB13_136
; %bb.135:
	s_waitcnt lgkmcnt(1)
	v_add_co_u32_e32 v6, vcc, v1, v8
	v_addc_co_u32_e32 v2, vcc, 0, v2, vcc
	v_add_co_u32_e32 v1, vcc, 0, v6
	s_waitcnt lgkmcnt(0)
	v_addc_co_u32_e32 v2, vcc, v7, v2, vcc
.LBB13_136:
	s_or_b64 exec, exec, s[0:1]
	s_waitcnt lgkmcnt(0)
	v_lshlrev_b32_e32 v7, 2, v3
	v_or_b32_e32 v8, 0x80, v7
	ds_bpermute_b32 v6, v8, v6
	ds_bpermute_b32 v8, v8, v2
	v_add_u32_e32 v4, 32, v4
	s_waitcnt lgkmcnt(1)
	v_add_co_u32_e32 v6, vcc, v1, v6
	v_addc_co_u32_e32 v9, vcc, 0, v2, vcc
	v_add_co_u32_e32 v6, vcc, 0, v6
	s_waitcnt lgkmcnt(0)
	v_addc_co_u32_e32 v8, vcc, v9, v8, vcc
	v_cmp_lt_u32_e32 vcc, v4, v5
	v_cndmask_b32_e32 v2, v2, v8, vcc
	v_cndmask_b32_e32 v1, v1, v6, vcc
	v_cmp_eq_u32_e32 vcc, 0, v3
	s_and_saveexec_b64 s[0:1], vcc
; %bb.137:
	v_lshrrev_b32_e32 v4, 3, v0
	v_and_b32_e32 v4, 24, v4
	ds_write_b64 v4, v[1:2] offset:160
; %bb.138:
	s_or_b64 exec, exec, s[0:1]
	v_cmp_gt_u32_e32 vcc, 4, v0
	s_waitcnt lgkmcnt(0)
	s_barrier
	s_and_saveexec_b64 s[0:1], vcc
	s_cbranch_execz .LBB13_142
; %bb.139:
	v_lshlrev_b32_e32 v1, 3, v3
	ds_read_b64 v[1:2], v1 offset:160
	v_and_b32_e32 v4, 3, v3
	v_cmp_ne_u32_e32 vcc, 3, v4
	v_addc_co_u32_e32 v3, vcc, 0, v3, vcc
	v_lshlrev_b32_e32 v3, 2, v3
	s_waitcnt lgkmcnt(0)
	ds_bpermute_b32 v6, v3, v1
	ds_bpermute_b32 v5, v3, v2
	s_add_i32 s2, s2, 63
	s_lshr_b32 s4, s2, 6
	v_add_u32_e32 v3, 1, v4
	v_cmp_gt_u32_e32 vcc, s4, v3
	v_mov_b32_e32 v3, v1
	s_and_saveexec_b64 s[2:3], vcc
	s_cbranch_execz .LBB13_141
; %bb.140:
	s_waitcnt lgkmcnt(1)
	v_add_co_u32_e32 v3, vcc, v1, v6
	v_addc_co_u32_e32 v2, vcc, 0, v2, vcc
	v_add_co_u32_e32 v1, vcc, 0, v3
	s_waitcnt lgkmcnt(0)
	v_addc_co_u32_e32 v2, vcc, v5, v2, vcc
.LBB13_141:
	s_or_b64 exec, exec, s[2:3]
	s_waitcnt lgkmcnt(0)
	v_or_b32_e32 v5, 8, v7
	ds_bpermute_b32 v3, v5, v3
	ds_bpermute_b32 v5, v5, v2
	v_add_u32_e32 v4, 2, v4
	s_waitcnt lgkmcnt(1)
	v_add_co_u32_e32 v3, vcc, v1, v3
	v_addc_co_u32_e32 v6, vcc, 0, v2, vcc
	v_add_co_u32_e32 v3, vcc, 0, v3
	s_waitcnt lgkmcnt(0)
	v_addc_co_u32_e32 v5, vcc, v6, v5, vcc
	v_cmp_gt_u32_e32 vcc, s4, v4
	v_cndmask_b32_e32 v2, v2, v5, vcc
	v_cndmask_b32_e32 v1, v1, v3, vcc
.LBB13_142:
	s_or_b64 exec, exec, s[0:1]
.LBB13_143:
	v_mov_b32_e32 v3, s6
	v_cmp_eq_u32_e64 s[2:3], 0, v0
	v_mov_b32_e32 v4, s7
.LBB13_144:
	s_branch .LBB13_206
.LBB13_145:
	s_cmp_gt_i32 s26, 1
	s_cbranch_scc0 .LBB13_153
; %bb.146:
	s_cmp_eq_u32 s26, 2
                                        ; implicit-def: $vgpr1_vgpr2
                                        ; implicit-def: $vgpr3_vgpr4
	s_cbranch_scc0 .LBB13_154
; %bb.147:
	s_mov_b32 s7, 0
	s_lshl_b32 s2, s6, 9
	s_mov_b32 s3, s7
	s_lshr_b64 s[4:5], s[18:19], 9
	s_lshl_b64 s[0:1], s[2:3], 3
	s_add_u32 s0, s16, s0
	s_addc_u32 s1, s17, s1
	s_cmp_lg_u64 s[4:5], s[6:7]
	s_cbranch_scc0 .LBB13_155
; %bb.148:
	v_lshlrev_b32_e32 v3, 3, v0
	global_load_dwordx2 v[1:2], v3, s[0:1]
	global_load_dwordx2 v[5:6], v3, s[0:1] offset:2048
	v_mbcnt_lo_u32_b32 v3, -1, 0
	v_mbcnt_hi_u32_b32 v3, -1, v3
	v_lshlrev_b32_e32 v4, 2, v3
	v_or_b32_e32 v7, 0xfc, v4
	s_waitcnt vmcnt(0)
	v_add_co_u32_e32 v1, vcc, v5, v1
	v_addc_co_u32_e32 v2, vcc, v6, v2, vcc
	s_nop 0
	v_mov_b32_dpp v5, v1 quad_perm:[1,0,3,2] row_mask:0xf bank_mask:0xf bound_ctrl:1
	v_add_co_u32_e32 v1, vcc, v1, v5
	v_mov_b32_dpp v6, v2 quad_perm:[1,0,3,2] row_mask:0xf bank_mask:0xf bound_ctrl:1
	v_addc_co_u32_e32 v2, vcc, 0, v2, vcc
	v_add_co_u32_e32 v5, vcc, 0, v1
	v_addc_co_u32_e32 v2, vcc, v6, v2, vcc
	v_mov_b32_dpp v1, v1 quad_perm:[2,3,0,1] row_mask:0xf bank_mask:0xf bound_ctrl:1
	v_add_co_u32_e32 v1, vcc, v5, v1
	v_mov_b32_dpp v6, v2 quad_perm:[2,3,0,1] row_mask:0xf bank_mask:0xf bound_ctrl:1
	v_addc_co_u32_e32 v2, vcc, 0, v2, vcc
	v_add_co_u32_e32 v5, vcc, 0, v1
	v_addc_co_u32_e32 v2, vcc, v2, v6, vcc
	v_mov_b32_dpp v1, v1 row_ror:4 row_mask:0xf bank_mask:0xf bound_ctrl:1
	v_add_co_u32_e32 v1, vcc, v5, v1
	v_mov_b32_dpp v6, v2 row_ror:4 row_mask:0xf bank_mask:0xf bound_ctrl:1
	v_addc_co_u32_e32 v2, vcc, 0, v2, vcc
	v_add_co_u32_e32 v5, vcc, 0, v1
	v_addc_co_u32_e32 v2, vcc, v2, v6, vcc
	v_mov_b32_dpp v1, v1 row_ror:8 row_mask:0xf bank_mask:0xf bound_ctrl:1
	v_add_co_u32_e32 v1, vcc, v5, v1
	v_mov_b32_dpp v6, v2 row_ror:8 row_mask:0xf bank_mask:0xf bound_ctrl:1
	v_addc_co_u32_e32 v2, vcc, 0, v2, vcc
	v_add_co_u32_e32 v5, vcc, 0, v1
	v_addc_co_u32_e32 v2, vcc, v2, v6, vcc
	v_mov_b32_dpp v1, v1 row_bcast:15 row_mask:0xf bank_mask:0xf bound_ctrl:1
	v_add_co_u32_e32 v1, vcc, v5, v1
	v_mov_b32_dpp v6, v2 row_bcast:15 row_mask:0xf bank_mask:0xf bound_ctrl:1
	v_addc_co_u32_e32 v2, vcc, 0, v2, vcc
	v_add_co_u32_e32 v5, vcc, 0, v1
	v_addc_co_u32_e32 v2, vcc, v2, v6, vcc
	v_mov_b32_dpp v1, v1 row_bcast:31 row_mask:0xf bank_mask:0xf bound_ctrl:1
	v_add_co_u32_e32 v1, vcc, v5, v1
	v_addc_co_u32_e32 v5, vcc, 0, v2, vcc
	ds_bpermute_b32 v1, v7, v1
	s_nop 0
	v_add_u32_dpp v2, v2, v5 row_bcast:31 row_mask:0xf bank_mask:0xf bound_ctrl:1
	ds_bpermute_b32 v2, v7, v2
	v_cmp_eq_u32_e32 vcc, 0, v3
	s_and_saveexec_b64 s[4:5], vcc
	s_cbranch_execz .LBB13_150
; %bb.149:
	v_lshrrev_b32_e32 v5, 3, v0
	v_and_b32_e32 v5, 24, v5
	s_waitcnt lgkmcnt(0)
	ds_write_b64 v5, v[1:2] offset:64
.LBB13_150:
	s_or_b64 exec, exec, s[4:5]
	v_cmp_gt_u32_e32 vcc, 64, v0
	s_waitcnt lgkmcnt(0)
	s_barrier
	s_and_saveexec_b64 s[4:5], vcc
	s_cbranch_execz .LBB13_152
; %bb.151:
	v_and_b32_e32 v5, 3, v3
	v_lshlrev_b32_e32 v1, 3, v5
	ds_read_b64 v[1:2], v1 offset:64
	v_cmp_ne_u32_e32 vcc, 3, v5
	v_addc_co_u32_e32 v3, vcc, 0, v3, vcc
	v_lshlrev_b32_e32 v3, 2, v3
	s_waitcnt lgkmcnt(0)
	ds_bpermute_b32 v5, v3, v1
	ds_bpermute_b32 v3, v3, v2
	v_or_b32_e32 v4, 8, v4
	s_waitcnt lgkmcnt(1)
	v_add_co_u32_e32 v1, vcc, v1, v5
	v_addc_co_u32_e32 v2, vcc, 0, v2, vcc
	ds_bpermute_b32 v5, v4, v1
	v_add_co_u32_e32 v1, vcc, 0, v1
	s_waitcnt lgkmcnt(1)
	v_addc_co_u32_e32 v2, vcc, v3, v2, vcc
	ds_bpermute_b32 v3, v4, v2
	s_waitcnt lgkmcnt(1)
	v_add_co_u32_e32 v1, vcc, v1, v5
	v_addc_co_u32_e32 v2, vcc, 0, v2, vcc
	v_add_co_u32_e32 v1, vcc, 0, v1
	s_waitcnt lgkmcnt(0)
	v_addc_co_u32_e32 v2, vcc, v2, v3, vcc
.LBB13_152:
	s_or_b64 exec, exec, s[4:5]
	s_branch .LBB13_177
.LBB13_153:
                                        ; implicit-def: $vgpr1_vgpr2
                                        ; implicit-def: $vgpr3_vgpr4
	s_cbranch_execnz .LBB13_178
	s_branch .LBB13_206
.LBB13_154:
	s_branch .LBB13_206
.LBB13_155:
                                        ; implicit-def: $vgpr1_vgpr2
	s_cbranch_execz .LBB13_177
; %bb.156:
	s_sub_i32 s4, s18, s2
	v_mov_b32_e32 v1, 0
	v_cmp_gt_u32_e32 vcc, s4, v0
	v_mov_b32_e32 v2, v1
	v_mov_b32_e32 v3, v1
	;; [unrolled: 1-line block ×3, first 2 shown]
	s_and_saveexec_b64 s[2:3], vcc
	s_cbranch_execz .LBB13_158
; %bb.157:
	v_lshlrev_b32_e32 v2, 3, v0
	global_load_dwordx2 v[2:3], v2, s[0:1]
	v_mov_b32_e32 v4, v1
	v_mov_b32_e32 v5, v1
	s_waitcnt vmcnt(0)
	v_mov_b32_e32 v1, v2
	v_mov_b32_e32 v2, v3
	;; [unrolled: 1-line block ×4, first 2 shown]
.LBB13_158:
	s_or_b64 exec, exec, s[2:3]
	v_or_b32_e32 v5, 0x100, v0
	v_cmp_gt_u32_e32 vcc, s4, v5
	s_and_saveexec_b64 s[2:3], vcc
	s_cbranch_execz .LBB13_160
; %bb.159:
	v_lshlrev_b32_e32 v3, 3, v0
	global_load_dwordx2 v[3:4], v3, s[0:1] offset:2048
.LBB13_160:
	s_or_b64 exec, exec, s[2:3]
	s_waitcnt vmcnt(0)
	v_cndmask_b32_e32 v3, 0, v3, vcc
	v_cndmask_b32_e32 v4, 0, v4, vcc
	v_add_co_u32_e32 v1, vcc, v3, v1
	v_mbcnt_lo_u32_b32 v3, -1, 0
	v_mbcnt_hi_u32_b32 v3, -1, v3
	v_addc_co_u32_e32 v2, vcc, v4, v2, vcc
	v_and_b32_e32 v4, 63, v3
	v_cmp_ne_u32_e32 vcc, 63, v4
	v_addc_co_u32_e32 v6, vcc, 0, v3, vcc
	v_lshlrev_b32_e32 v6, 2, v6
	ds_bpermute_b32 v8, v6, v1
	ds_bpermute_b32 v7, v6, v2
	s_min_u32 s2, s4, 0x100
	v_and_b32_e32 v5, 0xc0, v0
	v_sub_u32_e64 v5, s2, v5 clamp
	v_add_u32_e32 v6, 1, v4
	v_cmp_lt_u32_e32 vcc, v6, v5
	v_mov_b32_e32 v6, v1
	s_and_saveexec_b64 s[0:1], vcc
	s_cbranch_execz .LBB13_162
; %bb.161:
	s_waitcnt lgkmcnt(1)
	v_add_co_u32_e32 v6, vcc, v1, v8
	v_addc_co_u32_e32 v2, vcc, 0, v2, vcc
	v_add_co_u32_e32 v1, vcc, 0, v6
	s_waitcnt lgkmcnt(0)
	v_addc_co_u32_e32 v2, vcc, v7, v2, vcc
.LBB13_162:
	s_or_b64 exec, exec, s[0:1]
	v_cmp_gt_u32_e32 vcc, 62, v4
	s_waitcnt lgkmcnt(0)
	v_cndmask_b32_e64 v7, 0, 2, vcc
	v_add_lshl_u32 v7, v7, v3, 2
	ds_bpermute_b32 v8, v7, v6
	ds_bpermute_b32 v7, v7, v2
	v_add_u32_e32 v9, 2, v4
	v_cmp_lt_u32_e32 vcc, v9, v5
	s_and_saveexec_b64 s[0:1], vcc
	s_cbranch_execz .LBB13_164
; %bb.163:
	s_waitcnt lgkmcnt(1)
	v_add_co_u32_e32 v6, vcc, v1, v8
	v_addc_co_u32_e32 v2, vcc, 0, v2, vcc
	v_add_co_u32_e32 v1, vcc, 0, v6
	s_waitcnt lgkmcnt(0)
	v_addc_co_u32_e32 v2, vcc, v7, v2, vcc
.LBB13_164:
	s_or_b64 exec, exec, s[0:1]
	v_cmp_gt_u32_e32 vcc, 60, v4
	s_waitcnt lgkmcnt(0)
	v_cndmask_b32_e64 v7, 0, 4, vcc
	v_add_lshl_u32 v7, v7, v3, 2
	ds_bpermute_b32 v8, v7, v6
	ds_bpermute_b32 v7, v7, v2
	v_add_u32_e32 v9, 4, v4
	v_cmp_lt_u32_e32 vcc, v9, v5
	;; [unrolled: 19-line block ×4, first 2 shown]
	s_and_saveexec_b64 s[0:1], vcc
	s_cbranch_execz .LBB13_170
; %bb.169:
	s_waitcnt lgkmcnt(1)
	v_add_co_u32_e32 v6, vcc, v1, v8
	v_addc_co_u32_e32 v2, vcc, 0, v2, vcc
	v_add_co_u32_e32 v1, vcc, 0, v6
	s_waitcnt lgkmcnt(0)
	v_addc_co_u32_e32 v2, vcc, v7, v2, vcc
.LBB13_170:
	s_or_b64 exec, exec, s[0:1]
	s_waitcnt lgkmcnt(0)
	v_lshlrev_b32_e32 v7, 2, v3
	v_or_b32_e32 v8, 0x80, v7
	ds_bpermute_b32 v6, v8, v6
	ds_bpermute_b32 v8, v8, v2
	v_add_u32_e32 v4, 32, v4
	s_waitcnt lgkmcnt(1)
	v_add_co_u32_e32 v6, vcc, v1, v6
	v_addc_co_u32_e32 v9, vcc, 0, v2, vcc
	v_add_co_u32_e32 v6, vcc, 0, v6
	s_waitcnt lgkmcnt(0)
	v_addc_co_u32_e32 v8, vcc, v9, v8, vcc
	v_cmp_lt_u32_e32 vcc, v4, v5
	v_cndmask_b32_e32 v2, v2, v8, vcc
	v_cndmask_b32_e32 v1, v1, v6, vcc
	v_cmp_eq_u32_e32 vcc, 0, v3
	s_and_saveexec_b64 s[0:1], vcc
; %bb.171:
	v_lshrrev_b32_e32 v4, 3, v0
	v_and_b32_e32 v4, 24, v4
	ds_write_b64 v4, v[1:2] offset:160
; %bb.172:
	s_or_b64 exec, exec, s[0:1]
	v_cmp_gt_u32_e32 vcc, 4, v0
	s_waitcnt lgkmcnt(0)
	s_barrier
	s_and_saveexec_b64 s[0:1], vcc
	s_cbranch_execz .LBB13_176
; %bb.173:
	v_lshlrev_b32_e32 v1, 3, v3
	ds_read_b64 v[1:2], v1 offset:160
	v_and_b32_e32 v4, 3, v3
	v_cmp_ne_u32_e32 vcc, 3, v4
	v_addc_co_u32_e32 v3, vcc, 0, v3, vcc
	v_lshlrev_b32_e32 v3, 2, v3
	s_waitcnt lgkmcnt(0)
	ds_bpermute_b32 v6, v3, v1
	ds_bpermute_b32 v5, v3, v2
	s_add_i32 s2, s2, 63
	s_lshr_b32 s4, s2, 6
	v_add_u32_e32 v3, 1, v4
	v_cmp_gt_u32_e32 vcc, s4, v3
	v_mov_b32_e32 v3, v1
	s_and_saveexec_b64 s[2:3], vcc
	s_cbranch_execz .LBB13_175
; %bb.174:
	s_waitcnt lgkmcnt(1)
	v_add_co_u32_e32 v3, vcc, v1, v6
	v_addc_co_u32_e32 v2, vcc, 0, v2, vcc
	v_add_co_u32_e32 v1, vcc, 0, v3
	s_waitcnt lgkmcnt(0)
	v_addc_co_u32_e32 v2, vcc, v5, v2, vcc
.LBB13_175:
	s_or_b64 exec, exec, s[2:3]
	s_waitcnt lgkmcnt(0)
	v_or_b32_e32 v5, 8, v7
	ds_bpermute_b32 v3, v5, v3
	ds_bpermute_b32 v5, v5, v2
	v_add_u32_e32 v4, 2, v4
	s_waitcnt lgkmcnt(1)
	v_add_co_u32_e32 v3, vcc, v1, v3
	v_addc_co_u32_e32 v6, vcc, 0, v2, vcc
	v_add_co_u32_e32 v3, vcc, 0, v3
	s_waitcnt lgkmcnt(0)
	v_addc_co_u32_e32 v5, vcc, v6, v5, vcc
	v_cmp_gt_u32_e32 vcc, s4, v4
	v_cndmask_b32_e32 v2, v2, v5, vcc
	v_cndmask_b32_e32 v1, v1, v3, vcc
.LBB13_176:
	s_or_b64 exec, exec, s[0:1]
.LBB13_177:
	v_mov_b32_e32 v3, s6
	v_cmp_eq_u32_e64 s[2:3], 0, v0
	v_mov_b32_e32 v4, s7
	s_branch .LBB13_206
.LBB13_178:
	s_cmp_eq_u32 s26, 1
                                        ; implicit-def: $vgpr1_vgpr2
                                        ; implicit-def: $vgpr3_vgpr4
	s_cbranch_scc0 .LBB13_206
; %bb.179:
	s_mov_b32 s1, 0
	s_lshl_b32 s0, s6, 8
	s_mov_b32 s7, s1
	s_lshr_b64 s[2:3], s[18:19], 8
	s_cmp_lg_u64 s[2:3], s[6:7]
	v_mbcnt_lo_u32_b32 v3, -1, 0
	s_cbranch_scc0 .LBB13_185
; %bb.180:
	s_lshl_b64 s[2:3], s[0:1], 3
	s_add_u32 s2, s16, s2
	s_addc_u32 s3, s17, s3
	v_lshlrev_b32_e32 v1, 3, v0
	global_load_dwordx2 v[1:2], v1, s[2:3]
	v_mbcnt_hi_u32_b32 v4, -1, v3
	v_lshlrev_b32_e32 v5, 2, v4
	v_or_b32_e32 v6, 0xfc, v5
	s_waitcnt vmcnt(0)
	v_mov_b32_dpp v7, v1 quad_perm:[1,0,3,2] row_mask:0xf bank_mask:0xf bound_ctrl:1
	v_add_co_u32_e32 v1, vcc, v1, v7
	v_mov_b32_dpp v8, v2 quad_perm:[1,0,3,2] row_mask:0xf bank_mask:0xf bound_ctrl:1
	v_addc_co_u32_e32 v2, vcc, 0, v2, vcc
	v_add_co_u32_e32 v7, vcc, 0, v1
	v_addc_co_u32_e32 v2, vcc, v8, v2, vcc
	v_mov_b32_dpp v1, v1 quad_perm:[2,3,0,1] row_mask:0xf bank_mask:0xf bound_ctrl:1
	v_add_co_u32_e32 v1, vcc, v7, v1
	v_mov_b32_dpp v8, v2 quad_perm:[2,3,0,1] row_mask:0xf bank_mask:0xf bound_ctrl:1
	v_addc_co_u32_e32 v2, vcc, 0, v2, vcc
	v_add_co_u32_e32 v7, vcc, 0, v1
	v_addc_co_u32_e32 v2, vcc, v2, v8, vcc
	v_mov_b32_dpp v1, v1 row_ror:4 row_mask:0xf bank_mask:0xf bound_ctrl:1
	v_add_co_u32_e32 v1, vcc, v7, v1
	v_mov_b32_dpp v8, v2 row_ror:4 row_mask:0xf bank_mask:0xf bound_ctrl:1
	v_addc_co_u32_e32 v2, vcc, 0, v2, vcc
	v_add_co_u32_e32 v7, vcc, 0, v1
	v_addc_co_u32_e32 v2, vcc, v2, v8, vcc
	v_mov_b32_dpp v1, v1 row_ror:8 row_mask:0xf bank_mask:0xf bound_ctrl:1
	v_add_co_u32_e32 v1, vcc, v7, v1
	v_mov_b32_dpp v8, v2 row_ror:8 row_mask:0xf bank_mask:0xf bound_ctrl:1
	v_addc_co_u32_e32 v2, vcc, 0, v2, vcc
	v_add_co_u32_e32 v7, vcc, 0, v1
	v_addc_co_u32_e32 v2, vcc, v2, v8, vcc
	v_mov_b32_dpp v1, v1 row_bcast:15 row_mask:0xf bank_mask:0xf bound_ctrl:1
	v_add_co_u32_e32 v1, vcc, v7, v1
	v_mov_b32_dpp v8, v2 row_bcast:15 row_mask:0xf bank_mask:0xf bound_ctrl:1
	v_addc_co_u32_e32 v2, vcc, 0, v2, vcc
	v_add_co_u32_e32 v7, vcc, 0, v1
	v_addc_co_u32_e32 v2, vcc, v2, v8, vcc
	v_mov_b32_dpp v1, v1 row_bcast:31 row_mask:0xf bank_mask:0xf bound_ctrl:1
	v_add_co_u32_e32 v1, vcc, v7, v1
	v_addc_co_u32_e32 v7, vcc, 0, v2, vcc
	ds_bpermute_b32 v1, v6, v1
	s_nop 0
	v_add_u32_dpp v2, v2, v7 row_bcast:31 row_mask:0xf bank_mask:0xf bound_ctrl:1
	ds_bpermute_b32 v2, v6, v2
	v_cmp_eq_u32_e32 vcc, 0, v4
	s_and_saveexec_b64 s[2:3], vcc
	s_cbranch_execz .LBB13_182
; %bb.181:
	v_lshrrev_b32_e32 v6, 3, v0
	v_and_b32_e32 v6, 24, v6
	s_waitcnt lgkmcnt(0)
	ds_write_b64 v6, v[1:2] offset:32
.LBB13_182:
	s_or_b64 exec, exec, s[2:3]
	v_cmp_gt_u32_e32 vcc, 64, v0
	s_waitcnt lgkmcnt(0)
	s_barrier
	s_and_saveexec_b64 s[2:3], vcc
	s_cbranch_execz .LBB13_184
; %bb.183:
	v_and_b32_e32 v6, 3, v4
	v_lshlrev_b32_e32 v1, 3, v6
	ds_read_b64 v[1:2], v1 offset:32
	v_cmp_ne_u32_e32 vcc, 3, v6
	v_addc_co_u32_e32 v4, vcc, 0, v4, vcc
	v_lshlrev_b32_e32 v4, 2, v4
	s_waitcnt lgkmcnt(0)
	ds_bpermute_b32 v6, v4, v1
	ds_bpermute_b32 v4, v4, v2
	v_or_b32_e32 v5, 8, v5
	s_waitcnt lgkmcnt(1)
	v_add_co_u32_e32 v1, vcc, v1, v6
	v_addc_co_u32_e32 v2, vcc, 0, v2, vcc
	ds_bpermute_b32 v6, v5, v1
	v_add_co_u32_e32 v1, vcc, 0, v1
	s_waitcnt lgkmcnt(1)
	v_addc_co_u32_e32 v2, vcc, v4, v2, vcc
	ds_bpermute_b32 v4, v5, v2
	s_waitcnt lgkmcnt(1)
	v_add_co_u32_e32 v1, vcc, v1, v6
	v_addc_co_u32_e32 v2, vcc, 0, v2, vcc
	v_add_co_u32_e32 v1, vcc, 0, v1
	s_waitcnt lgkmcnt(0)
	v_addc_co_u32_e32 v2, vcc, v2, v4, vcc
.LBB13_184:
	s_or_b64 exec, exec, s[2:3]
	s_branch .LBB13_205
.LBB13_185:
                                        ; implicit-def: $vgpr1_vgpr2
	s_cbranch_execz .LBB13_205
; %bb.186:
	s_sub_i32 s4, s18, s0
	v_cmp_gt_u32_e32 vcc, s4, v0
                                        ; implicit-def: $vgpr1_vgpr2
	s_and_saveexec_b64 s[2:3], vcc
	s_cbranch_execz .LBB13_188
; %bb.187:
	s_lshl_b64 s[0:1], s[0:1], 3
	s_add_u32 s0, s16, s0
	s_addc_u32 s1, s17, s1
	v_lshlrev_b32_e32 v1, 3, v0
	global_load_dwordx2 v[1:2], v1, s[0:1]
.LBB13_188:
	s_or_b64 exec, exec, s[2:3]
	v_mbcnt_hi_u32_b32 v3, -1, v3
	v_and_b32_e32 v4, 63, v3
	v_cmp_ne_u32_e32 vcc, 63, v4
	v_addc_co_u32_e32 v6, vcc, 0, v3, vcc
	v_lshlrev_b32_e32 v6, 2, v6
	s_waitcnt vmcnt(0)
	ds_bpermute_b32 v8, v6, v1
	ds_bpermute_b32 v7, v6, v2
	s_min_u32 s2, s4, 0x100
	v_and_b32_e32 v5, 0xc0, v0
	v_sub_u32_e64 v5, s2, v5 clamp
	v_add_u32_e32 v6, 1, v4
	v_cmp_lt_u32_e32 vcc, v6, v5
	v_mov_b32_e32 v6, v1
	s_and_saveexec_b64 s[0:1], vcc
	s_cbranch_execz .LBB13_190
; %bb.189:
	s_waitcnt lgkmcnt(1)
	v_add_co_u32_e32 v6, vcc, v1, v8
	v_addc_co_u32_e32 v2, vcc, 0, v2, vcc
	v_add_co_u32_e32 v1, vcc, 0, v6
	s_waitcnt lgkmcnt(0)
	v_addc_co_u32_e32 v2, vcc, v7, v2, vcc
.LBB13_190:
	s_or_b64 exec, exec, s[0:1]
	v_cmp_gt_u32_e32 vcc, 62, v4
	s_waitcnt lgkmcnt(0)
	v_cndmask_b32_e64 v7, 0, 2, vcc
	v_add_lshl_u32 v7, v7, v3, 2
	ds_bpermute_b32 v8, v7, v6
	ds_bpermute_b32 v7, v7, v2
	v_add_u32_e32 v9, 2, v4
	v_cmp_lt_u32_e32 vcc, v9, v5
	s_and_saveexec_b64 s[0:1], vcc
	s_cbranch_execz .LBB13_192
; %bb.191:
	s_waitcnt lgkmcnt(1)
	v_add_co_u32_e32 v6, vcc, v1, v8
	v_addc_co_u32_e32 v2, vcc, 0, v2, vcc
	v_add_co_u32_e32 v1, vcc, 0, v6
	s_waitcnt lgkmcnt(0)
	v_addc_co_u32_e32 v2, vcc, v7, v2, vcc
.LBB13_192:
	s_or_b64 exec, exec, s[0:1]
	v_cmp_gt_u32_e32 vcc, 60, v4
	s_waitcnt lgkmcnt(0)
	v_cndmask_b32_e64 v7, 0, 4, vcc
	v_add_lshl_u32 v7, v7, v3, 2
	ds_bpermute_b32 v8, v7, v6
	ds_bpermute_b32 v7, v7, v2
	v_add_u32_e32 v9, 4, v4
	v_cmp_lt_u32_e32 vcc, v9, v5
	;; [unrolled: 19-line block ×4, first 2 shown]
	s_and_saveexec_b64 s[0:1], vcc
	s_cbranch_execz .LBB13_198
; %bb.197:
	s_waitcnt lgkmcnt(1)
	v_add_co_u32_e32 v6, vcc, v1, v8
	v_addc_co_u32_e32 v2, vcc, 0, v2, vcc
	v_add_co_u32_e32 v1, vcc, 0, v6
	s_waitcnt lgkmcnt(0)
	v_addc_co_u32_e32 v2, vcc, v7, v2, vcc
.LBB13_198:
	s_or_b64 exec, exec, s[0:1]
	s_waitcnt lgkmcnt(0)
	v_lshlrev_b32_e32 v7, 2, v3
	v_or_b32_e32 v8, 0x80, v7
	ds_bpermute_b32 v6, v8, v6
	ds_bpermute_b32 v8, v8, v2
	v_add_u32_e32 v4, 32, v4
	s_waitcnt lgkmcnt(1)
	v_add_co_u32_e32 v6, vcc, v1, v6
	v_addc_co_u32_e32 v9, vcc, 0, v2, vcc
	v_add_co_u32_e32 v6, vcc, 0, v6
	s_waitcnt lgkmcnt(0)
	v_addc_co_u32_e32 v8, vcc, v9, v8, vcc
	v_cmp_lt_u32_e32 vcc, v4, v5
	v_cndmask_b32_e32 v2, v2, v8, vcc
	v_cndmask_b32_e32 v1, v1, v6, vcc
	v_cmp_eq_u32_e32 vcc, 0, v3
	s_and_saveexec_b64 s[0:1], vcc
; %bb.199:
	v_lshrrev_b32_e32 v4, 3, v0
	v_and_b32_e32 v4, 24, v4
	ds_write_b64 v4, v[1:2] offset:160
; %bb.200:
	s_or_b64 exec, exec, s[0:1]
	v_cmp_gt_u32_e32 vcc, 4, v0
	s_waitcnt lgkmcnt(0)
	s_barrier
	s_and_saveexec_b64 s[0:1], vcc
	s_cbranch_execz .LBB13_204
; %bb.201:
	v_lshlrev_b32_e32 v1, 3, v3
	ds_read_b64 v[1:2], v1 offset:160
	v_and_b32_e32 v4, 3, v3
	v_cmp_ne_u32_e32 vcc, 3, v4
	v_addc_co_u32_e32 v3, vcc, 0, v3, vcc
	v_lshlrev_b32_e32 v3, 2, v3
	s_waitcnt lgkmcnt(0)
	ds_bpermute_b32 v6, v3, v1
	ds_bpermute_b32 v5, v3, v2
	s_add_i32 s2, s2, 63
	s_lshr_b32 s4, s2, 6
	v_add_u32_e32 v3, 1, v4
	v_cmp_gt_u32_e32 vcc, s4, v3
	v_mov_b32_e32 v3, v1
	s_and_saveexec_b64 s[2:3], vcc
	s_cbranch_execz .LBB13_203
; %bb.202:
	s_waitcnt lgkmcnt(1)
	v_add_co_u32_e32 v3, vcc, v1, v6
	v_addc_co_u32_e32 v2, vcc, 0, v2, vcc
	v_add_co_u32_e32 v1, vcc, 0, v3
	s_waitcnt lgkmcnt(0)
	v_addc_co_u32_e32 v2, vcc, v5, v2, vcc
.LBB13_203:
	s_or_b64 exec, exec, s[2:3]
	s_waitcnt lgkmcnt(0)
	v_or_b32_e32 v5, 8, v7
	ds_bpermute_b32 v3, v5, v3
	ds_bpermute_b32 v5, v5, v2
	v_add_u32_e32 v4, 2, v4
	s_waitcnt lgkmcnt(1)
	v_add_co_u32_e32 v3, vcc, v1, v3
	v_addc_co_u32_e32 v6, vcc, 0, v2, vcc
	v_add_co_u32_e32 v3, vcc, 0, v3
	s_waitcnt lgkmcnt(0)
	v_addc_co_u32_e32 v5, vcc, v6, v5, vcc
	v_cmp_gt_u32_e32 vcc, s4, v4
	v_cndmask_b32_e32 v2, v2, v5, vcc
	v_cndmask_b32_e32 v1, v1, v3, vcc
.LBB13_204:
	s_or_b64 exec, exec, s[0:1]
.LBB13_205:
	v_mov_b32_e32 v3, s6
	v_cmp_eq_u32_e64 s[2:3], 0, v0
	v_mov_b32_e32 v4, s7
.LBB13_206:
	s_and_saveexec_b64 s[0:1], s[2:3]
	s_cbranch_execz .LBB13_208
; %bb.207:
	v_lshlrev_b64 v[3:4], 3, v[3:4]
	v_mov_b32_e32 v0, s21
	v_add_co_u32_e32 v3, vcc, s20, v3
	v_addc_co_u32_e32 v4, vcc, v0, v4, vcc
	s_cmp_lg_u64 s[18:19], 0
	s_cselect_b64 vcc, -1, 0
	v_cndmask_b32_e32 v0, 0, v1, vcc
	v_cndmask_b32_e32 v2, 0, v2, vcc
	v_mov_b32_e32 v1, s23
	v_add_co_u32_e32 v0, vcc, s22, v0
	v_addc_co_u32_e32 v1, vcc, v2, v1, vcc
	global_store_dwordx2 v[3:4], v[0:1], off
.LBB13_208:
	s_endpgm
	.section	.rodata,"a",@progbits
	.p2align	6, 0x0
	.amdhsa_kernel _ZN7rocprim17ROCPRIM_400000_NS6detail17trampoline_kernelINS0_14default_configENS1_22reduce_config_selectorIlEEZNS1_11reduce_implILb1ES3_PlS7_lN6hipcub16HIPCUB_304000_NS6detail34convert_binary_result_type_wrapperINS9_3SumENS9_22TransformInputIteratorIb7NonZeroIaEPalEElEEEE10hipError_tPvRmT1_T2_T3_mT4_P12ihipStream_tbEUlT_E1_NS1_11comp_targetILNS1_3genE2ELNS1_11target_archE906ELNS1_3gpuE6ELNS1_3repE0EEENS1_30default_config_static_selectorELNS0_4arch9wavefront6targetE1EEEvSM_
		.amdhsa_group_segment_fixed_size 192
		.amdhsa_private_segment_fixed_size 0
		.amdhsa_kernarg_size 48
		.amdhsa_user_sgpr_count 6
		.amdhsa_user_sgpr_private_segment_buffer 1
		.amdhsa_user_sgpr_dispatch_ptr 0
		.amdhsa_user_sgpr_queue_ptr 0
		.amdhsa_user_sgpr_kernarg_segment_ptr 1
		.amdhsa_user_sgpr_dispatch_id 0
		.amdhsa_user_sgpr_flat_scratch_init 0
		.amdhsa_user_sgpr_private_segment_size 0
		.amdhsa_uses_dynamic_stack 0
		.amdhsa_system_sgpr_private_segment_wavefront_offset 0
		.amdhsa_system_sgpr_workgroup_id_x 1
		.amdhsa_system_sgpr_workgroup_id_y 0
		.amdhsa_system_sgpr_workgroup_id_z 0
		.amdhsa_system_sgpr_workgroup_info 0
		.amdhsa_system_vgpr_workitem_id 0
		.amdhsa_next_free_vgpr 34
		.amdhsa_next_free_sgpr 28
		.amdhsa_reserve_vcc 1
		.amdhsa_reserve_flat_scratch 0
		.amdhsa_float_round_mode_32 0
		.amdhsa_float_round_mode_16_64 0
		.amdhsa_float_denorm_mode_32 3
		.amdhsa_float_denorm_mode_16_64 3
		.amdhsa_dx10_clamp 1
		.amdhsa_ieee_mode 1
		.amdhsa_fp16_overflow 0
		.amdhsa_exception_fp_ieee_invalid_op 0
		.amdhsa_exception_fp_denorm_src 0
		.amdhsa_exception_fp_ieee_div_zero 0
		.amdhsa_exception_fp_ieee_overflow 0
		.amdhsa_exception_fp_ieee_underflow 0
		.amdhsa_exception_fp_ieee_inexact 0
		.amdhsa_exception_int_div_zero 0
	.end_amdhsa_kernel
	.section	.text._ZN7rocprim17ROCPRIM_400000_NS6detail17trampoline_kernelINS0_14default_configENS1_22reduce_config_selectorIlEEZNS1_11reduce_implILb1ES3_PlS7_lN6hipcub16HIPCUB_304000_NS6detail34convert_binary_result_type_wrapperINS9_3SumENS9_22TransformInputIteratorIb7NonZeroIaEPalEElEEEE10hipError_tPvRmT1_T2_T3_mT4_P12ihipStream_tbEUlT_E1_NS1_11comp_targetILNS1_3genE2ELNS1_11target_archE906ELNS1_3gpuE6ELNS1_3repE0EEENS1_30default_config_static_selectorELNS0_4arch9wavefront6targetE1EEEvSM_,"axG",@progbits,_ZN7rocprim17ROCPRIM_400000_NS6detail17trampoline_kernelINS0_14default_configENS1_22reduce_config_selectorIlEEZNS1_11reduce_implILb1ES3_PlS7_lN6hipcub16HIPCUB_304000_NS6detail34convert_binary_result_type_wrapperINS9_3SumENS9_22TransformInputIteratorIb7NonZeroIaEPalEElEEEE10hipError_tPvRmT1_T2_T3_mT4_P12ihipStream_tbEUlT_E1_NS1_11comp_targetILNS1_3genE2ELNS1_11target_archE906ELNS1_3gpuE6ELNS1_3repE0EEENS1_30default_config_static_selectorELNS0_4arch9wavefront6targetE1EEEvSM_,comdat
.Lfunc_end13:
	.size	_ZN7rocprim17ROCPRIM_400000_NS6detail17trampoline_kernelINS0_14default_configENS1_22reduce_config_selectorIlEEZNS1_11reduce_implILb1ES3_PlS7_lN6hipcub16HIPCUB_304000_NS6detail34convert_binary_result_type_wrapperINS9_3SumENS9_22TransformInputIteratorIb7NonZeroIaEPalEElEEEE10hipError_tPvRmT1_T2_T3_mT4_P12ihipStream_tbEUlT_E1_NS1_11comp_targetILNS1_3genE2ELNS1_11target_archE906ELNS1_3gpuE6ELNS1_3repE0EEENS1_30default_config_static_selectorELNS0_4arch9wavefront6targetE1EEEvSM_, .Lfunc_end13-_ZN7rocprim17ROCPRIM_400000_NS6detail17trampoline_kernelINS0_14default_configENS1_22reduce_config_selectorIlEEZNS1_11reduce_implILb1ES3_PlS7_lN6hipcub16HIPCUB_304000_NS6detail34convert_binary_result_type_wrapperINS9_3SumENS9_22TransformInputIteratorIb7NonZeroIaEPalEElEEEE10hipError_tPvRmT1_T2_T3_mT4_P12ihipStream_tbEUlT_E1_NS1_11comp_targetILNS1_3genE2ELNS1_11target_archE906ELNS1_3gpuE6ELNS1_3repE0EEENS1_30default_config_static_selectorELNS0_4arch9wavefront6targetE1EEEvSM_
                                        ; -- End function
	.set _ZN7rocprim17ROCPRIM_400000_NS6detail17trampoline_kernelINS0_14default_configENS1_22reduce_config_selectorIlEEZNS1_11reduce_implILb1ES3_PlS7_lN6hipcub16HIPCUB_304000_NS6detail34convert_binary_result_type_wrapperINS9_3SumENS9_22TransformInputIteratorIb7NonZeroIaEPalEElEEEE10hipError_tPvRmT1_T2_T3_mT4_P12ihipStream_tbEUlT_E1_NS1_11comp_targetILNS1_3genE2ELNS1_11target_archE906ELNS1_3gpuE6ELNS1_3repE0EEENS1_30default_config_static_selectorELNS0_4arch9wavefront6targetE1EEEvSM_.num_vgpr, 34
	.set _ZN7rocprim17ROCPRIM_400000_NS6detail17trampoline_kernelINS0_14default_configENS1_22reduce_config_selectorIlEEZNS1_11reduce_implILb1ES3_PlS7_lN6hipcub16HIPCUB_304000_NS6detail34convert_binary_result_type_wrapperINS9_3SumENS9_22TransformInputIteratorIb7NonZeroIaEPalEElEEEE10hipError_tPvRmT1_T2_T3_mT4_P12ihipStream_tbEUlT_E1_NS1_11comp_targetILNS1_3genE2ELNS1_11target_archE906ELNS1_3gpuE6ELNS1_3repE0EEENS1_30default_config_static_selectorELNS0_4arch9wavefront6targetE1EEEvSM_.num_agpr, 0
	.set _ZN7rocprim17ROCPRIM_400000_NS6detail17trampoline_kernelINS0_14default_configENS1_22reduce_config_selectorIlEEZNS1_11reduce_implILb1ES3_PlS7_lN6hipcub16HIPCUB_304000_NS6detail34convert_binary_result_type_wrapperINS9_3SumENS9_22TransformInputIteratorIb7NonZeroIaEPalEElEEEE10hipError_tPvRmT1_T2_T3_mT4_P12ihipStream_tbEUlT_E1_NS1_11comp_targetILNS1_3genE2ELNS1_11target_archE906ELNS1_3gpuE6ELNS1_3repE0EEENS1_30default_config_static_selectorELNS0_4arch9wavefront6targetE1EEEvSM_.numbered_sgpr, 28
	.set _ZN7rocprim17ROCPRIM_400000_NS6detail17trampoline_kernelINS0_14default_configENS1_22reduce_config_selectorIlEEZNS1_11reduce_implILb1ES3_PlS7_lN6hipcub16HIPCUB_304000_NS6detail34convert_binary_result_type_wrapperINS9_3SumENS9_22TransformInputIteratorIb7NonZeroIaEPalEElEEEE10hipError_tPvRmT1_T2_T3_mT4_P12ihipStream_tbEUlT_E1_NS1_11comp_targetILNS1_3genE2ELNS1_11target_archE906ELNS1_3gpuE6ELNS1_3repE0EEENS1_30default_config_static_selectorELNS0_4arch9wavefront6targetE1EEEvSM_.num_named_barrier, 0
	.set _ZN7rocprim17ROCPRIM_400000_NS6detail17trampoline_kernelINS0_14default_configENS1_22reduce_config_selectorIlEEZNS1_11reduce_implILb1ES3_PlS7_lN6hipcub16HIPCUB_304000_NS6detail34convert_binary_result_type_wrapperINS9_3SumENS9_22TransformInputIteratorIb7NonZeroIaEPalEElEEEE10hipError_tPvRmT1_T2_T3_mT4_P12ihipStream_tbEUlT_E1_NS1_11comp_targetILNS1_3genE2ELNS1_11target_archE906ELNS1_3gpuE6ELNS1_3repE0EEENS1_30default_config_static_selectorELNS0_4arch9wavefront6targetE1EEEvSM_.private_seg_size, 0
	.set _ZN7rocprim17ROCPRIM_400000_NS6detail17trampoline_kernelINS0_14default_configENS1_22reduce_config_selectorIlEEZNS1_11reduce_implILb1ES3_PlS7_lN6hipcub16HIPCUB_304000_NS6detail34convert_binary_result_type_wrapperINS9_3SumENS9_22TransformInputIteratorIb7NonZeroIaEPalEElEEEE10hipError_tPvRmT1_T2_T3_mT4_P12ihipStream_tbEUlT_E1_NS1_11comp_targetILNS1_3genE2ELNS1_11target_archE906ELNS1_3gpuE6ELNS1_3repE0EEENS1_30default_config_static_selectorELNS0_4arch9wavefront6targetE1EEEvSM_.uses_vcc, 1
	.set _ZN7rocprim17ROCPRIM_400000_NS6detail17trampoline_kernelINS0_14default_configENS1_22reduce_config_selectorIlEEZNS1_11reduce_implILb1ES3_PlS7_lN6hipcub16HIPCUB_304000_NS6detail34convert_binary_result_type_wrapperINS9_3SumENS9_22TransformInputIteratorIb7NonZeroIaEPalEElEEEE10hipError_tPvRmT1_T2_T3_mT4_P12ihipStream_tbEUlT_E1_NS1_11comp_targetILNS1_3genE2ELNS1_11target_archE906ELNS1_3gpuE6ELNS1_3repE0EEENS1_30default_config_static_selectorELNS0_4arch9wavefront6targetE1EEEvSM_.uses_flat_scratch, 0
	.set _ZN7rocprim17ROCPRIM_400000_NS6detail17trampoline_kernelINS0_14default_configENS1_22reduce_config_selectorIlEEZNS1_11reduce_implILb1ES3_PlS7_lN6hipcub16HIPCUB_304000_NS6detail34convert_binary_result_type_wrapperINS9_3SumENS9_22TransformInputIteratorIb7NonZeroIaEPalEElEEEE10hipError_tPvRmT1_T2_T3_mT4_P12ihipStream_tbEUlT_E1_NS1_11comp_targetILNS1_3genE2ELNS1_11target_archE906ELNS1_3gpuE6ELNS1_3repE0EEENS1_30default_config_static_selectorELNS0_4arch9wavefront6targetE1EEEvSM_.has_dyn_sized_stack, 0
	.set _ZN7rocprim17ROCPRIM_400000_NS6detail17trampoline_kernelINS0_14default_configENS1_22reduce_config_selectorIlEEZNS1_11reduce_implILb1ES3_PlS7_lN6hipcub16HIPCUB_304000_NS6detail34convert_binary_result_type_wrapperINS9_3SumENS9_22TransformInputIteratorIb7NonZeroIaEPalEElEEEE10hipError_tPvRmT1_T2_T3_mT4_P12ihipStream_tbEUlT_E1_NS1_11comp_targetILNS1_3genE2ELNS1_11target_archE906ELNS1_3gpuE6ELNS1_3repE0EEENS1_30default_config_static_selectorELNS0_4arch9wavefront6targetE1EEEvSM_.has_recursion, 0
	.set _ZN7rocprim17ROCPRIM_400000_NS6detail17trampoline_kernelINS0_14default_configENS1_22reduce_config_selectorIlEEZNS1_11reduce_implILb1ES3_PlS7_lN6hipcub16HIPCUB_304000_NS6detail34convert_binary_result_type_wrapperINS9_3SumENS9_22TransformInputIteratorIb7NonZeroIaEPalEElEEEE10hipError_tPvRmT1_T2_T3_mT4_P12ihipStream_tbEUlT_E1_NS1_11comp_targetILNS1_3genE2ELNS1_11target_archE906ELNS1_3gpuE6ELNS1_3repE0EEENS1_30default_config_static_selectorELNS0_4arch9wavefront6targetE1EEEvSM_.has_indirect_call, 0
	.section	.AMDGPU.csdata,"",@progbits
; Kernel info:
; codeLenInByte = 8996
; TotalNumSgprs: 32
; NumVgprs: 34
; ScratchSize: 0
; MemoryBound: 0
; FloatMode: 240
; IeeeMode: 1
; LDSByteSize: 192 bytes/workgroup (compile time only)
; SGPRBlocks: 3
; VGPRBlocks: 8
; NumSGPRsForWavesPerEU: 32
; NumVGPRsForWavesPerEU: 34
; Occupancy: 7
; WaveLimiterHint : 1
; COMPUTE_PGM_RSRC2:SCRATCH_EN: 0
; COMPUTE_PGM_RSRC2:USER_SGPR: 6
; COMPUTE_PGM_RSRC2:TRAP_HANDLER: 0
; COMPUTE_PGM_RSRC2:TGID_X_EN: 1
; COMPUTE_PGM_RSRC2:TGID_Y_EN: 0
; COMPUTE_PGM_RSRC2:TGID_Z_EN: 0
; COMPUTE_PGM_RSRC2:TIDIG_COMP_CNT: 0
	.section	.text._ZN7rocprim17ROCPRIM_400000_NS6detail17trampoline_kernelINS0_14default_configENS1_22reduce_config_selectorIlEEZNS1_11reduce_implILb1ES3_PlS7_lN6hipcub16HIPCUB_304000_NS6detail34convert_binary_result_type_wrapperINS9_3SumENS9_22TransformInputIteratorIb7NonZeroIaEPalEElEEEE10hipError_tPvRmT1_T2_T3_mT4_P12ihipStream_tbEUlT_E1_NS1_11comp_targetILNS1_3genE10ELNS1_11target_archE1201ELNS1_3gpuE5ELNS1_3repE0EEENS1_30default_config_static_selectorELNS0_4arch9wavefront6targetE1EEEvSM_,"axG",@progbits,_ZN7rocprim17ROCPRIM_400000_NS6detail17trampoline_kernelINS0_14default_configENS1_22reduce_config_selectorIlEEZNS1_11reduce_implILb1ES3_PlS7_lN6hipcub16HIPCUB_304000_NS6detail34convert_binary_result_type_wrapperINS9_3SumENS9_22TransformInputIteratorIb7NonZeroIaEPalEElEEEE10hipError_tPvRmT1_T2_T3_mT4_P12ihipStream_tbEUlT_E1_NS1_11comp_targetILNS1_3genE10ELNS1_11target_archE1201ELNS1_3gpuE5ELNS1_3repE0EEENS1_30default_config_static_selectorELNS0_4arch9wavefront6targetE1EEEvSM_,comdat
	.protected	_ZN7rocprim17ROCPRIM_400000_NS6detail17trampoline_kernelINS0_14default_configENS1_22reduce_config_selectorIlEEZNS1_11reduce_implILb1ES3_PlS7_lN6hipcub16HIPCUB_304000_NS6detail34convert_binary_result_type_wrapperINS9_3SumENS9_22TransformInputIteratorIb7NonZeroIaEPalEElEEEE10hipError_tPvRmT1_T2_T3_mT4_P12ihipStream_tbEUlT_E1_NS1_11comp_targetILNS1_3genE10ELNS1_11target_archE1201ELNS1_3gpuE5ELNS1_3repE0EEENS1_30default_config_static_selectorELNS0_4arch9wavefront6targetE1EEEvSM_ ; -- Begin function _ZN7rocprim17ROCPRIM_400000_NS6detail17trampoline_kernelINS0_14default_configENS1_22reduce_config_selectorIlEEZNS1_11reduce_implILb1ES3_PlS7_lN6hipcub16HIPCUB_304000_NS6detail34convert_binary_result_type_wrapperINS9_3SumENS9_22TransformInputIteratorIb7NonZeroIaEPalEElEEEE10hipError_tPvRmT1_T2_T3_mT4_P12ihipStream_tbEUlT_E1_NS1_11comp_targetILNS1_3genE10ELNS1_11target_archE1201ELNS1_3gpuE5ELNS1_3repE0EEENS1_30default_config_static_selectorELNS0_4arch9wavefront6targetE1EEEvSM_
	.globl	_ZN7rocprim17ROCPRIM_400000_NS6detail17trampoline_kernelINS0_14default_configENS1_22reduce_config_selectorIlEEZNS1_11reduce_implILb1ES3_PlS7_lN6hipcub16HIPCUB_304000_NS6detail34convert_binary_result_type_wrapperINS9_3SumENS9_22TransformInputIteratorIb7NonZeroIaEPalEElEEEE10hipError_tPvRmT1_T2_T3_mT4_P12ihipStream_tbEUlT_E1_NS1_11comp_targetILNS1_3genE10ELNS1_11target_archE1201ELNS1_3gpuE5ELNS1_3repE0EEENS1_30default_config_static_selectorELNS0_4arch9wavefront6targetE1EEEvSM_
	.p2align	8
	.type	_ZN7rocprim17ROCPRIM_400000_NS6detail17trampoline_kernelINS0_14default_configENS1_22reduce_config_selectorIlEEZNS1_11reduce_implILb1ES3_PlS7_lN6hipcub16HIPCUB_304000_NS6detail34convert_binary_result_type_wrapperINS9_3SumENS9_22TransformInputIteratorIb7NonZeroIaEPalEElEEEE10hipError_tPvRmT1_T2_T3_mT4_P12ihipStream_tbEUlT_E1_NS1_11comp_targetILNS1_3genE10ELNS1_11target_archE1201ELNS1_3gpuE5ELNS1_3repE0EEENS1_30default_config_static_selectorELNS0_4arch9wavefront6targetE1EEEvSM_,@function
_ZN7rocprim17ROCPRIM_400000_NS6detail17trampoline_kernelINS0_14default_configENS1_22reduce_config_selectorIlEEZNS1_11reduce_implILb1ES3_PlS7_lN6hipcub16HIPCUB_304000_NS6detail34convert_binary_result_type_wrapperINS9_3SumENS9_22TransformInputIteratorIb7NonZeroIaEPalEElEEEE10hipError_tPvRmT1_T2_T3_mT4_P12ihipStream_tbEUlT_E1_NS1_11comp_targetILNS1_3genE10ELNS1_11target_archE1201ELNS1_3gpuE5ELNS1_3repE0EEENS1_30default_config_static_selectorELNS0_4arch9wavefront6targetE1EEEvSM_: ; @_ZN7rocprim17ROCPRIM_400000_NS6detail17trampoline_kernelINS0_14default_configENS1_22reduce_config_selectorIlEEZNS1_11reduce_implILb1ES3_PlS7_lN6hipcub16HIPCUB_304000_NS6detail34convert_binary_result_type_wrapperINS9_3SumENS9_22TransformInputIteratorIb7NonZeroIaEPalEElEEEE10hipError_tPvRmT1_T2_T3_mT4_P12ihipStream_tbEUlT_E1_NS1_11comp_targetILNS1_3genE10ELNS1_11target_archE1201ELNS1_3gpuE5ELNS1_3repE0EEENS1_30default_config_static_selectorELNS0_4arch9wavefront6targetE1EEEvSM_
; %bb.0:
	.section	.rodata,"a",@progbits
	.p2align	6, 0x0
	.amdhsa_kernel _ZN7rocprim17ROCPRIM_400000_NS6detail17trampoline_kernelINS0_14default_configENS1_22reduce_config_selectorIlEEZNS1_11reduce_implILb1ES3_PlS7_lN6hipcub16HIPCUB_304000_NS6detail34convert_binary_result_type_wrapperINS9_3SumENS9_22TransformInputIteratorIb7NonZeroIaEPalEElEEEE10hipError_tPvRmT1_T2_T3_mT4_P12ihipStream_tbEUlT_E1_NS1_11comp_targetILNS1_3genE10ELNS1_11target_archE1201ELNS1_3gpuE5ELNS1_3repE0EEENS1_30default_config_static_selectorELNS0_4arch9wavefront6targetE1EEEvSM_
		.amdhsa_group_segment_fixed_size 0
		.amdhsa_private_segment_fixed_size 0
		.amdhsa_kernarg_size 48
		.amdhsa_user_sgpr_count 6
		.amdhsa_user_sgpr_private_segment_buffer 1
		.amdhsa_user_sgpr_dispatch_ptr 0
		.amdhsa_user_sgpr_queue_ptr 0
		.amdhsa_user_sgpr_kernarg_segment_ptr 1
		.amdhsa_user_sgpr_dispatch_id 0
		.amdhsa_user_sgpr_flat_scratch_init 0
		.amdhsa_user_sgpr_private_segment_size 0
		.amdhsa_uses_dynamic_stack 0
		.amdhsa_system_sgpr_private_segment_wavefront_offset 0
		.amdhsa_system_sgpr_workgroup_id_x 1
		.amdhsa_system_sgpr_workgroup_id_y 0
		.amdhsa_system_sgpr_workgroup_id_z 0
		.amdhsa_system_sgpr_workgroup_info 0
		.amdhsa_system_vgpr_workitem_id 0
		.amdhsa_next_free_vgpr 1
		.amdhsa_next_free_sgpr 0
		.amdhsa_reserve_vcc 0
		.amdhsa_reserve_flat_scratch 0
		.amdhsa_float_round_mode_32 0
		.amdhsa_float_round_mode_16_64 0
		.amdhsa_float_denorm_mode_32 3
		.amdhsa_float_denorm_mode_16_64 3
		.amdhsa_dx10_clamp 1
		.amdhsa_ieee_mode 1
		.amdhsa_fp16_overflow 0
		.amdhsa_exception_fp_ieee_invalid_op 0
		.amdhsa_exception_fp_denorm_src 0
		.amdhsa_exception_fp_ieee_div_zero 0
		.amdhsa_exception_fp_ieee_overflow 0
		.amdhsa_exception_fp_ieee_underflow 0
		.amdhsa_exception_fp_ieee_inexact 0
		.amdhsa_exception_int_div_zero 0
	.end_amdhsa_kernel
	.section	.text._ZN7rocprim17ROCPRIM_400000_NS6detail17trampoline_kernelINS0_14default_configENS1_22reduce_config_selectorIlEEZNS1_11reduce_implILb1ES3_PlS7_lN6hipcub16HIPCUB_304000_NS6detail34convert_binary_result_type_wrapperINS9_3SumENS9_22TransformInputIteratorIb7NonZeroIaEPalEElEEEE10hipError_tPvRmT1_T2_T3_mT4_P12ihipStream_tbEUlT_E1_NS1_11comp_targetILNS1_3genE10ELNS1_11target_archE1201ELNS1_3gpuE5ELNS1_3repE0EEENS1_30default_config_static_selectorELNS0_4arch9wavefront6targetE1EEEvSM_,"axG",@progbits,_ZN7rocprim17ROCPRIM_400000_NS6detail17trampoline_kernelINS0_14default_configENS1_22reduce_config_selectorIlEEZNS1_11reduce_implILb1ES3_PlS7_lN6hipcub16HIPCUB_304000_NS6detail34convert_binary_result_type_wrapperINS9_3SumENS9_22TransformInputIteratorIb7NonZeroIaEPalEElEEEE10hipError_tPvRmT1_T2_T3_mT4_P12ihipStream_tbEUlT_E1_NS1_11comp_targetILNS1_3genE10ELNS1_11target_archE1201ELNS1_3gpuE5ELNS1_3repE0EEENS1_30default_config_static_selectorELNS0_4arch9wavefront6targetE1EEEvSM_,comdat
.Lfunc_end14:
	.size	_ZN7rocprim17ROCPRIM_400000_NS6detail17trampoline_kernelINS0_14default_configENS1_22reduce_config_selectorIlEEZNS1_11reduce_implILb1ES3_PlS7_lN6hipcub16HIPCUB_304000_NS6detail34convert_binary_result_type_wrapperINS9_3SumENS9_22TransformInputIteratorIb7NonZeroIaEPalEElEEEE10hipError_tPvRmT1_T2_T3_mT4_P12ihipStream_tbEUlT_E1_NS1_11comp_targetILNS1_3genE10ELNS1_11target_archE1201ELNS1_3gpuE5ELNS1_3repE0EEENS1_30default_config_static_selectorELNS0_4arch9wavefront6targetE1EEEvSM_, .Lfunc_end14-_ZN7rocprim17ROCPRIM_400000_NS6detail17trampoline_kernelINS0_14default_configENS1_22reduce_config_selectorIlEEZNS1_11reduce_implILb1ES3_PlS7_lN6hipcub16HIPCUB_304000_NS6detail34convert_binary_result_type_wrapperINS9_3SumENS9_22TransformInputIteratorIb7NonZeroIaEPalEElEEEE10hipError_tPvRmT1_T2_T3_mT4_P12ihipStream_tbEUlT_E1_NS1_11comp_targetILNS1_3genE10ELNS1_11target_archE1201ELNS1_3gpuE5ELNS1_3repE0EEENS1_30default_config_static_selectorELNS0_4arch9wavefront6targetE1EEEvSM_
                                        ; -- End function
	.set _ZN7rocprim17ROCPRIM_400000_NS6detail17trampoline_kernelINS0_14default_configENS1_22reduce_config_selectorIlEEZNS1_11reduce_implILb1ES3_PlS7_lN6hipcub16HIPCUB_304000_NS6detail34convert_binary_result_type_wrapperINS9_3SumENS9_22TransformInputIteratorIb7NonZeroIaEPalEElEEEE10hipError_tPvRmT1_T2_T3_mT4_P12ihipStream_tbEUlT_E1_NS1_11comp_targetILNS1_3genE10ELNS1_11target_archE1201ELNS1_3gpuE5ELNS1_3repE0EEENS1_30default_config_static_selectorELNS0_4arch9wavefront6targetE1EEEvSM_.num_vgpr, 0
	.set _ZN7rocprim17ROCPRIM_400000_NS6detail17trampoline_kernelINS0_14default_configENS1_22reduce_config_selectorIlEEZNS1_11reduce_implILb1ES3_PlS7_lN6hipcub16HIPCUB_304000_NS6detail34convert_binary_result_type_wrapperINS9_3SumENS9_22TransformInputIteratorIb7NonZeroIaEPalEElEEEE10hipError_tPvRmT1_T2_T3_mT4_P12ihipStream_tbEUlT_E1_NS1_11comp_targetILNS1_3genE10ELNS1_11target_archE1201ELNS1_3gpuE5ELNS1_3repE0EEENS1_30default_config_static_selectorELNS0_4arch9wavefront6targetE1EEEvSM_.num_agpr, 0
	.set _ZN7rocprim17ROCPRIM_400000_NS6detail17trampoline_kernelINS0_14default_configENS1_22reduce_config_selectorIlEEZNS1_11reduce_implILb1ES3_PlS7_lN6hipcub16HIPCUB_304000_NS6detail34convert_binary_result_type_wrapperINS9_3SumENS9_22TransformInputIteratorIb7NonZeroIaEPalEElEEEE10hipError_tPvRmT1_T2_T3_mT4_P12ihipStream_tbEUlT_E1_NS1_11comp_targetILNS1_3genE10ELNS1_11target_archE1201ELNS1_3gpuE5ELNS1_3repE0EEENS1_30default_config_static_selectorELNS0_4arch9wavefront6targetE1EEEvSM_.numbered_sgpr, 0
	.set _ZN7rocprim17ROCPRIM_400000_NS6detail17trampoline_kernelINS0_14default_configENS1_22reduce_config_selectorIlEEZNS1_11reduce_implILb1ES3_PlS7_lN6hipcub16HIPCUB_304000_NS6detail34convert_binary_result_type_wrapperINS9_3SumENS9_22TransformInputIteratorIb7NonZeroIaEPalEElEEEE10hipError_tPvRmT1_T2_T3_mT4_P12ihipStream_tbEUlT_E1_NS1_11comp_targetILNS1_3genE10ELNS1_11target_archE1201ELNS1_3gpuE5ELNS1_3repE0EEENS1_30default_config_static_selectorELNS0_4arch9wavefront6targetE1EEEvSM_.num_named_barrier, 0
	.set _ZN7rocprim17ROCPRIM_400000_NS6detail17trampoline_kernelINS0_14default_configENS1_22reduce_config_selectorIlEEZNS1_11reduce_implILb1ES3_PlS7_lN6hipcub16HIPCUB_304000_NS6detail34convert_binary_result_type_wrapperINS9_3SumENS9_22TransformInputIteratorIb7NonZeroIaEPalEElEEEE10hipError_tPvRmT1_T2_T3_mT4_P12ihipStream_tbEUlT_E1_NS1_11comp_targetILNS1_3genE10ELNS1_11target_archE1201ELNS1_3gpuE5ELNS1_3repE0EEENS1_30default_config_static_selectorELNS0_4arch9wavefront6targetE1EEEvSM_.private_seg_size, 0
	.set _ZN7rocprim17ROCPRIM_400000_NS6detail17trampoline_kernelINS0_14default_configENS1_22reduce_config_selectorIlEEZNS1_11reduce_implILb1ES3_PlS7_lN6hipcub16HIPCUB_304000_NS6detail34convert_binary_result_type_wrapperINS9_3SumENS9_22TransformInputIteratorIb7NonZeroIaEPalEElEEEE10hipError_tPvRmT1_T2_T3_mT4_P12ihipStream_tbEUlT_E1_NS1_11comp_targetILNS1_3genE10ELNS1_11target_archE1201ELNS1_3gpuE5ELNS1_3repE0EEENS1_30default_config_static_selectorELNS0_4arch9wavefront6targetE1EEEvSM_.uses_vcc, 0
	.set _ZN7rocprim17ROCPRIM_400000_NS6detail17trampoline_kernelINS0_14default_configENS1_22reduce_config_selectorIlEEZNS1_11reduce_implILb1ES3_PlS7_lN6hipcub16HIPCUB_304000_NS6detail34convert_binary_result_type_wrapperINS9_3SumENS9_22TransformInputIteratorIb7NonZeroIaEPalEElEEEE10hipError_tPvRmT1_T2_T3_mT4_P12ihipStream_tbEUlT_E1_NS1_11comp_targetILNS1_3genE10ELNS1_11target_archE1201ELNS1_3gpuE5ELNS1_3repE0EEENS1_30default_config_static_selectorELNS0_4arch9wavefront6targetE1EEEvSM_.uses_flat_scratch, 0
	.set _ZN7rocprim17ROCPRIM_400000_NS6detail17trampoline_kernelINS0_14default_configENS1_22reduce_config_selectorIlEEZNS1_11reduce_implILb1ES3_PlS7_lN6hipcub16HIPCUB_304000_NS6detail34convert_binary_result_type_wrapperINS9_3SumENS9_22TransformInputIteratorIb7NonZeroIaEPalEElEEEE10hipError_tPvRmT1_T2_T3_mT4_P12ihipStream_tbEUlT_E1_NS1_11comp_targetILNS1_3genE10ELNS1_11target_archE1201ELNS1_3gpuE5ELNS1_3repE0EEENS1_30default_config_static_selectorELNS0_4arch9wavefront6targetE1EEEvSM_.has_dyn_sized_stack, 0
	.set _ZN7rocprim17ROCPRIM_400000_NS6detail17trampoline_kernelINS0_14default_configENS1_22reduce_config_selectorIlEEZNS1_11reduce_implILb1ES3_PlS7_lN6hipcub16HIPCUB_304000_NS6detail34convert_binary_result_type_wrapperINS9_3SumENS9_22TransformInputIteratorIb7NonZeroIaEPalEElEEEE10hipError_tPvRmT1_T2_T3_mT4_P12ihipStream_tbEUlT_E1_NS1_11comp_targetILNS1_3genE10ELNS1_11target_archE1201ELNS1_3gpuE5ELNS1_3repE0EEENS1_30default_config_static_selectorELNS0_4arch9wavefront6targetE1EEEvSM_.has_recursion, 0
	.set _ZN7rocprim17ROCPRIM_400000_NS6detail17trampoline_kernelINS0_14default_configENS1_22reduce_config_selectorIlEEZNS1_11reduce_implILb1ES3_PlS7_lN6hipcub16HIPCUB_304000_NS6detail34convert_binary_result_type_wrapperINS9_3SumENS9_22TransformInputIteratorIb7NonZeroIaEPalEElEEEE10hipError_tPvRmT1_T2_T3_mT4_P12ihipStream_tbEUlT_E1_NS1_11comp_targetILNS1_3genE10ELNS1_11target_archE1201ELNS1_3gpuE5ELNS1_3repE0EEENS1_30default_config_static_selectorELNS0_4arch9wavefront6targetE1EEEvSM_.has_indirect_call, 0
	.section	.AMDGPU.csdata,"",@progbits
; Kernel info:
; codeLenInByte = 0
; TotalNumSgprs: 4
; NumVgprs: 0
; ScratchSize: 0
; MemoryBound: 0
; FloatMode: 240
; IeeeMode: 1
; LDSByteSize: 0 bytes/workgroup (compile time only)
; SGPRBlocks: 0
; VGPRBlocks: 0
; NumSGPRsForWavesPerEU: 4
; NumVGPRsForWavesPerEU: 1
; Occupancy: 10
; WaveLimiterHint : 0
; COMPUTE_PGM_RSRC2:SCRATCH_EN: 0
; COMPUTE_PGM_RSRC2:USER_SGPR: 6
; COMPUTE_PGM_RSRC2:TRAP_HANDLER: 0
; COMPUTE_PGM_RSRC2:TGID_X_EN: 1
; COMPUTE_PGM_RSRC2:TGID_Y_EN: 0
; COMPUTE_PGM_RSRC2:TGID_Z_EN: 0
; COMPUTE_PGM_RSRC2:TIDIG_COMP_CNT: 0
	.section	.text._ZN7rocprim17ROCPRIM_400000_NS6detail17trampoline_kernelINS0_14default_configENS1_22reduce_config_selectorIlEEZNS1_11reduce_implILb1ES3_PlS7_lN6hipcub16HIPCUB_304000_NS6detail34convert_binary_result_type_wrapperINS9_3SumENS9_22TransformInputIteratorIb7NonZeroIaEPalEElEEEE10hipError_tPvRmT1_T2_T3_mT4_P12ihipStream_tbEUlT_E1_NS1_11comp_targetILNS1_3genE10ELNS1_11target_archE1200ELNS1_3gpuE4ELNS1_3repE0EEENS1_30default_config_static_selectorELNS0_4arch9wavefront6targetE1EEEvSM_,"axG",@progbits,_ZN7rocprim17ROCPRIM_400000_NS6detail17trampoline_kernelINS0_14default_configENS1_22reduce_config_selectorIlEEZNS1_11reduce_implILb1ES3_PlS7_lN6hipcub16HIPCUB_304000_NS6detail34convert_binary_result_type_wrapperINS9_3SumENS9_22TransformInputIteratorIb7NonZeroIaEPalEElEEEE10hipError_tPvRmT1_T2_T3_mT4_P12ihipStream_tbEUlT_E1_NS1_11comp_targetILNS1_3genE10ELNS1_11target_archE1200ELNS1_3gpuE4ELNS1_3repE0EEENS1_30default_config_static_selectorELNS0_4arch9wavefront6targetE1EEEvSM_,comdat
	.protected	_ZN7rocprim17ROCPRIM_400000_NS6detail17trampoline_kernelINS0_14default_configENS1_22reduce_config_selectorIlEEZNS1_11reduce_implILb1ES3_PlS7_lN6hipcub16HIPCUB_304000_NS6detail34convert_binary_result_type_wrapperINS9_3SumENS9_22TransformInputIteratorIb7NonZeroIaEPalEElEEEE10hipError_tPvRmT1_T2_T3_mT4_P12ihipStream_tbEUlT_E1_NS1_11comp_targetILNS1_3genE10ELNS1_11target_archE1200ELNS1_3gpuE4ELNS1_3repE0EEENS1_30default_config_static_selectorELNS0_4arch9wavefront6targetE1EEEvSM_ ; -- Begin function _ZN7rocprim17ROCPRIM_400000_NS6detail17trampoline_kernelINS0_14default_configENS1_22reduce_config_selectorIlEEZNS1_11reduce_implILb1ES3_PlS7_lN6hipcub16HIPCUB_304000_NS6detail34convert_binary_result_type_wrapperINS9_3SumENS9_22TransformInputIteratorIb7NonZeroIaEPalEElEEEE10hipError_tPvRmT1_T2_T3_mT4_P12ihipStream_tbEUlT_E1_NS1_11comp_targetILNS1_3genE10ELNS1_11target_archE1200ELNS1_3gpuE4ELNS1_3repE0EEENS1_30default_config_static_selectorELNS0_4arch9wavefront6targetE1EEEvSM_
	.globl	_ZN7rocprim17ROCPRIM_400000_NS6detail17trampoline_kernelINS0_14default_configENS1_22reduce_config_selectorIlEEZNS1_11reduce_implILb1ES3_PlS7_lN6hipcub16HIPCUB_304000_NS6detail34convert_binary_result_type_wrapperINS9_3SumENS9_22TransformInputIteratorIb7NonZeroIaEPalEElEEEE10hipError_tPvRmT1_T2_T3_mT4_P12ihipStream_tbEUlT_E1_NS1_11comp_targetILNS1_3genE10ELNS1_11target_archE1200ELNS1_3gpuE4ELNS1_3repE0EEENS1_30default_config_static_selectorELNS0_4arch9wavefront6targetE1EEEvSM_
	.p2align	8
	.type	_ZN7rocprim17ROCPRIM_400000_NS6detail17trampoline_kernelINS0_14default_configENS1_22reduce_config_selectorIlEEZNS1_11reduce_implILb1ES3_PlS7_lN6hipcub16HIPCUB_304000_NS6detail34convert_binary_result_type_wrapperINS9_3SumENS9_22TransformInputIteratorIb7NonZeroIaEPalEElEEEE10hipError_tPvRmT1_T2_T3_mT4_P12ihipStream_tbEUlT_E1_NS1_11comp_targetILNS1_3genE10ELNS1_11target_archE1200ELNS1_3gpuE4ELNS1_3repE0EEENS1_30default_config_static_selectorELNS0_4arch9wavefront6targetE1EEEvSM_,@function
_ZN7rocprim17ROCPRIM_400000_NS6detail17trampoline_kernelINS0_14default_configENS1_22reduce_config_selectorIlEEZNS1_11reduce_implILb1ES3_PlS7_lN6hipcub16HIPCUB_304000_NS6detail34convert_binary_result_type_wrapperINS9_3SumENS9_22TransformInputIteratorIb7NonZeroIaEPalEElEEEE10hipError_tPvRmT1_T2_T3_mT4_P12ihipStream_tbEUlT_E1_NS1_11comp_targetILNS1_3genE10ELNS1_11target_archE1200ELNS1_3gpuE4ELNS1_3repE0EEENS1_30default_config_static_selectorELNS0_4arch9wavefront6targetE1EEEvSM_: ; @_ZN7rocprim17ROCPRIM_400000_NS6detail17trampoline_kernelINS0_14default_configENS1_22reduce_config_selectorIlEEZNS1_11reduce_implILb1ES3_PlS7_lN6hipcub16HIPCUB_304000_NS6detail34convert_binary_result_type_wrapperINS9_3SumENS9_22TransformInputIteratorIb7NonZeroIaEPalEElEEEE10hipError_tPvRmT1_T2_T3_mT4_P12ihipStream_tbEUlT_E1_NS1_11comp_targetILNS1_3genE10ELNS1_11target_archE1200ELNS1_3gpuE4ELNS1_3repE0EEENS1_30default_config_static_selectorELNS0_4arch9wavefront6targetE1EEEvSM_
; %bb.0:
	.section	.rodata,"a",@progbits
	.p2align	6, 0x0
	.amdhsa_kernel _ZN7rocprim17ROCPRIM_400000_NS6detail17trampoline_kernelINS0_14default_configENS1_22reduce_config_selectorIlEEZNS1_11reduce_implILb1ES3_PlS7_lN6hipcub16HIPCUB_304000_NS6detail34convert_binary_result_type_wrapperINS9_3SumENS9_22TransformInputIteratorIb7NonZeroIaEPalEElEEEE10hipError_tPvRmT1_T2_T3_mT4_P12ihipStream_tbEUlT_E1_NS1_11comp_targetILNS1_3genE10ELNS1_11target_archE1200ELNS1_3gpuE4ELNS1_3repE0EEENS1_30default_config_static_selectorELNS0_4arch9wavefront6targetE1EEEvSM_
		.amdhsa_group_segment_fixed_size 0
		.amdhsa_private_segment_fixed_size 0
		.amdhsa_kernarg_size 48
		.amdhsa_user_sgpr_count 6
		.amdhsa_user_sgpr_private_segment_buffer 1
		.amdhsa_user_sgpr_dispatch_ptr 0
		.amdhsa_user_sgpr_queue_ptr 0
		.amdhsa_user_sgpr_kernarg_segment_ptr 1
		.amdhsa_user_sgpr_dispatch_id 0
		.amdhsa_user_sgpr_flat_scratch_init 0
		.amdhsa_user_sgpr_private_segment_size 0
		.amdhsa_uses_dynamic_stack 0
		.amdhsa_system_sgpr_private_segment_wavefront_offset 0
		.amdhsa_system_sgpr_workgroup_id_x 1
		.amdhsa_system_sgpr_workgroup_id_y 0
		.amdhsa_system_sgpr_workgroup_id_z 0
		.amdhsa_system_sgpr_workgroup_info 0
		.amdhsa_system_vgpr_workitem_id 0
		.amdhsa_next_free_vgpr 1
		.amdhsa_next_free_sgpr 0
		.amdhsa_reserve_vcc 0
		.amdhsa_reserve_flat_scratch 0
		.amdhsa_float_round_mode_32 0
		.amdhsa_float_round_mode_16_64 0
		.amdhsa_float_denorm_mode_32 3
		.amdhsa_float_denorm_mode_16_64 3
		.amdhsa_dx10_clamp 1
		.amdhsa_ieee_mode 1
		.amdhsa_fp16_overflow 0
		.amdhsa_exception_fp_ieee_invalid_op 0
		.amdhsa_exception_fp_denorm_src 0
		.amdhsa_exception_fp_ieee_div_zero 0
		.amdhsa_exception_fp_ieee_overflow 0
		.amdhsa_exception_fp_ieee_underflow 0
		.amdhsa_exception_fp_ieee_inexact 0
		.amdhsa_exception_int_div_zero 0
	.end_amdhsa_kernel
	.section	.text._ZN7rocprim17ROCPRIM_400000_NS6detail17trampoline_kernelINS0_14default_configENS1_22reduce_config_selectorIlEEZNS1_11reduce_implILb1ES3_PlS7_lN6hipcub16HIPCUB_304000_NS6detail34convert_binary_result_type_wrapperINS9_3SumENS9_22TransformInputIteratorIb7NonZeroIaEPalEElEEEE10hipError_tPvRmT1_T2_T3_mT4_P12ihipStream_tbEUlT_E1_NS1_11comp_targetILNS1_3genE10ELNS1_11target_archE1200ELNS1_3gpuE4ELNS1_3repE0EEENS1_30default_config_static_selectorELNS0_4arch9wavefront6targetE1EEEvSM_,"axG",@progbits,_ZN7rocprim17ROCPRIM_400000_NS6detail17trampoline_kernelINS0_14default_configENS1_22reduce_config_selectorIlEEZNS1_11reduce_implILb1ES3_PlS7_lN6hipcub16HIPCUB_304000_NS6detail34convert_binary_result_type_wrapperINS9_3SumENS9_22TransformInputIteratorIb7NonZeroIaEPalEElEEEE10hipError_tPvRmT1_T2_T3_mT4_P12ihipStream_tbEUlT_E1_NS1_11comp_targetILNS1_3genE10ELNS1_11target_archE1200ELNS1_3gpuE4ELNS1_3repE0EEENS1_30default_config_static_selectorELNS0_4arch9wavefront6targetE1EEEvSM_,comdat
.Lfunc_end15:
	.size	_ZN7rocprim17ROCPRIM_400000_NS6detail17trampoline_kernelINS0_14default_configENS1_22reduce_config_selectorIlEEZNS1_11reduce_implILb1ES3_PlS7_lN6hipcub16HIPCUB_304000_NS6detail34convert_binary_result_type_wrapperINS9_3SumENS9_22TransformInputIteratorIb7NonZeroIaEPalEElEEEE10hipError_tPvRmT1_T2_T3_mT4_P12ihipStream_tbEUlT_E1_NS1_11comp_targetILNS1_3genE10ELNS1_11target_archE1200ELNS1_3gpuE4ELNS1_3repE0EEENS1_30default_config_static_selectorELNS0_4arch9wavefront6targetE1EEEvSM_, .Lfunc_end15-_ZN7rocprim17ROCPRIM_400000_NS6detail17trampoline_kernelINS0_14default_configENS1_22reduce_config_selectorIlEEZNS1_11reduce_implILb1ES3_PlS7_lN6hipcub16HIPCUB_304000_NS6detail34convert_binary_result_type_wrapperINS9_3SumENS9_22TransformInputIteratorIb7NonZeroIaEPalEElEEEE10hipError_tPvRmT1_T2_T3_mT4_P12ihipStream_tbEUlT_E1_NS1_11comp_targetILNS1_3genE10ELNS1_11target_archE1200ELNS1_3gpuE4ELNS1_3repE0EEENS1_30default_config_static_selectorELNS0_4arch9wavefront6targetE1EEEvSM_
                                        ; -- End function
	.set _ZN7rocprim17ROCPRIM_400000_NS6detail17trampoline_kernelINS0_14default_configENS1_22reduce_config_selectorIlEEZNS1_11reduce_implILb1ES3_PlS7_lN6hipcub16HIPCUB_304000_NS6detail34convert_binary_result_type_wrapperINS9_3SumENS9_22TransformInputIteratorIb7NonZeroIaEPalEElEEEE10hipError_tPvRmT1_T2_T3_mT4_P12ihipStream_tbEUlT_E1_NS1_11comp_targetILNS1_3genE10ELNS1_11target_archE1200ELNS1_3gpuE4ELNS1_3repE0EEENS1_30default_config_static_selectorELNS0_4arch9wavefront6targetE1EEEvSM_.num_vgpr, 0
	.set _ZN7rocprim17ROCPRIM_400000_NS6detail17trampoline_kernelINS0_14default_configENS1_22reduce_config_selectorIlEEZNS1_11reduce_implILb1ES3_PlS7_lN6hipcub16HIPCUB_304000_NS6detail34convert_binary_result_type_wrapperINS9_3SumENS9_22TransformInputIteratorIb7NonZeroIaEPalEElEEEE10hipError_tPvRmT1_T2_T3_mT4_P12ihipStream_tbEUlT_E1_NS1_11comp_targetILNS1_3genE10ELNS1_11target_archE1200ELNS1_3gpuE4ELNS1_3repE0EEENS1_30default_config_static_selectorELNS0_4arch9wavefront6targetE1EEEvSM_.num_agpr, 0
	.set _ZN7rocprim17ROCPRIM_400000_NS6detail17trampoline_kernelINS0_14default_configENS1_22reduce_config_selectorIlEEZNS1_11reduce_implILb1ES3_PlS7_lN6hipcub16HIPCUB_304000_NS6detail34convert_binary_result_type_wrapperINS9_3SumENS9_22TransformInputIteratorIb7NonZeroIaEPalEElEEEE10hipError_tPvRmT1_T2_T3_mT4_P12ihipStream_tbEUlT_E1_NS1_11comp_targetILNS1_3genE10ELNS1_11target_archE1200ELNS1_3gpuE4ELNS1_3repE0EEENS1_30default_config_static_selectorELNS0_4arch9wavefront6targetE1EEEvSM_.numbered_sgpr, 0
	.set _ZN7rocprim17ROCPRIM_400000_NS6detail17trampoline_kernelINS0_14default_configENS1_22reduce_config_selectorIlEEZNS1_11reduce_implILb1ES3_PlS7_lN6hipcub16HIPCUB_304000_NS6detail34convert_binary_result_type_wrapperINS9_3SumENS9_22TransformInputIteratorIb7NonZeroIaEPalEElEEEE10hipError_tPvRmT1_T2_T3_mT4_P12ihipStream_tbEUlT_E1_NS1_11comp_targetILNS1_3genE10ELNS1_11target_archE1200ELNS1_3gpuE4ELNS1_3repE0EEENS1_30default_config_static_selectorELNS0_4arch9wavefront6targetE1EEEvSM_.num_named_barrier, 0
	.set _ZN7rocprim17ROCPRIM_400000_NS6detail17trampoline_kernelINS0_14default_configENS1_22reduce_config_selectorIlEEZNS1_11reduce_implILb1ES3_PlS7_lN6hipcub16HIPCUB_304000_NS6detail34convert_binary_result_type_wrapperINS9_3SumENS9_22TransformInputIteratorIb7NonZeroIaEPalEElEEEE10hipError_tPvRmT1_T2_T3_mT4_P12ihipStream_tbEUlT_E1_NS1_11comp_targetILNS1_3genE10ELNS1_11target_archE1200ELNS1_3gpuE4ELNS1_3repE0EEENS1_30default_config_static_selectorELNS0_4arch9wavefront6targetE1EEEvSM_.private_seg_size, 0
	.set _ZN7rocprim17ROCPRIM_400000_NS6detail17trampoline_kernelINS0_14default_configENS1_22reduce_config_selectorIlEEZNS1_11reduce_implILb1ES3_PlS7_lN6hipcub16HIPCUB_304000_NS6detail34convert_binary_result_type_wrapperINS9_3SumENS9_22TransformInputIteratorIb7NonZeroIaEPalEElEEEE10hipError_tPvRmT1_T2_T3_mT4_P12ihipStream_tbEUlT_E1_NS1_11comp_targetILNS1_3genE10ELNS1_11target_archE1200ELNS1_3gpuE4ELNS1_3repE0EEENS1_30default_config_static_selectorELNS0_4arch9wavefront6targetE1EEEvSM_.uses_vcc, 0
	.set _ZN7rocprim17ROCPRIM_400000_NS6detail17trampoline_kernelINS0_14default_configENS1_22reduce_config_selectorIlEEZNS1_11reduce_implILb1ES3_PlS7_lN6hipcub16HIPCUB_304000_NS6detail34convert_binary_result_type_wrapperINS9_3SumENS9_22TransformInputIteratorIb7NonZeroIaEPalEElEEEE10hipError_tPvRmT1_T2_T3_mT4_P12ihipStream_tbEUlT_E1_NS1_11comp_targetILNS1_3genE10ELNS1_11target_archE1200ELNS1_3gpuE4ELNS1_3repE0EEENS1_30default_config_static_selectorELNS0_4arch9wavefront6targetE1EEEvSM_.uses_flat_scratch, 0
	.set _ZN7rocprim17ROCPRIM_400000_NS6detail17trampoline_kernelINS0_14default_configENS1_22reduce_config_selectorIlEEZNS1_11reduce_implILb1ES3_PlS7_lN6hipcub16HIPCUB_304000_NS6detail34convert_binary_result_type_wrapperINS9_3SumENS9_22TransformInputIteratorIb7NonZeroIaEPalEElEEEE10hipError_tPvRmT1_T2_T3_mT4_P12ihipStream_tbEUlT_E1_NS1_11comp_targetILNS1_3genE10ELNS1_11target_archE1200ELNS1_3gpuE4ELNS1_3repE0EEENS1_30default_config_static_selectorELNS0_4arch9wavefront6targetE1EEEvSM_.has_dyn_sized_stack, 0
	.set _ZN7rocprim17ROCPRIM_400000_NS6detail17trampoline_kernelINS0_14default_configENS1_22reduce_config_selectorIlEEZNS1_11reduce_implILb1ES3_PlS7_lN6hipcub16HIPCUB_304000_NS6detail34convert_binary_result_type_wrapperINS9_3SumENS9_22TransformInputIteratorIb7NonZeroIaEPalEElEEEE10hipError_tPvRmT1_T2_T3_mT4_P12ihipStream_tbEUlT_E1_NS1_11comp_targetILNS1_3genE10ELNS1_11target_archE1200ELNS1_3gpuE4ELNS1_3repE0EEENS1_30default_config_static_selectorELNS0_4arch9wavefront6targetE1EEEvSM_.has_recursion, 0
	.set _ZN7rocprim17ROCPRIM_400000_NS6detail17trampoline_kernelINS0_14default_configENS1_22reduce_config_selectorIlEEZNS1_11reduce_implILb1ES3_PlS7_lN6hipcub16HIPCUB_304000_NS6detail34convert_binary_result_type_wrapperINS9_3SumENS9_22TransformInputIteratorIb7NonZeroIaEPalEElEEEE10hipError_tPvRmT1_T2_T3_mT4_P12ihipStream_tbEUlT_E1_NS1_11comp_targetILNS1_3genE10ELNS1_11target_archE1200ELNS1_3gpuE4ELNS1_3repE0EEENS1_30default_config_static_selectorELNS0_4arch9wavefront6targetE1EEEvSM_.has_indirect_call, 0
	.section	.AMDGPU.csdata,"",@progbits
; Kernel info:
; codeLenInByte = 0
; TotalNumSgprs: 4
; NumVgprs: 0
; ScratchSize: 0
; MemoryBound: 0
; FloatMode: 240
; IeeeMode: 1
; LDSByteSize: 0 bytes/workgroup (compile time only)
; SGPRBlocks: 0
; VGPRBlocks: 0
; NumSGPRsForWavesPerEU: 4
; NumVGPRsForWavesPerEU: 1
; Occupancy: 10
; WaveLimiterHint : 0
; COMPUTE_PGM_RSRC2:SCRATCH_EN: 0
; COMPUTE_PGM_RSRC2:USER_SGPR: 6
; COMPUTE_PGM_RSRC2:TRAP_HANDLER: 0
; COMPUTE_PGM_RSRC2:TGID_X_EN: 1
; COMPUTE_PGM_RSRC2:TGID_Y_EN: 0
; COMPUTE_PGM_RSRC2:TGID_Z_EN: 0
; COMPUTE_PGM_RSRC2:TIDIG_COMP_CNT: 0
	.section	.text._ZN7rocprim17ROCPRIM_400000_NS6detail17trampoline_kernelINS0_14default_configENS1_22reduce_config_selectorIlEEZNS1_11reduce_implILb1ES3_PlS7_lN6hipcub16HIPCUB_304000_NS6detail34convert_binary_result_type_wrapperINS9_3SumENS9_22TransformInputIteratorIb7NonZeroIaEPalEElEEEE10hipError_tPvRmT1_T2_T3_mT4_P12ihipStream_tbEUlT_E1_NS1_11comp_targetILNS1_3genE9ELNS1_11target_archE1100ELNS1_3gpuE3ELNS1_3repE0EEENS1_30default_config_static_selectorELNS0_4arch9wavefront6targetE1EEEvSM_,"axG",@progbits,_ZN7rocprim17ROCPRIM_400000_NS6detail17trampoline_kernelINS0_14default_configENS1_22reduce_config_selectorIlEEZNS1_11reduce_implILb1ES3_PlS7_lN6hipcub16HIPCUB_304000_NS6detail34convert_binary_result_type_wrapperINS9_3SumENS9_22TransformInputIteratorIb7NonZeroIaEPalEElEEEE10hipError_tPvRmT1_T2_T3_mT4_P12ihipStream_tbEUlT_E1_NS1_11comp_targetILNS1_3genE9ELNS1_11target_archE1100ELNS1_3gpuE3ELNS1_3repE0EEENS1_30default_config_static_selectorELNS0_4arch9wavefront6targetE1EEEvSM_,comdat
	.protected	_ZN7rocprim17ROCPRIM_400000_NS6detail17trampoline_kernelINS0_14default_configENS1_22reduce_config_selectorIlEEZNS1_11reduce_implILb1ES3_PlS7_lN6hipcub16HIPCUB_304000_NS6detail34convert_binary_result_type_wrapperINS9_3SumENS9_22TransformInputIteratorIb7NonZeroIaEPalEElEEEE10hipError_tPvRmT1_T2_T3_mT4_P12ihipStream_tbEUlT_E1_NS1_11comp_targetILNS1_3genE9ELNS1_11target_archE1100ELNS1_3gpuE3ELNS1_3repE0EEENS1_30default_config_static_selectorELNS0_4arch9wavefront6targetE1EEEvSM_ ; -- Begin function _ZN7rocprim17ROCPRIM_400000_NS6detail17trampoline_kernelINS0_14default_configENS1_22reduce_config_selectorIlEEZNS1_11reduce_implILb1ES3_PlS7_lN6hipcub16HIPCUB_304000_NS6detail34convert_binary_result_type_wrapperINS9_3SumENS9_22TransformInputIteratorIb7NonZeroIaEPalEElEEEE10hipError_tPvRmT1_T2_T3_mT4_P12ihipStream_tbEUlT_E1_NS1_11comp_targetILNS1_3genE9ELNS1_11target_archE1100ELNS1_3gpuE3ELNS1_3repE0EEENS1_30default_config_static_selectorELNS0_4arch9wavefront6targetE1EEEvSM_
	.globl	_ZN7rocprim17ROCPRIM_400000_NS6detail17trampoline_kernelINS0_14default_configENS1_22reduce_config_selectorIlEEZNS1_11reduce_implILb1ES3_PlS7_lN6hipcub16HIPCUB_304000_NS6detail34convert_binary_result_type_wrapperINS9_3SumENS9_22TransformInputIteratorIb7NonZeroIaEPalEElEEEE10hipError_tPvRmT1_T2_T3_mT4_P12ihipStream_tbEUlT_E1_NS1_11comp_targetILNS1_3genE9ELNS1_11target_archE1100ELNS1_3gpuE3ELNS1_3repE0EEENS1_30default_config_static_selectorELNS0_4arch9wavefront6targetE1EEEvSM_
	.p2align	8
	.type	_ZN7rocprim17ROCPRIM_400000_NS6detail17trampoline_kernelINS0_14default_configENS1_22reduce_config_selectorIlEEZNS1_11reduce_implILb1ES3_PlS7_lN6hipcub16HIPCUB_304000_NS6detail34convert_binary_result_type_wrapperINS9_3SumENS9_22TransformInputIteratorIb7NonZeroIaEPalEElEEEE10hipError_tPvRmT1_T2_T3_mT4_P12ihipStream_tbEUlT_E1_NS1_11comp_targetILNS1_3genE9ELNS1_11target_archE1100ELNS1_3gpuE3ELNS1_3repE0EEENS1_30default_config_static_selectorELNS0_4arch9wavefront6targetE1EEEvSM_,@function
_ZN7rocprim17ROCPRIM_400000_NS6detail17trampoline_kernelINS0_14default_configENS1_22reduce_config_selectorIlEEZNS1_11reduce_implILb1ES3_PlS7_lN6hipcub16HIPCUB_304000_NS6detail34convert_binary_result_type_wrapperINS9_3SumENS9_22TransformInputIteratorIb7NonZeroIaEPalEElEEEE10hipError_tPvRmT1_T2_T3_mT4_P12ihipStream_tbEUlT_E1_NS1_11comp_targetILNS1_3genE9ELNS1_11target_archE1100ELNS1_3gpuE3ELNS1_3repE0EEENS1_30default_config_static_selectorELNS0_4arch9wavefront6targetE1EEEvSM_: ; @_ZN7rocprim17ROCPRIM_400000_NS6detail17trampoline_kernelINS0_14default_configENS1_22reduce_config_selectorIlEEZNS1_11reduce_implILb1ES3_PlS7_lN6hipcub16HIPCUB_304000_NS6detail34convert_binary_result_type_wrapperINS9_3SumENS9_22TransformInputIteratorIb7NonZeroIaEPalEElEEEE10hipError_tPvRmT1_T2_T3_mT4_P12ihipStream_tbEUlT_E1_NS1_11comp_targetILNS1_3genE9ELNS1_11target_archE1100ELNS1_3gpuE3ELNS1_3repE0EEENS1_30default_config_static_selectorELNS0_4arch9wavefront6targetE1EEEvSM_
; %bb.0:
	.section	.rodata,"a",@progbits
	.p2align	6, 0x0
	.amdhsa_kernel _ZN7rocprim17ROCPRIM_400000_NS6detail17trampoline_kernelINS0_14default_configENS1_22reduce_config_selectorIlEEZNS1_11reduce_implILb1ES3_PlS7_lN6hipcub16HIPCUB_304000_NS6detail34convert_binary_result_type_wrapperINS9_3SumENS9_22TransformInputIteratorIb7NonZeroIaEPalEElEEEE10hipError_tPvRmT1_T2_T3_mT4_P12ihipStream_tbEUlT_E1_NS1_11comp_targetILNS1_3genE9ELNS1_11target_archE1100ELNS1_3gpuE3ELNS1_3repE0EEENS1_30default_config_static_selectorELNS0_4arch9wavefront6targetE1EEEvSM_
		.amdhsa_group_segment_fixed_size 0
		.amdhsa_private_segment_fixed_size 0
		.amdhsa_kernarg_size 48
		.amdhsa_user_sgpr_count 6
		.amdhsa_user_sgpr_private_segment_buffer 1
		.amdhsa_user_sgpr_dispatch_ptr 0
		.amdhsa_user_sgpr_queue_ptr 0
		.amdhsa_user_sgpr_kernarg_segment_ptr 1
		.amdhsa_user_sgpr_dispatch_id 0
		.amdhsa_user_sgpr_flat_scratch_init 0
		.amdhsa_user_sgpr_private_segment_size 0
		.amdhsa_uses_dynamic_stack 0
		.amdhsa_system_sgpr_private_segment_wavefront_offset 0
		.amdhsa_system_sgpr_workgroup_id_x 1
		.amdhsa_system_sgpr_workgroup_id_y 0
		.amdhsa_system_sgpr_workgroup_id_z 0
		.amdhsa_system_sgpr_workgroup_info 0
		.amdhsa_system_vgpr_workitem_id 0
		.amdhsa_next_free_vgpr 1
		.amdhsa_next_free_sgpr 0
		.amdhsa_reserve_vcc 0
		.amdhsa_reserve_flat_scratch 0
		.amdhsa_float_round_mode_32 0
		.amdhsa_float_round_mode_16_64 0
		.amdhsa_float_denorm_mode_32 3
		.amdhsa_float_denorm_mode_16_64 3
		.amdhsa_dx10_clamp 1
		.amdhsa_ieee_mode 1
		.amdhsa_fp16_overflow 0
		.amdhsa_exception_fp_ieee_invalid_op 0
		.amdhsa_exception_fp_denorm_src 0
		.amdhsa_exception_fp_ieee_div_zero 0
		.amdhsa_exception_fp_ieee_overflow 0
		.amdhsa_exception_fp_ieee_underflow 0
		.amdhsa_exception_fp_ieee_inexact 0
		.amdhsa_exception_int_div_zero 0
	.end_amdhsa_kernel
	.section	.text._ZN7rocprim17ROCPRIM_400000_NS6detail17trampoline_kernelINS0_14default_configENS1_22reduce_config_selectorIlEEZNS1_11reduce_implILb1ES3_PlS7_lN6hipcub16HIPCUB_304000_NS6detail34convert_binary_result_type_wrapperINS9_3SumENS9_22TransformInputIteratorIb7NonZeroIaEPalEElEEEE10hipError_tPvRmT1_T2_T3_mT4_P12ihipStream_tbEUlT_E1_NS1_11comp_targetILNS1_3genE9ELNS1_11target_archE1100ELNS1_3gpuE3ELNS1_3repE0EEENS1_30default_config_static_selectorELNS0_4arch9wavefront6targetE1EEEvSM_,"axG",@progbits,_ZN7rocprim17ROCPRIM_400000_NS6detail17trampoline_kernelINS0_14default_configENS1_22reduce_config_selectorIlEEZNS1_11reduce_implILb1ES3_PlS7_lN6hipcub16HIPCUB_304000_NS6detail34convert_binary_result_type_wrapperINS9_3SumENS9_22TransformInputIteratorIb7NonZeroIaEPalEElEEEE10hipError_tPvRmT1_T2_T3_mT4_P12ihipStream_tbEUlT_E1_NS1_11comp_targetILNS1_3genE9ELNS1_11target_archE1100ELNS1_3gpuE3ELNS1_3repE0EEENS1_30default_config_static_selectorELNS0_4arch9wavefront6targetE1EEEvSM_,comdat
.Lfunc_end16:
	.size	_ZN7rocprim17ROCPRIM_400000_NS6detail17trampoline_kernelINS0_14default_configENS1_22reduce_config_selectorIlEEZNS1_11reduce_implILb1ES3_PlS7_lN6hipcub16HIPCUB_304000_NS6detail34convert_binary_result_type_wrapperINS9_3SumENS9_22TransformInputIteratorIb7NonZeroIaEPalEElEEEE10hipError_tPvRmT1_T2_T3_mT4_P12ihipStream_tbEUlT_E1_NS1_11comp_targetILNS1_3genE9ELNS1_11target_archE1100ELNS1_3gpuE3ELNS1_3repE0EEENS1_30default_config_static_selectorELNS0_4arch9wavefront6targetE1EEEvSM_, .Lfunc_end16-_ZN7rocprim17ROCPRIM_400000_NS6detail17trampoline_kernelINS0_14default_configENS1_22reduce_config_selectorIlEEZNS1_11reduce_implILb1ES3_PlS7_lN6hipcub16HIPCUB_304000_NS6detail34convert_binary_result_type_wrapperINS9_3SumENS9_22TransformInputIteratorIb7NonZeroIaEPalEElEEEE10hipError_tPvRmT1_T2_T3_mT4_P12ihipStream_tbEUlT_E1_NS1_11comp_targetILNS1_3genE9ELNS1_11target_archE1100ELNS1_3gpuE3ELNS1_3repE0EEENS1_30default_config_static_selectorELNS0_4arch9wavefront6targetE1EEEvSM_
                                        ; -- End function
	.set _ZN7rocprim17ROCPRIM_400000_NS6detail17trampoline_kernelINS0_14default_configENS1_22reduce_config_selectorIlEEZNS1_11reduce_implILb1ES3_PlS7_lN6hipcub16HIPCUB_304000_NS6detail34convert_binary_result_type_wrapperINS9_3SumENS9_22TransformInputIteratorIb7NonZeroIaEPalEElEEEE10hipError_tPvRmT1_T2_T3_mT4_P12ihipStream_tbEUlT_E1_NS1_11comp_targetILNS1_3genE9ELNS1_11target_archE1100ELNS1_3gpuE3ELNS1_3repE0EEENS1_30default_config_static_selectorELNS0_4arch9wavefront6targetE1EEEvSM_.num_vgpr, 0
	.set _ZN7rocprim17ROCPRIM_400000_NS6detail17trampoline_kernelINS0_14default_configENS1_22reduce_config_selectorIlEEZNS1_11reduce_implILb1ES3_PlS7_lN6hipcub16HIPCUB_304000_NS6detail34convert_binary_result_type_wrapperINS9_3SumENS9_22TransformInputIteratorIb7NonZeroIaEPalEElEEEE10hipError_tPvRmT1_T2_T3_mT4_P12ihipStream_tbEUlT_E1_NS1_11comp_targetILNS1_3genE9ELNS1_11target_archE1100ELNS1_3gpuE3ELNS1_3repE0EEENS1_30default_config_static_selectorELNS0_4arch9wavefront6targetE1EEEvSM_.num_agpr, 0
	.set _ZN7rocprim17ROCPRIM_400000_NS6detail17trampoline_kernelINS0_14default_configENS1_22reduce_config_selectorIlEEZNS1_11reduce_implILb1ES3_PlS7_lN6hipcub16HIPCUB_304000_NS6detail34convert_binary_result_type_wrapperINS9_3SumENS9_22TransformInputIteratorIb7NonZeroIaEPalEElEEEE10hipError_tPvRmT1_T2_T3_mT4_P12ihipStream_tbEUlT_E1_NS1_11comp_targetILNS1_3genE9ELNS1_11target_archE1100ELNS1_3gpuE3ELNS1_3repE0EEENS1_30default_config_static_selectorELNS0_4arch9wavefront6targetE1EEEvSM_.numbered_sgpr, 0
	.set _ZN7rocprim17ROCPRIM_400000_NS6detail17trampoline_kernelINS0_14default_configENS1_22reduce_config_selectorIlEEZNS1_11reduce_implILb1ES3_PlS7_lN6hipcub16HIPCUB_304000_NS6detail34convert_binary_result_type_wrapperINS9_3SumENS9_22TransformInputIteratorIb7NonZeroIaEPalEElEEEE10hipError_tPvRmT1_T2_T3_mT4_P12ihipStream_tbEUlT_E1_NS1_11comp_targetILNS1_3genE9ELNS1_11target_archE1100ELNS1_3gpuE3ELNS1_3repE0EEENS1_30default_config_static_selectorELNS0_4arch9wavefront6targetE1EEEvSM_.num_named_barrier, 0
	.set _ZN7rocprim17ROCPRIM_400000_NS6detail17trampoline_kernelINS0_14default_configENS1_22reduce_config_selectorIlEEZNS1_11reduce_implILb1ES3_PlS7_lN6hipcub16HIPCUB_304000_NS6detail34convert_binary_result_type_wrapperINS9_3SumENS9_22TransformInputIteratorIb7NonZeroIaEPalEElEEEE10hipError_tPvRmT1_T2_T3_mT4_P12ihipStream_tbEUlT_E1_NS1_11comp_targetILNS1_3genE9ELNS1_11target_archE1100ELNS1_3gpuE3ELNS1_3repE0EEENS1_30default_config_static_selectorELNS0_4arch9wavefront6targetE1EEEvSM_.private_seg_size, 0
	.set _ZN7rocprim17ROCPRIM_400000_NS6detail17trampoline_kernelINS0_14default_configENS1_22reduce_config_selectorIlEEZNS1_11reduce_implILb1ES3_PlS7_lN6hipcub16HIPCUB_304000_NS6detail34convert_binary_result_type_wrapperINS9_3SumENS9_22TransformInputIteratorIb7NonZeroIaEPalEElEEEE10hipError_tPvRmT1_T2_T3_mT4_P12ihipStream_tbEUlT_E1_NS1_11comp_targetILNS1_3genE9ELNS1_11target_archE1100ELNS1_3gpuE3ELNS1_3repE0EEENS1_30default_config_static_selectorELNS0_4arch9wavefront6targetE1EEEvSM_.uses_vcc, 0
	.set _ZN7rocprim17ROCPRIM_400000_NS6detail17trampoline_kernelINS0_14default_configENS1_22reduce_config_selectorIlEEZNS1_11reduce_implILb1ES3_PlS7_lN6hipcub16HIPCUB_304000_NS6detail34convert_binary_result_type_wrapperINS9_3SumENS9_22TransformInputIteratorIb7NonZeroIaEPalEElEEEE10hipError_tPvRmT1_T2_T3_mT4_P12ihipStream_tbEUlT_E1_NS1_11comp_targetILNS1_3genE9ELNS1_11target_archE1100ELNS1_3gpuE3ELNS1_3repE0EEENS1_30default_config_static_selectorELNS0_4arch9wavefront6targetE1EEEvSM_.uses_flat_scratch, 0
	.set _ZN7rocprim17ROCPRIM_400000_NS6detail17trampoline_kernelINS0_14default_configENS1_22reduce_config_selectorIlEEZNS1_11reduce_implILb1ES3_PlS7_lN6hipcub16HIPCUB_304000_NS6detail34convert_binary_result_type_wrapperINS9_3SumENS9_22TransformInputIteratorIb7NonZeroIaEPalEElEEEE10hipError_tPvRmT1_T2_T3_mT4_P12ihipStream_tbEUlT_E1_NS1_11comp_targetILNS1_3genE9ELNS1_11target_archE1100ELNS1_3gpuE3ELNS1_3repE0EEENS1_30default_config_static_selectorELNS0_4arch9wavefront6targetE1EEEvSM_.has_dyn_sized_stack, 0
	.set _ZN7rocprim17ROCPRIM_400000_NS6detail17trampoline_kernelINS0_14default_configENS1_22reduce_config_selectorIlEEZNS1_11reduce_implILb1ES3_PlS7_lN6hipcub16HIPCUB_304000_NS6detail34convert_binary_result_type_wrapperINS9_3SumENS9_22TransformInputIteratorIb7NonZeroIaEPalEElEEEE10hipError_tPvRmT1_T2_T3_mT4_P12ihipStream_tbEUlT_E1_NS1_11comp_targetILNS1_3genE9ELNS1_11target_archE1100ELNS1_3gpuE3ELNS1_3repE0EEENS1_30default_config_static_selectorELNS0_4arch9wavefront6targetE1EEEvSM_.has_recursion, 0
	.set _ZN7rocprim17ROCPRIM_400000_NS6detail17trampoline_kernelINS0_14default_configENS1_22reduce_config_selectorIlEEZNS1_11reduce_implILb1ES3_PlS7_lN6hipcub16HIPCUB_304000_NS6detail34convert_binary_result_type_wrapperINS9_3SumENS9_22TransformInputIteratorIb7NonZeroIaEPalEElEEEE10hipError_tPvRmT1_T2_T3_mT4_P12ihipStream_tbEUlT_E1_NS1_11comp_targetILNS1_3genE9ELNS1_11target_archE1100ELNS1_3gpuE3ELNS1_3repE0EEENS1_30default_config_static_selectorELNS0_4arch9wavefront6targetE1EEEvSM_.has_indirect_call, 0
	.section	.AMDGPU.csdata,"",@progbits
; Kernel info:
; codeLenInByte = 0
; TotalNumSgprs: 4
; NumVgprs: 0
; ScratchSize: 0
; MemoryBound: 0
; FloatMode: 240
; IeeeMode: 1
; LDSByteSize: 0 bytes/workgroup (compile time only)
; SGPRBlocks: 0
; VGPRBlocks: 0
; NumSGPRsForWavesPerEU: 4
; NumVGPRsForWavesPerEU: 1
; Occupancy: 10
; WaveLimiterHint : 0
; COMPUTE_PGM_RSRC2:SCRATCH_EN: 0
; COMPUTE_PGM_RSRC2:USER_SGPR: 6
; COMPUTE_PGM_RSRC2:TRAP_HANDLER: 0
; COMPUTE_PGM_RSRC2:TGID_X_EN: 1
; COMPUTE_PGM_RSRC2:TGID_Y_EN: 0
; COMPUTE_PGM_RSRC2:TGID_Z_EN: 0
; COMPUTE_PGM_RSRC2:TIDIG_COMP_CNT: 0
	.section	.text._ZN7rocprim17ROCPRIM_400000_NS6detail17trampoline_kernelINS0_14default_configENS1_22reduce_config_selectorIlEEZNS1_11reduce_implILb1ES3_PlS7_lN6hipcub16HIPCUB_304000_NS6detail34convert_binary_result_type_wrapperINS9_3SumENS9_22TransformInputIteratorIb7NonZeroIaEPalEElEEEE10hipError_tPvRmT1_T2_T3_mT4_P12ihipStream_tbEUlT_E1_NS1_11comp_targetILNS1_3genE8ELNS1_11target_archE1030ELNS1_3gpuE2ELNS1_3repE0EEENS1_30default_config_static_selectorELNS0_4arch9wavefront6targetE1EEEvSM_,"axG",@progbits,_ZN7rocprim17ROCPRIM_400000_NS6detail17trampoline_kernelINS0_14default_configENS1_22reduce_config_selectorIlEEZNS1_11reduce_implILb1ES3_PlS7_lN6hipcub16HIPCUB_304000_NS6detail34convert_binary_result_type_wrapperINS9_3SumENS9_22TransformInputIteratorIb7NonZeroIaEPalEElEEEE10hipError_tPvRmT1_T2_T3_mT4_P12ihipStream_tbEUlT_E1_NS1_11comp_targetILNS1_3genE8ELNS1_11target_archE1030ELNS1_3gpuE2ELNS1_3repE0EEENS1_30default_config_static_selectorELNS0_4arch9wavefront6targetE1EEEvSM_,comdat
	.protected	_ZN7rocprim17ROCPRIM_400000_NS6detail17trampoline_kernelINS0_14default_configENS1_22reduce_config_selectorIlEEZNS1_11reduce_implILb1ES3_PlS7_lN6hipcub16HIPCUB_304000_NS6detail34convert_binary_result_type_wrapperINS9_3SumENS9_22TransformInputIteratorIb7NonZeroIaEPalEElEEEE10hipError_tPvRmT1_T2_T3_mT4_P12ihipStream_tbEUlT_E1_NS1_11comp_targetILNS1_3genE8ELNS1_11target_archE1030ELNS1_3gpuE2ELNS1_3repE0EEENS1_30default_config_static_selectorELNS0_4arch9wavefront6targetE1EEEvSM_ ; -- Begin function _ZN7rocprim17ROCPRIM_400000_NS6detail17trampoline_kernelINS0_14default_configENS1_22reduce_config_selectorIlEEZNS1_11reduce_implILb1ES3_PlS7_lN6hipcub16HIPCUB_304000_NS6detail34convert_binary_result_type_wrapperINS9_3SumENS9_22TransformInputIteratorIb7NonZeroIaEPalEElEEEE10hipError_tPvRmT1_T2_T3_mT4_P12ihipStream_tbEUlT_E1_NS1_11comp_targetILNS1_3genE8ELNS1_11target_archE1030ELNS1_3gpuE2ELNS1_3repE0EEENS1_30default_config_static_selectorELNS0_4arch9wavefront6targetE1EEEvSM_
	.globl	_ZN7rocprim17ROCPRIM_400000_NS6detail17trampoline_kernelINS0_14default_configENS1_22reduce_config_selectorIlEEZNS1_11reduce_implILb1ES3_PlS7_lN6hipcub16HIPCUB_304000_NS6detail34convert_binary_result_type_wrapperINS9_3SumENS9_22TransformInputIteratorIb7NonZeroIaEPalEElEEEE10hipError_tPvRmT1_T2_T3_mT4_P12ihipStream_tbEUlT_E1_NS1_11comp_targetILNS1_3genE8ELNS1_11target_archE1030ELNS1_3gpuE2ELNS1_3repE0EEENS1_30default_config_static_selectorELNS0_4arch9wavefront6targetE1EEEvSM_
	.p2align	8
	.type	_ZN7rocprim17ROCPRIM_400000_NS6detail17trampoline_kernelINS0_14default_configENS1_22reduce_config_selectorIlEEZNS1_11reduce_implILb1ES3_PlS7_lN6hipcub16HIPCUB_304000_NS6detail34convert_binary_result_type_wrapperINS9_3SumENS9_22TransformInputIteratorIb7NonZeroIaEPalEElEEEE10hipError_tPvRmT1_T2_T3_mT4_P12ihipStream_tbEUlT_E1_NS1_11comp_targetILNS1_3genE8ELNS1_11target_archE1030ELNS1_3gpuE2ELNS1_3repE0EEENS1_30default_config_static_selectorELNS0_4arch9wavefront6targetE1EEEvSM_,@function
_ZN7rocprim17ROCPRIM_400000_NS6detail17trampoline_kernelINS0_14default_configENS1_22reduce_config_selectorIlEEZNS1_11reduce_implILb1ES3_PlS7_lN6hipcub16HIPCUB_304000_NS6detail34convert_binary_result_type_wrapperINS9_3SumENS9_22TransformInputIteratorIb7NonZeroIaEPalEElEEEE10hipError_tPvRmT1_T2_T3_mT4_P12ihipStream_tbEUlT_E1_NS1_11comp_targetILNS1_3genE8ELNS1_11target_archE1030ELNS1_3gpuE2ELNS1_3repE0EEENS1_30default_config_static_selectorELNS0_4arch9wavefront6targetE1EEEvSM_: ; @_ZN7rocprim17ROCPRIM_400000_NS6detail17trampoline_kernelINS0_14default_configENS1_22reduce_config_selectorIlEEZNS1_11reduce_implILb1ES3_PlS7_lN6hipcub16HIPCUB_304000_NS6detail34convert_binary_result_type_wrapperINS9_3SumENS9_22TransformInputIteratorIb7NonZeroIaEPalEElEEEE10hipError_tPvRmT1_T2_T3_mT4_P12ihipStream_tbEUlT_E1_NS1_11comp_targetILNS1_3genE8ELNS1_11target_archE1030ELNS1_3gpuE2ELNS1_3repE0EEENS1_30default_config_static_selectorELNS0_4arch9wavefront6targetE1EEEvSM_
; %bb.0:
	.section	.rodata,"a",@progbits
	.p2align	6, 0x0
	.amdhsa_kernel _ZN7rocprim17ROCPRIM_400000_NS6detail17trampoline_kernelINS0_14default_configENS1_22reduce_config_selectorIlEEZNS1_11reduce_implILb1ES3_PlS7_lN6hipcub16HIPCUB_304000_NS6detail34convert_binary_result_type_wrapperINS9_3SumENS9_22TransformInputIteratorIb7NonZeroIaEPalEElEEEE10hipError_tPvRmT1_T2_T3_mT4_P12ihipStream_tbEUlT_E1_NS1_11comp_targetILNS1_3genE8ELNS1_11target_archE1030ELNS1_3gpuE2ELNS1_3repE0EEENS1_30default_config_static_selectorELNS0_4arch9wavefront6targetE1EEEvSM_
		.amdhsa_group_segment_fixed_size 0
		.amdhsa_private_segment_fixed_size 0
		.amdhsa_kernarg_size 48
		.amdhsa_user_sgpr_count 6
		.amdhsa_user_sgpr_private_segment_buffer 1
		.amdhsa_user_sgpr_dispatch_ptr 0
		.amdhsa_user_sgpr_queue_ptr 0
		.amdhsa_user_sgpr_kernarg_segment_ptr 1
		.amdhsa_user_sgpr_dispatch_id 0
		.amdhsa_user_sgpr_flat_scratch_init 0
		.amdhsa_user_sgpr_private_segment_size 0
		.amdhsa_uses_dynamic_stack 0
		.amdhsa_system_sgpr_private_segment_wavefront_offset 0
		.amdhsa_system_sgpr_workgroup_id_x 1
		.amdhsa_system_sgpr_workgroup_id_y 0
		.amdhsa_system_sgpr_workgroup_id_z 0
		.amdhsa_system_sgpr_workgroup_info 0
		.amdhsa_system_vgpr_workitem_id 0
		.amdhsa_next_free_vgpr 1
		.amdhsa_next_free_sgpr 0
		.amdhsa_reserve_vcc 0
		.amdhsa_reserve_flat_scratch 0
		.amdhsa_float_round_mode_32 0
		.amdhsa_float_round_mode_16_64 0
		.amdhsa_float_denorm_mode_32 3
		.amdhsa_float_denorm_mode_16_64 3
		.amdhsa_dx10_clamp 1
		.amdhsa_ieee_mode 1
		.amdhsa_fp16_overflow 0
		.amdhsa_exception_fp_ieee_invalid_op 0
		.amdhsa_exception_fp_denorm_src 0
		.amdhsa_exception_fp_ieee_div_zero 0
		.amdhsa_exception_fp_ieee_overflow 0
		.amdhsa_exception_fp_ieee_underflow 0
		.amdhsa_exception_fp_ieee_inexact 0
		.amdhsa_exception_int_div_zero 0
	.end_amdhsa_kernel
	.section	.text._ZN7rocprim17ROCPRIM_400000_NS6detail17trampoline_kernelINS0_14default_configENS1_22reduce_config_selectorIlEEZNS1_11reduce_implILb1ES3_PlS7_lN6hipcub16HIPCUB_304000_NS6detail34convert_binary_result_type_wrapperINS9_3SumENS9_22TransformInputIteratorIb7NonZeroIaEPalEElEEEE10hipError_tPvRmT1_T2_T3_mT4_P12ihipStream_tbEUlT_E1_NS1_11comp_targetILNS1_3genE8ELNS1_11target_archE1030ELNS1_3gpuE2ELNS1_3repE0EEENS1_30default_config_static_selectorELNS0_4arch9wavefront6targetE1EEEvSM_,"axG",@progbits,_ZN7rocprim17ROCPRIM_400000_NS6detail17trampoline_kernelINS0_14default_configENS1_22reduce_config_selectorIlEEZNS1_11reduce_implILb1ES3_PlS7_lN6hipcub16HIPCUB_304000_NS6detail34convert_binary_result_type_wrapperINS9_3SumENS9_22TransformInputIteratorIb7NonZeroIaEPalEElEEEE10hipError_tPvRmT1_T2_T3_mT4_P12ihipStream_tbEUlT_E1_NS1_11comp_targetILNS1_3genE8ELNS1_11target_archE1030ELNS1_3gpuE2ELNS1_3repE0EEENS1_30default_config_static_selectorELNS0_4arch9wavefront6targetE1EEEvSM_,comdat
.Lfunc_end17:
	.size	_ZN7rocprim17ROCPRIM_400000_NS6detail17trampoline_kernelINS0_14default_configENS1_22reduce_config_selectorIlEEZNS1_11reduce_implILb1ES3_PlS7_lN6hipcub16HIPCUB_304000_NS6detail34convert_binary_result_type_wrapperINS9_3SumENS9_22TransformInputIteratorIb7NonZeroIaEPalEElEEEE10hipError_tPvRmT1_T2_T3_mT4_P12ihipStream_tbEUlT_E1_NS1_11comp_targetILNS1_3genE8ELNS1_11target_archE1030ELNS1_3gpuE2ELNS1_3repE0EEENS1_30default_config_static_selectorELNS0_4arch9wavefront6targetE1EEEvSM_, .Lfunc_end17-_ZN7rocprim17ROCPRIM_400000_NS6detail17trampoline_kernelINS0_14default_configENS1_22reduce_config_selectorIlEEZNS1_11reduce_implILb1ES3_PlS7_lN6hipcub16HIPCUB_304000_NS6detail34convert_binary_result_type_wrapperINS9_3SumENS9_22TransformInputIteratorIb7NonZeroIaEPalEElEEEE10hipError_tPvRmT1_T2_T3_mT4_P12ihipStream_tbEUlT_E1_NS1_11comp_targetILNS1_3genE8ELNS1_11target_archE1030ELNS1_3gpuE2ELNS1_3repE0EEENS1_30default_config_static_selectorELNS0_4arch9wavefront6targetE1EEEvSM_
                                        ; -- End function
	.set _ZN7rocprim17ROCPRIM_400000_NS6detail17trampoline_kernelINS0_14default_configENS1_22reduce_config_selectorIlEEZNS1_11reduce_implILb1ES3_PlS7_lN6hipcub16HIPCUB_304000_NS6detail34convert_binary_result_type_wrapperINS9_3SumENS9_22TransformInputIteratorIb7NonZeroIaEPalEElEEEE10hipError_tPvRmT1_T2_T3_mT4_P12ihipStream_tbEUlT_E1_NS1_11comp_targetILNS1_3genE8ELNS1_11target_archE1030ELNS1_3gpuE2ELNS1_3repE0EEENS1_30default_config_static_selectorELNS0_4arch9wavefront6targetE1EEEvSM_.num_vgpr, 0
	.set _ZN7rocprim17ROCPRIM_400000_NS6detail17trampoline_kernelINS0_14default_configENS1_22reduce_config_selectorIlEEZNS1_11reduce_implILb1ES3_PlS7_lN6hipcub16HIPCUB_304000_NS6detail34convert_binary_result_type_wrapperINS9_3SumENS9_22TransformInputIteratorIb7NonZeroIaEPalEElEEEE10hipError_tPvRmT1_T2_T3_mT4_P12ihipStream_tbEUlT_E1_NS1_11comp_targetILNS1_3genE8ELNS1_11target_archE1030ELNS1_3gpuE2ELNS1_3repE0EEENS1_30default_config_static_selectorELNS0_4arch9wavefront6targetE1EEEvSM_.num_agpr, 0
	.set _ZN7rocprim17ROCPRIM_400000_NS6detail17trampoline_kernelINS0_14default_configENS1_22reduce_config_selectorIlEEZNS1_11reduce_implILb1ES3_PlS7_lN6hipcub16HIPCUB_304000_NS6detail34convert_binary_result_type_wrapperINS9_3SumENS9_22TransformInputIteratorIb7NonZeroIaEPalEElEEEE10hipError_tPvRmT1_T2_T3_mT4_P12ihipStream_tbEUlT_E1_NS1_11comp_targetILNS1_3genE8ELNS1_11target_archE1030ELNS1_3gpuE2ELNS1_3repE0EEENS1_30default_config_static_selectorELNS0_4arch9wavefront6targetE1EEEvSM_.numbered_sgpr, 0
	.set _ZN7rocprim17ROCPRIM_400000_NS6detail17trampoline_kernelINS0_14default_configENS1_22reduce_config_selectorIlEEZNS1_11reduce_implILb1ES3_PlS7_lN6hipcub16HIPCUB_304000_NS6detail34convert_binary_result_type_wrapperINS9_3SumENS9_22TransformInputIteratorIb7NonZeroIaEPalEElEEEE10hipError_tPvRmT1_T2_T3_mT4_P12ihipStream_tbEUlT_E1_NS1_11comp_targetILNS1_3genE8ELNS1_11target_archE1030ELNS1_3gpuE2ELNS1_3repE0EEENS1_30default_config_static_selectorELNS0_4arch9wavefront6targetE1EEEvSM_.num_named_barrier, 0
	.set _ZN7rocprim17ROCPRIM_400000_NS6detail17trampoline_kernelINS0_14default_configENS1_22reduce_config_selectorIlEEZNS1_11reduce_implILb1ES3_PlS7_lN6hipcub16HIPCUB_304000_NS6detail34convert_binary_result_type_wrapperINS9_3SumENS9_22TransformInputIteratorIb7NonZeroIaEPalEElEEEE10hipError_tPvRmT1_T2_T3_mT4_P12ihipStream_tbEUlT_E1_NS1_11comp_targetILNS1_3genE8ELNS1_11target_archE1030ELNS1_3gpuE2ELNS1_3repE0EEENS1_30default_config_static_selectorELNS0_4arch9wavefront6targetE1EEEvSM_.private_seg_size, 0
	.set _ZN7rocprim17ROCPRIM_400000_NS6detail17trampoline_kernelINS0_14default_configENS1_22reduce_config_selectorIlEEZNS1_11reduce_implILb1ES3_PlS7_lN6hipcub16HIPCUB_304000_NS6detail34convert_binary_result_type_wrapperINS9_3SumENS9_22TransformInputIteratorIb7NonZeroIaEPalEElEEEE10hipError_tPvRmT1_T2_T3_mT4_P12ihipStream_tbEUlT_E1_NS1_11comp_targetILNS1_3genE8ELNS1_11target_archE1030ELNS1_3gpuE2ELNS1_3repE0EEENS1_30default_config_static_selectorELNS0_4arch9wavefront6targetE1EEEvSM_.uses_vcc, 0
	.set _ZN7rocprim17ROCPRIM_400000_NS6detail17trampoline_kernelINS0_14default_configENS1_22reduce_config_selectorIlEEZNS1_11reduce_implILb1ES3_PlS7_lN6hipcub16HIPCUB_304000_NS6detail34convert_binary_result_type_wrapperINS9_3SumENS9_22TransformInputIteratorIb7NonZeroIaEPalEElEEEE10hipError_tPvRmT1_T2_T3_mT4_P12ihipStream_tbEUlT_E1_NS1_11comp_targetILNS1_3genE8ELNS1_11target_archE1030ELNS1_3gpuE2ELNS1_3repE0EEENS1_30default_config_static_selectorELNS0_4arch9wavefront6targetE1EEEvSM_.uses_flat_scratch, 0
	.set _ZN7rocprim17ROCPRIM_400000_NS6detail17trampoline_kernelINS0_14default_configENS1_22reduce_config_selectorIlEEZNS1_11reduce_implILb1ES3_PlS7_lN6hipcub16HIPCUB_304000_NS6detail34convert_binary_result_type_wrapperINS9_3SumENS9_22TransformInputIteratorIb7NonZeroIaEPalEElEEEE10hipError_tPvRmT1_T2_T3_mT4_P12ihipStream_tbEUlT_E1_NS1_11comp_targetILNS1_3genE8ELNS1_11target_archE1030ELNS1_3gpuE2ELNS1_3repE0EEENS1_30default_config_static_selectorELNS0_4arch9wavefront6targetE1EEEvSM_.has_dyn_sized_stack, 0
	.set _ZN7rocprim17ROCPRIM_400000_NS6detail17trampoline_kernelINS0_14default_configENS1_22reduce_config_selectorIlEEZNS1_11reduce_implILb1ES3_PlS7_lN6hipcub16HIPCUB_304000_NS6detail34convert_binary_result_type_wrapperINS9_3SumENS9_22TransformInputIteratorIb7NonZeroIaEPalEElEEEE10hipError_tPvRmT1_T2_T3_mT4_P12ihipStream_tbEUlT_E1_NS1_11comp_targetILNS1_3genE8ELNS1_11target_archE1030ELNS1_3gpuE2ELNS1_3repE0EEENS1_30default_config_static_selectorELNS0_4arch9wavefront6targetE1EEEvSM_.has_recursion, 0
	.set _ZN7rocprim17ROCPRIM_400000_NS6detail17trampoline_kernelINS0_14default_configENS1_22reduce_config_selectorIlEEZNS1_11reduce_implILb1ES3_PlS7_lN6hipcub16HIPCUB_304000_NS6detail34convert_binary_result_type_wrapperINS9_3SumENS9_22TransformInputIteratorIb7NonZeroIaEPalEElEEEE10hipError_tPvRmT1_T2_T3_mT4_P12ihipStream_tbEUlT_E1_NS1_11comp_targetILNS1_3genE8ELNS1_11target_archE1030ELNS1_3gpuE2ELNS1_3repE0EEENS1_30default_config_static_selectorELNS0_4arch9wavefront6targetE1EEEvSM_.has_indirect_call, 0
	.section	.AMDGPU.csdata,"",@progbits
; Kernel info:
; codeLenInByte = 0
; TotalNumSgprs: 4
; NumVgprs: 0
; ScratchSize: 0
; MemoryBound: 0
; FloatMode: 240
; IeeeMode: 1
; LDSByteSize: 0 bytes/workgroup (compile time only)
; SGPRBlocks: 0
; VGPRBlocks: 0
; NumSGPRsForWavesPerEU: 4
; NumVGPRsForWavesPerEU: 1
; Occupancy: 10
; WaveLimiterHint : 0
; COMPUTE_PGM_RSRC2:SCRATCH_EN: 0
; COMPUTE_PGM_RSRC2:USER_SGPR: 6
; COMPUTE_PGM_RSRC2:TRAP_HANDLER: 0
; COMPUTE_PGM_RSRC2:TGID_X_EN: 1
; COMPUTE_PGM_RSRC2:TGID_Y_EN: 0
; COMPUTE_PGM_RSRC2:TGID_Z_EN: 0
; COMPUTE_PGM_RSRC2:TIDIG_COMP_CNT: 0
	.section	.text._ZN7rocprim17ROCPRIM_400000_NS6detail17trampoline_kernelINS0_14default_configENS1_22reduce_config_selectorIbEEZNS1_11reduce_implILb1ES3_N6hipcub16HIPCUB_304000_NS22TransformInputIteratorIb7NonZeroIaEPalEEPllNS8_6detail34convert_binary_result_type_wrapperINS8_3SumESD_lEEEE10hipError_tPvRmT1_T2_T3_mT4_P12ihipStream_tbEUlT_E0_NS1_11comp_targetILNS1_3genE0ELNS1_11target_archE4294967295ELNS1_3gpuE0ELNS1_3repE0EEENS1_30default_config_static_selectorELNS0_4arch9wavefront6targetE1EEEvSM_,"axG",@progbits,_ZN7rocprim17ROCPRIM_400000_NS6detail17trampoline_kernelINS0_14default_configENS1_22reduce_config_selectorIbEEZNS1_11reduce_implILb1ES3_N6hipcub16HIPCUB_304000_NS22TransformInputIteratorIb7NonZeroIaEPalEEPllNS8_6detail34convert_binary_result_type_wrapperINS8_3SumESD_lEEEE10hipError_tPvRmT1_T2_T3_mT4_P12ihipStream_tbEUlT_E0_NS1_11comp_targetILNS1_3genE0ELNS1_11target_archE4294967295ELNS1_3gpuE0ELNS1_3repE0EEENS1_30default_config_static_selectorELNS0_4arch9wavefront6targetE1EEEvSM_,comdat
	.protected	_ZN7rocprim17ROCPRIM_400000_NS6detail17trampoline_kernelINS0_14default_configENS1_22reduce_config_selectorIbEEZNS1_11reduce_implILb1ES3_N6hipcub16HIPCUB_304000_NS22TransformInputIteratorIb7NonZeroIaEPalEEPllNS8_6detail34convert_binary_result_type_wrapperINS8_3SumESD_lEEEE10hipError_tPvRmT1_T2_T3_mT4_P12ihipStream_tbEUlT_E0_NS1_11comp_targetILNS1_3genE0ELNS1_11target_archE4294967295ELNS1_3gpuE0ELNS1_3repE0EEENS1_30default_config_static_selectorELNS0_4arch9wavefront6targetE1EEEvSM_ ; -- Begin function _ZN7rocprim17ROCPRIM_400000_NS6detail17trampoline_kernelINS0_14default_configENS1_22reduce_config_selectorIbEEZNS1_11reduce_implILb1ES3_N6hipcub16HIPCUB_304000_NS22TransformInputIteratorIb7NonZeroIaEPalEEPllNS8_6detail34convert_binary_result_type_wrapperINS8_3SumESD_lEEEE10hipError_tPvRmT1_T2_T3_mT4_P12ihipStream_tbEUlT_E0_NS1_11comp_targetILNS1_3genE0ELNS1_11target_archE4294967295ELNS1_3gpuE0ELNS1_3repE0EEENS1_30default_config_static_selectorELNS0_4arch9wavefront6targetE1EEEvSM_
	.globl	_ZN7rocprim17ROCPRIM_400000_NS6detail17trampoline_kernelINS0_14default_configENS1_22reduce_config_selectorIbEEZNS1_11reduce_implILb1ES3_N6hipcub16HIPCUB_304000_NS22TransformInputIteratorIb7NonZeroIaEPalEEPllNS8_6detail34convert_binary_result_type_wrapperINS8_3SumESD_lEEEE10hipError_tPvRmT1_T2_T3_mT4_P12ihipStream_tbEUlT_E0_NS1_11comp_targetILNS1_3genE0ELNS1_11target_archE4294967295ELNS1_3gpuE0ELNS1_3repE0EEENS1_30default_config_static_selectorELNS0_4arch9wavefront6targetE1EEEvSM_
	.p2align	8
	.type	_ZN7rocprim17ROCPRIM_400000_NS6detail17trampoline_kernelINS0_14default_configENS1_22reduce_config_selectorIbEEZNS1_11reduce_implILb1ES3_N6hipcub16HIPCUB_304000_NS22TransformInputIteratorIb7NonZeroIaEPalEEPllNS8_6detail34convert_binary_result_type_wrapperINS8_3SumESD_lEEEE10hipError_tPvRmT1_T2_T3_mT4_P12ihipStream_tbEUlT_E0_NS1_11comp_targetILNS1_3genE0ELNS1_11target_archE4294967295ELNS1_3gpuE0ELNS1_3repE0EEENS1_30default_config_static_selectorELNS0_4arch9wavefront6targetE1EEEvSM_,@function
_ZN7rocprim17ROCPRIM_400000_NS6detail17trampoline_kernelINS0_14default_configENS1_22reduce_config_selectorIbEEZNS1_11reduce_implILb1ES3_N6hipcub16HIPCUB_304000_NS22TransformInputIteratorIb7NonZeroIaEPalEEPllNS8_6detail34convert_binary_result_type_wrapperINS8_3SumESD_lEEEE10hipError_tPvRmT1_T2_T3_mT4_P12ihipStream_tbEUlT_E0_NS1_11comp_targetILNS1_3genE0ELNS1_11target_archE4294967295ELNS1_3gpuE0ELNS1_3repE0EEENS1_30default_config_static_selectorELNS0_4arch9wavefront6targetE1EEEvSM_: ; @_ZN7rocprim17ROCPRIM_400000_NS6detail17trampoline_kernelINS0_14default_configENS1_22reduce_config_selectorIbEEZNS1_11reduce_implILb1ES3_N6hipcub16HIPCUB_304000_NS22TransformInputIteratorIb7NonZeroIaEPalEEPllNS8_6detail34convert_binary_result_type_wrapperINS8_3SumESD_lEEEE10hipError_tPvRmT1_T2_T3_mT4_P12ihipStream_tbEUlT_E0_NS1_11comp_targetILNS1_3genE0ELNS1_11target_archE4294967295ELNS1_3gpuE0ELNS1_3repE0EEENS1_30default_config_static_selectorELNS0_4arch9wavefront6targetE1EEEvSM_
; %bb.0:
	.section	.rodata,"a",@progbits
	.p2align	6, 0x0
	.amdhsa_kernel _ZN7rocprim17ROCPRIM_400000_NS6detail17trampoline_kernelINS0_14default_configENS1_22reduce_config_selectorIbEEZNS1_11reduce_implILb1ES3_N6hipcub16HIPCUB_304000_NS22TransformInputIteratorIb7NonZeroIaEPalEEPllNS8_6detail34convert_binary_result_type_wrapperINS8_3SumESD_lEEEE10hipError_tPvRmT1_T2_T3_mT4_P12ihipStream_tbEUlT_E0_NS1_11comp_targetILNS1_3genE0ELNS1_11target_archE4294967295ELNS1_3gpuE0ELNS1_3repE0EEENS1_30default_config_static_selectorELNS0_4arch9wavefront6targetE1EEEvSM_
		.amdhsa_group_segment_fixed_size 0
		.amdhsa_private_segment_fixed_size 0
		.amdhsa_kernarg_size 72
		.amdhsa_user_sgpr_count 6
		.amdhsa_user_sgpr_private_segment_buffer 1
		.amdhsa_user_sgpr_dispatch_ptr 0
		.amdhsa_user_sgpr_queue_ptr 0
		.amdhsa_user_sgpr_kernarg_segment_ptr 1
		.amdhsa_user_sgpr_dispatch_id 0
		.amdhsa_user_sgpr_flat_scratch_init 0
		.amdhsa_user_sgpr_private_segment_size 0
		.amdhsa_uses_dynamic_stack 0
		.amdhsa_system_sgpr_private_segment_wavefront_offset 0
		.amdhsa_system_sgpr_workgroup_id_x 1
		.amdhsa_system_sgpr_workgroup_id_y 0
		.amdhsa_system_sgpr_workgroup_id_z 0
		.amdhsa_system_sgpr_workgroup_info 0
		.amdhsa_system_vgpr_workitem_id 0
		.amdhsa_next_free_vgpr 1
		.amdhsa_next_free_sgpr 0
		.amdhsa_reserve_vcc 0
		.amdhsa_reserve_flat_scratch 0
		.amdhsa_float_round_mode_32 0
		.amdhsa_float_round_mode_16_64 0
		.amdhsa_float_denorm_mode_32 3
		.amdhsa_float_denorm_mode_16_64 3
		.amdhsa_dx10_clamp 1
		.amdhsa_ieee_mode 1
		.amdhsa_fp16_overflow 0
		.amdhsa_exception_fp_ieee_invalid_op 0
		.amdhsa_exception_fp_denorm_src 0
		.amdhsa_exception_fp_ieee_div_zero 0
		.amdhsa_exception_fp_ieee_overflow 0
		.amdhsa_exception_fp_ieee_underflow 0
		.amdhsa_exception_fp_ieee_inexact 0
		.amdhsa_exception_int_div_zero 0
	.end_amdhsa_kernel
	.section	.text._ZN7rocprim17ROCPRIM_400000_NS6detail17trampoline_kernelINS0_14default_configENS1_22reduce_config_selectorIbEEZNS1_11reduce_implILb1ES3_N6hipcub16HIPCUB_304000_NS22TransformInputIteratorIb7NonZeroIaEPalEEPllNS8_6detail34convert_binary_result_type_wrapperINS8_3SumESD_lEEEE10hipError_tPvRmT1_T2_T3_mT4_P12ihipStream_tbEUlT_E0_NS1_11comp_targetILNS1_3genE0ELNS1_11target_archE4294967295ELNS1_3gpuE0ELNS1_3repE0EEENS1_30default_config_static_selectorELNS0_4arch9wavefront6targetE1EEEvSM_,"axG",@progbits,_ZN7rocprim17ROCPRIM_400000_NS6detail17trampoline_kernelINS0_14default_configENS1_22reduce_config_selectorIbEEZNS1_11reduce_implILb1ES3_N6hipcub16HIPCUB_304000_NS22TransformInputIteratorIb7NonZeroIaEPalEEPllNS8_6detail34convert_binary_result_type_wrapperINS8_3SumESD_lEEEE10hipError_tPvRmT1_T2_T3_mT4_P12ihipStream_tbEUlT_E0_NS1_11comp_targetILNS1_3genE0ELNS1_11target_archE4294967295ELNS1_3gpuE0ELNS1_3repE0EEENS1_30default_config_static_selectorELNS0_4arch9wavefront6targetE1EEEvSM_,comdat
.Lfunc_end18:
	.size	_ZN7rocprim17ROCPRIM_400000_NS6detail17trampoline_kernelINS0_14default_configENS1_22reduce_config_selectorIbEEZNS1_11reduce_implILb1ES3_N6hipcub16HIPCUB_304000_NS22TransformInputIteratorIb7NonZeroIaEPalEEPllNS8_6detail34convert_binary_result_type_wrapperINS8_3SumESD_lEEEE10hipError_tPvRmT1_T2_T3_mT4_P12ihipStream_tbEUlT_E0_NS1_11comp_targetILNS1_3genE0ELNS1_11target_archE4294967295ELNS1_3gpuE0ELNS1_3repE0EEENS1_30default_config_static_selectorELNS0_4arch9wavefront6targetE1EEEvSM_, .Lfunc_end18-_ZN7rocprim17ROCPRIM_400000_NS6detail17trampoline_kernelINS0_14default_configENS1_22reduce_config_selectorIbEEZNS1_11reduce_implILb1ES3_N6hipcub16HIPCUB_304000_NS22TransformInputIteratorIb7NonZeroIaEPalEEPllNS8_6detail34convert_binary_result_type_wrapperINS8_3SumESD_lEEEE10hipError_tPvRmT1_T2_T3_mT4_P12ihipStream_tbEUlT_E0_NS1_11comp_targetILNS1_3genE0ELNS1_11target_archE4294967295ELNS1_3gpuE0ELNS1_3repE0EEENS1_30default_config_static_selectorELNS0_4arch9wavefront6targetE1EEEvSM_
                                        ; -- End function
	.set _ZN7rocprim17ROCPRIM_400000_NS6detail17trampoline_kernelINS0_14default_configENS1_22reduce_config_selectorIbEEZNS1_11reduce_implILb1ES3_N6hipcub16HIPCUB_304000_NS22TransformInputIteratorIb7NonZeroIaEPalEEPllNS8_6detail34convert_binary_result_type_wrapperINS8_3SumESD_lEEEE10hipError_tPvRmT1_T2_T3_mT4_P12ihipStream_tbEUlT_E0_NS1_11comp_targetILNS1_3genE0ELNS1_11target_archE4294967295ELNS1_3gpuE0ELNS1_3repE0EEENS1_30default_config_static_selectorELNS0_4arch9wavefront6targetE1EEEvSM_.num_vgpr, 0
	.set _ZN7rocprim17ROCPRIM_400000_NS6detail17trampoline_kernelINS0_14default_configENS1_22reduce_config_selectorIbEEZNS1_11reduce_implILb1ES3_N6hipcub16HIPCUB_304000_NS22TransformInputIteratorIb7NonZeroIaEPalEEPllNS8_6detail34convert_binary_result_type_wrapperINS8_3SumESD_lEEEE10hipError_tPvRmT1_T2_T3_mT4_P12ihipStream_tbEUlT_E0_NS1_11comp_targetILNS1_3genE0ELNS1_11target_archE4294967295ELNS1_3gpuE0ELNS1_3repE0EEENS1_30default_config_static_selectorELNS0_4arch9wavefront6targetE1EEEvSM_.num_agpr, 0
	.set _ZN7rocprim17ROCPRIM_400000_NS6detail17trampoline_kernelINS0_14default_configENS1_22reduce_config_selectorIbEEZNS1_11reduce_implILb1ES3_N6hipcub16HIPCUB_304000_NS22TransformInputIteratorIb7NonZeroIaEPalEEPllNS8_6detail34convert_binary_result_type_wrapperINS8_3SumESD_lEEEE10hipError_tPvRmT1_T2_T3_mT4_P12ihipStream_tbEUlT_E0_NS1_11comp_targetILNS1_3genE0ELNS1_11target_archE4294967295ELNS1_3gpuE0ELNS1_3repE0EEENS1_30default_config_static_selectorELNS0_4arch9wavefront6targetE1EEEvSM_.numbered_sgpr, 0
	.set _ZN7rocprim17ROCPRIM_400000_NS6detail17trampoline_kernelINS0_14default_configENS1_22reduce_config_selectorIbEEZNS1_11reduce_implILb1ES3_N6hipcub16HIPCUB_304000_NS22TransformInputIteratorIb7NonZeroIaEPalEEPllNS8_6detail34convert_binary_result_type_wrapperINS8_3SumESD_lEEEE10hipError_tPvRmT1_T2_T3_mT4_P12ihipStream_tbEUlT_E0_NS1_11comp_targetILNS1_3genE0ELNS1_11target_archE4294967295ELNS1_3gpuE0ELNS1_3repE0EEENS1_30default_config_static_selectorELNS0_4arch9wavefront6targetE1EEEvSM_.num_named_barrier, 0
	.set _ZN7rocprim17ROCPRIM_400000_NS6detail17trampoline_kernelINS0_14default_configENS1_22reduce_config_selectorIbEEZNS1_11reduce_implILb1ES3_N6hipcub16HIPCUB_304000_NS22TransformInputIteratorIb7NonZeroIaEPalEEPllNS8_6detail34convert_binary_result_type_wrapperINS8_3SumESD_lEEEE10hipError_tPvRmT1_T2_T3_mT4_P12ihipStream_tbEUlT_E0_NS1_11comp_targetILNS1_3genE0ELNS1_11target_archE4294967295ELNS1_3gpuE0ELNS1_3repE0EEENS1_30default_config_static_selectorELNS0_4arch9wavefront6targetE1EEEvSM_.private_seg_size, 0
	.set _ZN7rocprim17ROCPRIM_400000_NS6detail17trampoline_kernelINS0_14default_configENS1_22reduce_config_selectorIbEEZNS1_11reduce_implILb1ES3_N6hipcub16HIPCUB_304000_NS22TransformInputIteratorIb7NonZeroIaEPalEEPllNS8_6detail34convert_binary_result_type_wrapperINS8_3SumESD_lEEEE10hipError_tPvRmT1_T2_T3_mT4_P12ihipStream_tbEUlT_E0_NS1_11comp_targetILNS1_3genE0ELNS1_11target_archE4294967295ELNS1_3gpuE0ELNS1_3repE0EEENS1_30default_config_static_selectorELNS0_4arch9wavefront6targetE1EEEvSM_.uses_vcc, 0
	.set _ZN7rocprim17ROCPRIM_400000_NS6detail17trampoline_kernelINS0_14default_configENS1_22reduce_config_selectorIbEEZNS1_11reduce_implILb1ES3_N6hipcub16HIPCUB_304000_NS22TransformInputIteratorIb7NonZeroIaEPalEEPllNS8_6detail34convert_binary_result_type_wrapperINS8_3SumESD_lEEEE10hipError_tPvRmT1_T2_T3_mT4_P12ihipStream_tbEUlT_E0_NS1_11comp_targetILNS1_3genE0ELNS1_11target_archE4294967295ELNS1_3gpuE0ELNS1_3repE0EEENS1_30default_config_static_selectorELNS0_4arch9wavefront6targetE1EEEvSM_.uses_flat_scratch, 0
	.set _ZN7rocprim17ROCPRIM_400000_NS6detail17trampoline_kernelINS0_14default_configENS1_22reduce_config_selectorIbEEZNS1_11reduce_implILb1ES3_N6hipcub16HIPCUB_304000_NS22TransformInputIteratorIb7NonZeroIaEPalEEPllNS8_6detail34convert_binary_result_type_wrapperINS8_3SumESD_lEEEE10hipError_tPvRmT1_T2_T3_mT4_P12ihipStream_tbEUlT_E0_NS1_11comp_targetILNS1_3genE0ELNS1_11target_archE4294967295ELNS1_3gpuE0ELNS1_3repE0EEENS1_30default_config_static_selectorELNS0_4arch9wavefront6targetE1EEEvSM_.has_dyn_sized_stack, 0
	.set _ZN7rocprim17ROCPRIM_400000_NS6detail17trampoline_kernelINS0_14default_configENS1_22reduce_config_selectorIbEEZNS1_11reduce_implILb1ES3_N6hipcub16HIPCUB_304000_NS22TransformInputIteratorIb7NonZeroIaEPalEEPllNS8_6detail34convert_binary_result_type_wrapperINS8_3SumESD_lEEEE10hipError_tPvRmT1_T2_T3_mT4_P12ihipStream_tbEUlT_E0_NS1_11comp_targetILNS1_3genE0ELNS1_11target_archE4294967295ELNS1_3gpuE0ELNS1_3repE0EEENS1_30default_config_static_selectorELNS0_4arch9wavefront6targetE1EEEvSM_.has_recursion, 0
	.set _ZN7rocprim17ROCPRIM_400000_NS6detail17trampoline_kernelINS0_14default_configENS1_22reduce_config_selectorIbEEZNS1_11reduce_implILb1ES3_N6hipcub16HIPCUB_304000_NS22TransformInputIteratorIb7NonZeroIaEPalEEPllNS8_6detail34convert_binary_result_type_wrapperINS8_3SumESD_lEEEE10hipError_tPvRmT1_T2_T3_mT4_P12ihipStream_tbEUlT_E0_NS1_11comp_targetILNS1_3genE0ELNS1_11target_archE4294967295ELNS1_3gpuE0ELNS1_3repE0EEENS1_30default_config_static_selectorELNS0_4arch9wavefront6targetE1EEEvSM_.has_indirect_call, 0
	.section	.AMDGPU.csdata,"",@progbits
; Kernel info:
; codeLenInByte = 0
; TotalNumSgprs: 4
; NumVgprs: 0
; ScratchSize: 0
; MemoryBound: 0
; FloatMode: 240
; IeeeMode: 1
; LDSByteSize: 0 bytes/workgroup (compile time only)
; SGPRBlocks: 0
; VGPRBlocks: 0
; NumSGPRsForWavesPerEU: 4
; NumVGPRsForWavesPerEU: 1
; Occupancy: 10
; WaveLimiterHint : 0
; COMPUTE_PGM_RSRC2:SCRATCH_EN: 0
; COMPUTE_PGM_RSRC2:USER_SGPR: 6
; COMPUTE_PGM_RSRC2:TRAP_HANDLER: 0
; COMPUTE_PGM_RSRC2:TGID_X_EN: 1
; COMPUTE_PGM_RSRC2:TGID_Y_EN: 0
; COMPUTE_PGM_RSRC2:TGID_Z_EN: 0
; COMPUTE_PGM_RSRC2:TIDIG_COMP_CNT: 0
	.section	.text._ZN7rocprim17ROCPRIM_400000_NS6detail17trampoline_kernelINS0_14default_configENS1_22reduce_config_selectorIbEEZNS1_11reduce_implILb1ES3_N6hipcub16HIPCUB_304000_NS22TransformInputIteratorIb7NonZeroIaEPalEEPllNS8_6detail34convert_binary_result_type_wrapperINS8_3SumESD_lEEEE10hipError_tPvRmT1_T2_T3_mT4_P12ihipStream_tbEUlT_E0_NS1_11comp_targetILNS1_3genE5ELNS1_11target_archE942ELNS1_3gpuE9ELNS1_3repE0EEENS1_30default_config_static_selectorELNS0_4arch9wavefront6targetE1EEEvSM_,"axG",@progbits,_ZN7rocprim17ROCPRIM_400000_NS6detail17trampoline_kernelINS0_14default_configENS1_22reduce_config_selectorIbEEZNS1_11reduce_implILb1ES3_N6hipcub16HIPCUB_304000_NS22TransformInputIteratorIb7NonZeroIaEPalEEPllNS8_6detail34convert_binary_result_type_wrapperINS8_3SumESD_lEEEE10hipError_tPvRmT1_T2_T3_mT4_P12ihipStream_tbEUlT_E0_NS1_11comp_targetILNS1_3genE5ELNS1_11target_archE942ELNS1_3gpuE9ELNS1_3repE0EEENS1_30default_config_static_selectorELNS0_4arch9wavefront6targetE1EEEvSM_,comdat
	.protected	_ZN7rocprim17ROCPRIM_400000_NS6detail17trampoline_kernelINS0_14default_configENS1_22reduce_config_selectorIbEEZNS1_11reduce_implILb1ES3_N6hipcub16HIPCUB_304000_NS22TransformInputIteratorIb7NonZeroIaEPalEEPllNS8_6detail34convert_binary_result_type_wrapperINS8_3SumESD_lEEEE10hipError_tPvRmT1_T2_T3_mT4_P12ihipStream_tbEUlT_E0_NS1_11comp_targetILNS1_3genE5ELNS1_11target_archE942ELNS1_3gpuE9ELNS1_3repE0EEENS1_30default_config_static_selectorELNS0_4arch9wavefront6targetE1EEEvSM_ ; -- Begin function _ZN7rocprim17ROCPRIM_400000_NS6detail17trampoline_kernelINS0_14default_configENS1_22reduce_config_selectorIbEEZNS1_11reduce_implILb1ES3_N6hipcub16HIPCUB_304000_NS22TransformInputIteratorIb7NonZeroIaEPalEEPllNS8_6detail34convert_binary_result_type_wrapperINS8_3SumESD_lEEEE10hipError_tPvRmT1_T2_T3_mT4_P12ihipStream_tbEUlT_E0_NS1_11comp_targetILNS1_3genE5ELNS1_11target_archE942ELNS1_3gpuE9ELNS1_3repE0EEENS1_30default_config_static_selectorELNS0_4arch9wavefront6targetE1EEEvSM_
	.globl	_ZN7rocprim17ROCPRIM_400000_NS6detail17trampoline_kernelINS0_14default_configENS1_22reduce_config_selectorIbEEZNS1_11reduce_implILb1ES3_N6hipcub16HIPCUB_304000_NS22TransformInputIteratorIb7NonZeroIaEPalEEPllNS8_6detail34convert_binary_result_type_wrapperINS8_3SumESD_lEEEE10hipError_tPvRmT1_T2_T3_mT4_P12ihipStream_tbEUlT_E0_NS1_11comp_targetILNS1_3genE5ELNS1_11target_archE942ELNS1_3gpuE9ELNS1_3repE0EEENS1_30default_config_static_selectorELNS0_4arch9wavefront6targetE1EEEvSM_
	.p2align	8
	.type	_ZN7rocprim17ROCPRIM_400000_NS6detail17trampoline_kernelINS0_14default_configENS1_22reduce_config_selectorIbEEZNS1_11reduce_implILb1ES3_N6hipcub16HIPCUB_304000_NS22TransformInputIteratorIb7NonZeroIaEPalEEPllNS8_6detail34convert_binary_result_type_wrapperINS8_3SumESD_lEEEE10hipError_tPvRmT1_T2_T3_mT4_P12ihipStream_tbEUlT_E0_NS1_11comp_targetILNS1_3genE5ELNS1_11target_archE942ELNS1_3gpuE9ELNS1_3repE0EEENS1_30default_config_static_selectorELNS0_4arch9wavefront6targetE1EEEvSM_,@function
_ZN7rocprim17ROCPRIM_400000_NS6detail17trampoline_kernelINS0_14default_configENS1_22reduce_config_selectorIbEEZNS1_11reduce_implILb1ES3_N6hipcub16HIPCUB_304000_NS22TransformInputIteratorIb7NonZeroIaEPalEEPllNS8_6detail34convert_binary_result_type_wrapperINS8_3SumESD_lEEEE10hipError_tPvRmT1_T2_T3_mT4_P12ihipStream_tbEUlT_E0_NS1_11comp_targetILNS1_3genE5ELNS1_11target_archE942ELNS1_3gpuE9ELNS1_3repE0EEENS1_30default_config_static_selectorELNS0_4arch9wavefront6targetE1EEEvSM_: ; @_ZN7rocprim17ROCPRIM_400000_NS6detail17trampoline_kernelINS0_14default_configENS1_22reduce_config_selectorIbEEZNS1_11reduce_implILb1ES3_N6hipcub16HIPCUB_304000_NS22TransformInputIteratorIb7NonZeroIaEPalEEPllNS8_6detail34convert_binary_result_type_wrapperINS8_3SumESD_lEEEE10hipError_tPvRmT1_T2_T3_mT4_P12ihipStream_tbEUlT_E0_NS1_11comp_targetILNS1_3genE5ELNS1_11target_archE942ELNS1_3gpuE9ELNS1_3repE0EEENS1_30default_config_static_selectorELNS0_4arch9wavefront6targetE1EEEvSM_
; %bb.0:
	.section	.rodata,"a",@progbits
	.p2align	6, 0x0
	.amdhsa_kernel _ZN7rocprim17ROCPRIM_400000_NS6detail17trampoline_kernelINS0_14default_configENS1_22reduce_config_selectorIbEEZNS1_11reduce_implILb1ES3_N6hipcub16HIPCUB_304000_NS22TransformInputIteratorIb7NonZeroIaEPalEEPllNS8_6detail34convert_binary_result_type_wrapperINS8_3SumESD_lEEEE10hipError_tPvRmT1_T2_T3_mT4_P12ihipStream_tbEUlT_E0_NS1_11comp_targetILNS1_3genE5ELNS1_11target_archE942ELNS1_3gpuE9ELNS1_3repE0EEENS1_30default_config_static_selectorELNS0_4arch9wavefront6targetE1EEEvSM_
		.amdhsa_group_segment_fixed_size 0
		.amdhsa_private_segment_fixed_size 0
		.amdhsa_kernarg_size 72
		.amdhsa_user_sgpr_count 6
		.amdhsa_user_sgpr_private_segment_buffer 1
		.amdhsa_user_sgpr_dispatch_ptr 0
		.amdhsa_user_sgpr_queue_ptr 0
		.amdhsa_user_sgpr_kernarg_segment_ptr 1
		.amdhsa_user_sgpr_dispatch_id 0
		.amdhsa_user_sgpr_flat_scratch_init 0
		.amdhsa_user_sgpr_private_segment_size 0
		.amdhsa_uses_dynamic_stack 0
		.amdhsa_system_sgpr_private_segment_wavefront_offset 0
		.amdhsa_system_sgpr_workgroup_id_x 1
		.amdhsa_system_sgpr_workgroup_id_y 0
		.amdhsa_system_sgpr_workgroup_id_z 0
		.amdhsa_system_sgpr_workgroup_info 0
		.amdhsa_system_vgpr_workitem_id 0
		.amdhsa_next_free_vgpr 1
		.amdhsa_next_free_sgpr 0
		.amdhsa_reserve_vcc 0
		.amdhsa_reserve_flat_scratch 0
		.amdhsa_float_round_mode_32 0
		.amdhsa_float_round_mode_16_64 0
		.amdhsa_float_denorm_mode_32 3
		.amdhsa_float_denorm_mode_16_64 3
		.amdhsa_dx10_clamp 1
		.amdhsa_ieee_mode 1
		.amdhsa_fp16_overflow 0
		.amdhsa_exception_fp_ieee_invalid_op 0
		.amdhsa_exception_fp_denorm_src 0
		.amdhsa_exception_fp_ieee_div_zero 0
		.amdhsa_exception_fp_ieee_overflow 0
		.amdhsa_exception_fp_ieee_underflow 0
		.amdhsa_exception_fp_ieee_inexact 0
		.amdhsa_exception_int_div_zero 0
	.end_amdhsa_kernel
	.section	.text._ZN7rocprim17ROCPRIM_400000_NS6detail17trampoline_kernelINS0_14default_configENS1_22reduce_config_selectorIbEEZNS1_11reduce_implILb1ES3_N6hipcub16HIPCUB_304000_NS22TransformInputIteratorIb7NonZeroIaEPalEEPllNS8_6detail34convert_binary_result_type_wrapperINS8_3SumESD_lEEEE10hipError_tPvRmT1_T2_T3_mT4_P12ihipStream_tbEUlT_E0_NS1_11comp_targetILNS1_3genE5ELNS1_11target_archE942ELNS1_3gpuE9ELNS1_3repE0EEENS1_30default_config_static_selectorELNS0_4arch9wavefront6targetE1EEEvSM_,"axG",@progbits,_ZN7rocprim17ROCPRIM_400000_NS6detail17trampoline_kernelINS0_14default_configENS1_22reduce_config_selectorIbEEZNS1_11reduce_implILb1ES3_N6hipcub16HIPCUB_304000_NS22TransformInputIteratorIb7NonZeroIaEPalEEPllNS8_6detail34convert_binary_result_type_wrapperINS8_3SumESD_lEEEE10hipError_tPvRmT1_T2_T3_mT4_P12ihipStream_tbEUlT_E0_NS1_11comp_targetILNS1_3genE5ELNS1_11target_archE942ELNS1_3gpuE9ELNS1_3repE0EEENS1_30default_config_static_selectorELNS0_4arch9wavefront6targetE1EEEvSM_,comdat
.Lfunc_end19:
	.size	_ZN7rocprim17ROCPRIM_400000_NS6detail17trampoline_kernelINS0_14default_configENS1_22reduce_config_selectorIbEEZNS1_11reduce_implILb1ES3_N6hipcub16HIPCUB_304000_NS22TransformInputIteratorIb7NonZeroIaEPalEEPllNS8_6detail34convert_binary_result_type_wrapperINS8_3SumESD_lEEEE10hipError_tPvRmT1_T2_T3_mT4_P12ihipStream_tbEUlT_E0_NS1_11comp_targetILNS1_3genE5ELNS1_11target_archE942ELNS1_3gpuE9ELNS1_3repE0EEENS1_30default_config_static_selectorELNS0_4arch9wavefront6targetE1EEEvSM_, .Lfunc_end19-_ZN7rocprim17ROCPRIM_400000_NS6detail17trampoline_kernelINS0_14default_configENS1_22reduce_config_selectorIbEEZNS1_11reduce_implILb1ES3_N6hipcub16HIPCUB_304000_NS22TransformInputIteratorIb7NonZeroIaEPalEEPllNS8_6detail34convert_binary_result_type_wrapperINS8_3SumESD_lEEEE10hipError_tPvRmT1_T2_T3_mT4_P12ihipStream_tbEUlT_E0_NS1_11comp_targetILNS1_3genE5ELNS1_11target_archE942ELNS1_3gpuE9ELNS1_3repE0EEENS1_30default_config_static_selectorELNS0_4arch9wavefront6targetE1EEEvSM_
                                        ; -- End function
	.set _ZN7rocprim17ROCPRIM_400000_NS6detail17trampoline_kernelINS0_14default_configENS1_22reduce_config_selectorIbEEZNS1_11reduce_implILb1ES3_N6hipcub16HIPCUB_304000_NS22TransformInputIteratorIb7NonZeroIaEPalEEPllNS8_6detail34convert_binary_result_type_wrapperINS8_3SumESD_lEEEE10hipError_tPvRmT1_T2_T3_mT4_P12ihipStream_tbEUlT_E0_NS1_11comp_targetILNS1_3genE5ELNS1_11target_archE942ELNS1_3gpuE9ELNS1_3repE0EEENS1_30default_config_static_selectorELNS0_4arch9wavefront6targetE1EEEvSM_.num_vgpr, 0
	.set _ZN7rocprim17ROCPRIM_400000_NS6detail17trampoline_kernelINS0_14default_configENS1_22reduce_config_selectorIbEEZNS1_11reduce_implILb1ES3_N6hipcub16HIPCUB_304000_NS22TransformInputIteratorIb7NonZeroIaEPalEEPllNS8_6detail34convert_binary_result_type_wrapperINS8_3SumESD_lEEEE10hipError_tPvRmT1_T2_T3_mT4_P12ihipStream_tbEUlT_E0_NS1_11comp_targetILNS1_3genE5ELNS1_11target_archE942ELNS1_3gpuE9ELNS1_3repE0EEENS1_30default_config_static_selectorELNS0_4arch9wavefront6targetE1EEEvSM_.num_agpr, 0
	.set _ZN7rocprim17ROCPRIM_400000_NS6detail17trampoline_kernelINS0_14default_configENS1_22reduce_config_selectorIbEEZNS1_11reduce_implILb1ES3_N6hipcub16HIPCUB_304000_NS22TransformInputIteratorIb7NonZeroIaEPalEEPllNS8_6detail34convert_binary_result_type_wrapperINS8_3SumESD_lEEEE10hipError_tPvRmT1_T2_T3_mT4_P12ihipStream_tbEUlT_E0_NS1_11comp_targetILNS1_3genE5ELNS1_11target_archE942ELNS1_3gpuE9ELNS1_3repE0EEENS1_30default_config_static_selectorELNS0_4arch9wavefront6targetE1EEEvSM_.numbered_sgpr, 0
	.set _ZN7rocprim17ROCPRIM_400000_NS6detail17trampoline_kernelINS0_14default_configENS1_22reduce_config_selectorIbEEZNS1_11reduce_implILb1ES3_N6hipcub16HIPCUB_304000_NS22TransformInputIteratorIb7NonZeroIaEPalEEPllNS8_6detail34convert_binary_result_type_wrapperINS8_3SumESD_lEEEE10hipError_tPvRmT1_T2_T3_mT4_P12ihipStream_tbEUlT_E0_NS1_11comp_targetILNS1_3genE5ELNS1_11target_archE942ELNS1_3gpuE9ELNS1_3repE0EEENS1_30default_config_static_selectorELNS0_4arch9wavefront6targetE1EEEvSM_.num_named_barrier, 0
	.set _ZN7rocprim17ROCPRIM_400000_NS6detail17trampoline_kernelINS0_14default_configENS1_22reduce_config_selectorIbEEZNS1_11reduce_implILb1ES3_N6hipcub16HIPCUB_304000_NS22TransformInputIteratorIb7NonZeroIaEPalEEPllNS8_6detail34convert_binary_result_type_wrapperINS8_3SumESD_lEEEE10hipError_tPvRmT1_T2_T3_mT4_P12ihipStream_tbEUlT_E0_NS1_11comp_targetILNS1_3genE5ELNS1_11target_archE942ELNS1_3gpuE9ELNS1_3repE0EEENS1_30default_config_static_selectorELNS0_4arch9wavefront6targetE1EEEvSM_.private_seg_size, 0
	.set _ZN7rocprim17ROCPRIM_400000_NS6detail17trampoline_kernelINS0_14default_configENS1_22reduce_config_selectorIbEEZNS1_11reduce_implILb1ES3_N6hipcub16HIPCUB_304000_NS22TransformInputIteratorIb7NonZeroIaEPalEEPllNS8_6detail34convert_binary_result_type_wrapperINS8_3SumESD_lEEEE10hipError_tPvRmT1_T2_T3_mT4_P12ihipStream_tbEUlT_E0_NS1_11comp_targetILNS1_3genE5ELNS1_11target_archE942ELNS1_3gpuE9ELNS1_3repE0EEENS1_30default_config_static_selectorELNS0_4arch9wavefront6targetE1EEEvSM_.uses_vcc, 0
	.set _ZN7rocprim17ROCPRIM_400000_NS6detail17trampoline_kernelINS0_14default_configENS1_22reduce_config_selectorIbEEZNS1_11reduce_implILb1ES3_N6hipcub16HIPCUB_304000_NS22TransformInputIteratorIb7NonZeroIaEPalEEPllNS8_6detail34convert_binary_result_type_wrapperINS8_3SumESD_lEEEE10hipError_tPvRmT1_T2_T3_mT4_P12ihipStream_tbEUlT_E0_NS1_11comp_targetILNS1_3genE5ELNS1_11target_archE942ELNS1_3gpuE9ELNS1_3repE0EEENS1_30default_config_static_selectorELNS0_4arch9wavefront6targetE1EEEvSM_.uses_flat_scratch, 0
	.set _ZN7rocprim17ROCPRIM_400000_NS6detail17trampoline_kernelINS0_14default_configENS1_22reduce_config_selectorIbEEZNS1_11reduce_implILb1ES3_N6hipcub16HIPCUB_304000_NS22TransformInputIteratorIb7NonZeroIaEPalEEPllNS8_6detail34convert_binary_result_type_wrapperINS8_3SumESD_lEEEE10hipError_tPvRmT1_T2_T3_mT4_P12ihipStream_tbEUlT_E0_NS1_11comp_targetILNS1_3genE5ELNS1_11target_archE942ELNS1_3gpuE9ELNS1_3repE0EEENS1_30default_config_static_selectorELNS0_4arch9wavefront6targetE1EEEvSM_.has_dyn_sized_stack, 0
	.set _ZN7rocprim17ROCPRIM_400000_NS6detail17trampoline_kernelINS0_14default_configENS1_22reduce_config_selectorIbEEZNS1_11reduce_implILb1ES3_N6hipcub16HIPCUB_304000_NS22TransformInputIteratorIb7NonZeroIaEPalEEPllNS8_6detail34convert_binary_result_type_wrapperINS8_3SumESD_lEEEE10hipError_tPvRmT1_T2_T3_mT4_P12ihipStream_tbEUlT_E0_NS1_11comp_targetILNS1_3genE5ELNS1_11target_archE942ELNS1_3gpuE9ELNS1_3repE0EEENS1_30default_config_static_selectorELNS0_4arch9wavefront6targetE1EEEvSM_.has_recursion, 0
	.set _ZN7rocprim17ROCPRIM_400000_NS6detail17trampoline_kernelINS0_14default_configENS1_22reduce_config_selectorIbEEZNS1_11reduce_implILb1ES3_N6hipcub16HIPCUB_304000_NS22TransformInputIteratorIb7NonZeroIaEPalEEPllNS8_6detail34convert_binary_result_type_wrapperINS8_3SumESD_lEEEE10hipError_tPvRmT1_T2_T3_mT4_P12ihipStream_tbEUlT_E0_NS1_11comp_targetILNS1_3genE5ELNS1_11target_archE942ELNS1_3gpuE9ELNS1_3repE0EEENS1_30default_config_static_selectorELNS0_4arch9wavefront6targetE1EEEvSM_.has_indirect_call, 0
	.section	.AMDGPU.csdata,"",@progbits
; Kernel info:
; codeLenInByte = 0
; TotalNumSgprs: 4
; NumVgprs: 0
; ScratchSize: 0
; MemoryBound: 0
; FloatMode: 240
; IeeeMode: 1
; LDSByteSize: 0 bytes/workgroup (compile time only)
; SGPRBlocks: 0
; VGPRBlocks: 0
; NumSGPRsForWavesPerEU: 4
; NumVGPRsForWavesPerEU: 1
; Occupancy: 10
; WaveLimiterHint : 0
; COMPUTE_PGM_RSRC2:SCRATCH_EN: 0
; COMPUTE_PGM_RSRC2:USER_SGPR: 6
; COMPUTE_PGM_RSRC2:TRAP_HANDLER: 0
; COMPUTE_PGM_RSRC2:TGID_X_EN: 1
; COMPUTE_PGM_RSRC2:TGID_Y_EN: 0
; COMPUTE_PGM_RSRC2:TGID_Z_EN: 0
; COMPUTE_PGM_RSRC2:TIDIG_COMP_CNT: 0
	.section	.text._ZN7rocprim17ROCPRIM_400000_NS6detail17trampoline_kernelINS0_14default_configENS1_22reduce_config_selectorIbEEZNS1_11reduce_implILb1ES3_N6hipcub16HIPCUB_304000_NS22TransformInputIteratorIb7NonZeroIaEPalEEPllNS8_6detail34convert_binary_result_type_wrapperINS8_3SumESD_lEEEE10hipError_tPvRmT1_T2_T3_mT4_P12ihipStream_tbEUlT_E0_NS1_11comp_targetILNS1_3genE4ELNS1_11target_archE910ELNS1_3gpuE8ELNS1_3repE0EEENS1_30default_config_static_selectorELNS0_4arch9wavefront6targetE1EEEvSM_,"axG",@progbits,_ZN7rocprim17ROCPRIM_400000_NS6detail17trampoline_kernelINS0_14default_configENS1_22reduce_config_selectorIbEEZNS1_11reduce_implILb1ES3_N6hipcub16HIPCUB_304000_NS22TransformInputIteratorIb7NonZeroIaEPalEEPllNS8_6detail34convert_binary_result_type_wrapperINS8_3SumESD_lEEEE10hipError_tPvRmT1_T2_T3_mT4_P12ihipStream_tbEUlT_E0_NS1_11comp_targetILNS1_3genE4ELNS1_11target_archE910ELNS1_3gpuE8ELNS1_3repE0EEENS1_30default_config_static_selectorELNS0_4arch9wavefront6targetE1EEEvSM_,comdat
	.protected	_ZN7rocprim17ROCPRIM_400000_NS6detail17trampoline_kernelINS0_14default_configENS1_22reduce_config_selectorIbEEZNS1_11reduce_implILb1ES3_N6hipcub16HIPCUB_304000_NS22TransformInputIteratorIb7NonZeroIaEPalEEPllNS8_6detail34convert_binary_result_type_wrapperINS8_3SumESD_lEEEE10hipError_tPvRmT1_T2_T3_mT4_P12ihipStream_tbEUlT_E0_NS1_11comp_targetILNS1_3genE4ELNS1_11target_archE910ELNS1_3gpuE8ELNS1_3repE0EEENS1_30default_config_static_selectorELNS0_4arch9wavefront6targetE1EEEvSM_ ; -- Begin function _ZN7rocprim17ROCPRIM_400000_NS6detail17trampoline_kernelINS0_14default_configENS1_22reduce_config_selectorIbEEZNS1_11reduce_implILb1ES3_N6hipcub16HIPCUB_304000_NS22TransformInputIteratorIb7NonZeroIaEPalEEPllNS8_6detail34convert_binary_result_type_wrapperINS8_3SumESD_lEEEE10hipError_tPvRmT1_T2_T3_mT4_P12ihipStream_tbEUlT_E0_NS1_11comp_targetILNS1_3genE4ELNS1_11target_archE910ELNS1_3gpuE8ELNS1_3repE0EEENS1_30default_config_static_selectorELNS0_4arch9wavefront6targetE1EEEvSM_
	.globl	_ZN7rocprim17ROCPRIM_400000_NS6detail17trampoline_kernelINS0_14default_configENS1_22reduce_config_selectorIbEEZNS1_11reduce_implILb1ES3_N6hipcub16HIPCUB_304000_NS22TransformInputIteratorIb7NonZeroIaEPalEEPllNS8_6detail34convert_binary_result_type_wrapperINS8_3SumESD_lEEEE10hipError_tPvRmT1_T2_T3_mT4_P12ihipStream_tbEUlT_E0_NS1_11comp_targetILNS1_3genE4ELNS1_11target_archE910ELNS1_3gpuE8ELNS1_3repE0EEENS1_30default_config_static_selectorELNS0_4arch9wavefront6targetE1EEEvSM_
	.p2align	8
	.type	_ZN7rocprim17ROCPRIM_400000_NS6detail17trampoline_kernelINS0_14default_configENS1_22reduce_config_selectorIbEEZNS1_11reduce_implILb1ES3_N6hipcub16HIPCUB_304000_NS22TransformInputIteratorIb7NonZeroIaEPalEEPllNS8_6detail34convert_binary_result_type_wrapperINS8_3SumESD_lEEEE10hipError_tPvRmT1_T2_T3_mT4_P12ihipStream_tbEUlT_E0_NS1_11comp_targetILNS1_3genE4ELNS1_11target_archE910ELNS1_3gpuE8ELNS1_3repE0EEENS1_30default_config_static_selectorELNS0_4arch9wavefront6targetE1EEEvSM_,@function
_ZN7rocprim17ROCPRIM_400000_NS6detail17trampoline_kernelINS0_14default_configENS1_22reduce_config_selectorIbEEZNS1_11reduce_implILb1ES3_N6hipcub16HIPCUB_304000_NS22TransformInputIteratorIb7NonZeroIaEPalEEPllNS8_6detail34convert_binary_result_type_wrapperINS8_3SumESD_lEEEE10hipError_tPvRmT1_T2_T3_mT4_P12ihipStream_tbEUlT_E0_NS1_11comp_targetILNS1_3genE4ELNS1_11target_archE910ELNS1_3gpuE8ELNS1_3repE0EEENS1_30default_config_static_selectorELNS0_4arch9wavefront6targetE1EEEvSM_: ; @_ZN7rocprim17ROCPRIM_400000_NS6detail17trampoline_kernelINS0_14default_configENS1_22reduce_config_selectorIbEEZNS1_11reduce_implILb1ES3_N6hipcub16HIPCUB_304000_NS22TransformInputIteratorIb7NonZeroIaEPalEEPllNS8_6detail34convert_binary_result_type_wrapperINS8_3SumESD_lEEEE10hipError_tPvRmT1_T2_T3_mT4_P12ihipStream_tbEUlT_E0_NS1_11comp_targetILNS1_3genE4ELNS1_11target_archE910ELNS1_3gpuE8ELNS1_3repE0EEENS1_30default_config_static_selectorELNS0_4arch9wavefront6targetE1EEEvSM_
; %bb.0:
	.section	.rodata,"a",@progbits
	.p2align	6, 0x0
	.amdhsa_kernel _ZN7rocprim17ROCPRIM_400000_NS6detail17trampoline_kernelINS0_14default_configENS1_22reduce_config_selectorIbEEZNS1_11reduce_implILb1ES3_N6hipcub16HIPCUB_304000_NS22TransformInputIteratorIb7NonZeroIaEPalEEPllNS8_6detail34convert_binary_result_type_wrapperINS8_3SumESD_lEEEE10hipError_tPvRmT1_T2_T3_mT4_P12ihipStream_tbEUlT_E0_NS1_11comp_targetILNS1_3genE4ELNS1_11target_archE910ELNS1_3gpuE8ELNS1_3repE0EEENS1_30default_config_static_selectorELNS0_4arch9wavefront6targetE1EEEvSM_
		.amdhsa_group_segment_fixed_size 0
		.amdhsa_private_segment_fixed_size 0
		.amdhsa_kernarg_size 72
		.amdhsa_user_sgpr_count 6
		.amdhsa_user_sgpr_private_segment_buffer 1
		.amdhsa_user_sgpr_dispatch_ptr 0
		.amdhsa_user_sgpr_queue_ptr 0
		.amdhsa_user_sgpr_kernarg_segment_ptr 1
		.amdhsa_user_sgpr_dispatch_id 0
		.amdhsa_user_sgpr_flat_scratch_init 0
		.amdhsa_user_sgpr_private_segment_size 0
		.amdhsa_uses_dynamic_stack 0
		.amdhsa_system_sgpr_private_segment_wavefront_offset 0
		.amdhsa_system_sgpr_workgroup_id_x 1
		.amdhsa_system_sgpr_workgroup_id_y 0
		.amdhsa_system_sgpr_workgroup_id_z 0
		.amdhsa_system_sgpr_workgroup_info 0
		.amdhsa_system_vgpr_workitem_id 0
		.amdhsa_next_free_vgpr 1
		.amdhsa_next_free_sgpr 0
		.amdhsa_reserve_vcc 0
		.amdhsa_reserve_flat_scratch 0
		.amdhsa_float_round_mode_32 0
		.amdhsa_float_round_mode_16_64 0
		.amdhsa_float_denorm_mode_32 3
		.amdhsa_float_denorm_mode_16_64 3
		.amdhsa_dx10_clamp 1
		.amdhsa_ieee_mode 1
		.amdhsa_fp16_overflow 0
		.amdhsa_exception_fp_ieee_invalid_op 0
		.amdhsa_exception_fp_denorm_src 0
		.amdhsa_exception_fp_ieee_div_zero 0
		.amdhsa_exception_fp_ieee_overflow 0
		.amdhsa_exception_fp_ieee_underflow 0
		.amdhsa_exception_fp_ieee_inexact 0
		.amdhsa_exception_int_div_zero 0
	.end_amdhsa_kernel
	.section	.text._ZN7rocprim17ROCPRIM_400000_NS6detail17trampoline_kernelINS0_14default_configENS1_22reduce_config_selectorIbEEZNS1_11reduce_implILb1ES3_N6hipcub16HIPCUB_304000_NS22TransformInputIteratorIb7NonZeroIaEPalEEPllNS8_6detail34convert_binary_result_type_wrapperINS8_3SumESD_lEEEE10hipError_tPvRmT1_T2_T3_mT4_P12ihipStream_tbEUlT_E0_NS1_11comp_targetILNS1_3genE4ELNS1_11target_archE910ELNS1_3gpuE8ELNS1_3repE0EEENS1_30default_config_static_selectorELNS0_4arch9wavefront6targetE1EEEvSM_,"axG",@progbits,_ZN7rocprim17ROCPRIM_400000_NS6detail17trampoline_kernelINS0_14default_configENS1_22reduce_config_selectorIbEEZNS1_11reduce_implILb1ES3_N6hipcub16HIPCUB_304000_NS22TransformInputIteratorIb7NonZeroIaEPalEEPllNS8_6detail34convert_binary_result_type_wrapperINS8_3SumESD_lEEEE10hipError_tPvRmT1_T2_T3_mT4_P12ihipStream_tbEUlT_E0_NS1_11comp_targetILNS1_3genE4ELNS1_11target_archE910ELNS1_3gpuE8ELNS1_3repE0EEENS1_30default_config_static_selectorELNS0_4arch9wavefront6targetE1EEEvSM_,comdat
.Lfunc_end20:
	.size	_ZN7rocprim17ROCPRIM_400000_NS6detail17trampoline_kernelINS0_14default_configENS1_22reduce_config_selectorIbEEZNS1_11reduce_implILb1ES3_N6hipcub16HIPCUB_304000_NS22TransformInputIteratorIb7NonZeroIaEPalEEPllNS8_6detail34convert_binary_result_type_wrapperINS8_3SumESD_lEEEE10hipError_tPvRmT1_T2_T3_mT4_P12ihipStream_tbEUlT_E0_NS1_11comp_targetILNS1_3genE4ELNS1_11target_archE910ELNS1_3gpuE8ELNS1_3repE0EEENS1_30default_config_static_selectorELNS0_4arch9wavefront6targetE1EEEvSM_, .Lfunc_end20-_ZN7rocprim17ROCPRIM_400000_NS6detail17trampoline_kernelINS0_14default_configENS1_22reduce_config_selectorIbEEZNS1_11reduce_implILb1ES3_N6hipcub16HIPCUB_304000_NS22TransformInputIteratorIb7NonZeroIaEPalEEPllNS8_6detail34convert_binary_result_type_wrapperINS8_3SumESD_lEEEE10hipError_tPvRmT1_T2_T3_mT4_P12ihipStream_tbEUlT_E0_NS1_11comp_targetILNS1_3genE4ELNS1_11target_archE910ELNS1_3gpuE8ELNS1_3repE0EEENS1_30default_config_static_selectorELNS0_4arch9wavefront6targetE1EEEvSM_
                                        ; -- End function
	.set _ZN7rocprim17ROCPRIM_400000_NS6detail17trampoline_kernelINS0_14default_configENS1_22reduce_config_selectorIbEEZNS1_11reduce_implILb1ES3_N6hipcub16HIPCUB_304000_NS22TransformInputIteratorIb7NonZeroIaEPalEEPllNS8_6detail34convert_binary_result_type_wrapperINS8_3SumESD_lEEEE10hipError_tPvRmT1_T2_T3_mT4_P12ihipStream_tbEUlT_E0_NS1_11comp_targetILNS1_3genE4ELNS1_11target_archE910ELNS1_3gpuE8ELNS1_3repE0EEENS1_30default_config_static_selectorELNS0_4arch9wavefront6targetE1EEEvSM_.num_vgpr, 0
	.set _ZN7rocprim17ROCPRIM_400000_NS6detail17trampoline_kernelINS0_14default_configENS1_22reduce_config_selectorIbEEZNS1_11reduce_implILb1ES3_N6hipcub16HIPCUB_304000_NS22TransformInputIteratorIb7NonZeroIaEPalEEPllNS8_6detail34convert_binary_result_type_wrapperINS8_3SumESD_lEEEE10hipError_tPvRmT1_T2_T3_mT4_P12ihipStream_tbEUlT_E0_NS1_11comp_targetILNS1_3genE4ELNS1_11target_archE910ELNS1_3gpuE8ELNS1_3repE0EEENS1_30default_config_static_selectorELNS0_4arch9wavefront6targetE1EEEvSM_.num_agpr, 0
	.set _ZN7rocprim17ROCPRIM_400000_NS6detail17trampoline_kernelINS0_14default_configENS1_22reduce_config_selectorIbEEZNS1_11reduce_implILb1ES3_N6hipcub16HIPCUB_304000_NS22TransformInputIteratorIb7NonZeroIaEPalEEPllNS8_6detail34convert_binary_result_type_wrapperINS8_3SumESD_lEEEE10hipError_tPvRmT1_T2_T3_mT4_P12ihipStream_tbEUlT_E0_NS1_11comp_targetILNS1_3genE4ELNS1_11target_archE910ELNS1_3gpuE8ELNS1_3repE0EEENS1_30default_config_static_selectorELNS0_4arch9wavefront6targetE1EEEvSM_.numbered_sgpr, 0
	.set _ZN7rocprim17ROCPRIM_400000_NS6detail17trampoline_kernelINS0_14default_configENS1_22reduce_config_selectorIbEEZNS1_11reduce_implILb1ES3_N6hipcub16HIPCUB_304000_NS22TransformInputIteratorIb7NonZeroIaEPalEEPllNS8_6detail34convert_binary_result_type_wrapperINS8_3SumESD_lEEEE10hipError_tPvRmT1_T2_T3_mT4_P12ihipStream_tbEUlT_E0_NS1_11comp_targetILNS1_3genE4ELNS1_11target_archE910ELNS1_3gpuE8ELNS1_3repE0EEENS1_30default_config_static_selectorELNS0_4arch9wavefront6targetE1EEEvSM_.num_named_barrier, 0
	.set _ZN7rocprim17ROCPRIM_400000_NS6detail17trampoline_kernelINS0_14default_configENS1_22reduce_config_selectorIbEEZNS1_11reduce_implILb1ES3_N6hipcub16HIPCUB_304000_NS22TransformInputIteratorIb7NonZeroIaEPalEEPllNS8_6detail34convert_binary_result_type_wrapperINS8_3SumESD_lEEEE10hipError_tPvRmT1_T2_T3_mT4_P12ihipStream_tbEUlT_E0_NS1_11comp_targetILNS1_3genE4ELNS1_11target_archE910ELNS1_3gpuE8ELNS1_3repE0EEENS1_30default_config_static_selectorELNS0_4arch9wavefront6targetE1EEEvSM_.private_seg_size, 0
	.set _ZN7rocprim17ROCPRIM_400000_NS6detail17trampoline_kernelINS0_14default_configENS1_22reduce_config_selectorIbEEZNS1_11reduce_implILb1ES3_N6hipcub16HIPCUB_304000_NS22TransformInputIteratorIb7NonZeroIaEPalEEPllNS8_6detail34convert_binary_result_type_wrapperINS8_3SumESD_lEEEE10hipError_tPvRmT1_T2_T3_mT4_P12ihipStream_tbEUlT_E0_NS1_11comp_targetILNS1_3genE4ELNS1_11target_archE910ELNS1_3gpuE8ELNS1_3repE0EEENS1_30default_config_static_selectorELNS0_4arch9wavefront6targetE1EEEvSM_.uses_vcc, 0
	.set _ZN7rocprim17ROCPRIM_400000_NS6detail17trampoline_kernelINS0_14default_configENS1_22reduce_config_selectorIbEEZNS1_11reduce_implILb1ES3_N6hipcub16HIPCUB_304000_NS22TransformInputIteratorIb7NonZeroIaEPalEEPllNS8_6detail34convert_binary_result_type_wrapperINS8_3SumESD_lEEEE10hipError_tPvRmT1_T2_T3_mT4_P12ihipStream_tbEUlT_E0_NS1_11comp_targetILNS1_3genE4ELNS1_11target_archE910ELNS1_3gpuE8ELNS1_3repE0EEENS1_30default_config_static_selectorELNS0_4arch9wavefront6targetE1EEEvSM_.uses_flat_scratch, 0
	.set _ZN7rocprim17ROCPRIM_400000_NS6detail17trampoline_kernelINS0_14default_configENS1_22reduce_config_selectorIbEEZNS1_11reduce_implILb1ES3_N6hipcub16HIPCUB_304000_NS22TransformInputIteratorIb7NonZeroIaEPalEEPllNS8_6detail34convert_binary_result_type_wrapperINS8_3SumESD_lEEEE10hipError_tPvRmT1_T2_T3_mT4_P12ihipStream_tbEUlT_E0_NS1_11comp_targetILNS1_3genE4ELNS1_11target_archE910ELNS1_3gpuE8ELNS1_3repE0EEENS1_30default_config_static_selectorELNS0_4arch9wavefront6targetE1EEEvSM_.has_dyn_sized_stack, 0
	.set _ZN7rocprim17ROCPRIM_400000_NS6detail17trampoline_kernelINS0_14default_configENS1_22reduce_config_selectorIbEEZNS1_11reduce_implILb1ES3_N6hipcub16HIPCUB_304000_NS22TransformInputIteratorIb7NonZeroIaEPalEEPllNS8_6detail34convert_binary_result_type_wrapperINS8_3SumESD_lEEEE10hipError_tPvRmT1_T2_T3_mT4_P12ihipStream_tbEUlT_E0_NS1_11comp_targetILNS1_3genE4ELNS1_11target_archE910ELNS1_3gpuE8ELNS1_3repE0EEENS1_30default_config_static_selectorELNS0_4arch9wavefront6targetE1EEEvSM_.has_recursion, 0
	.set _ZN7rocprim17ROCPRIM_400000_NS6detail17trampoline_kernelINS0_14default_configENS1_22reduce_config_selectorIbEEZNS1_11reduce_implILb1ES3_N6hipcub16HIPCUB_304000_NS22TransformInputIteratorIb7NonZeroIaEPalEEPllNS8_6detail34convert_binary_result_type_wrapperINS8_3SumESD_lEEEE10hipError_tPvRmT1_T2_T3_mT4_P12ihipStream_tbEUlT_E0_NS1_11comp_targetILNS1_3genE4ELNS1_11target_archE910ELNS1_3gpuE8ELNS1_3repE0EEENS1_30default_config_static_selectorELNS0_4arch9wavefront6targetE1EEEvSM_.has_indirect_call, 0
	.section	.AMDGPU.csdata,"",@progbits
; Kernel info:
; codeLenInByte = 0
; TotalNumSgprs: 4
; NumVgprs: 0
; ScratchSize: 0
; MemoryBound: 0
; FloatMode: 240
; IeeeMode: 1
; LDSByteSize: 0 bytes/workgroup (compile time only)
; SGPRBlocks: 0
; VGPRBlocks: 0
; NumSGPRsForWavesPerEU: 4
; NumVGPRsForWavesPerEU: 1
; Occupancy: 10
; WaveLimiterHint : 0
; COMPUTE_PGM_RSRC2:SCRATCH_EN: 0
; COMPUTE_PGM_RSRC2:USER_SGPR: 6
; COMPUTE_PGM_RSRC2:TRAP_HANDLER: 0
; COMPUTE_PGM_RSRC2:TGID_X_EN: 1
; COMPUTE_PGM_RSRC2:TGID_Y_EN: 0
; COMPUTE_PGM_RSRC2:TGID_Z_EN: 0
; COMPUTE_PGM_RSRC2:TIDIG_COMP_CNT: 0
	.section	.text._ZN7rocprim17ROCPRIM_400000_NS6detail17trampoline_kernelINS0_14default_configENS1_22reduce_config_selectorIbEEZNS1_11reduce_implILb1ES3_N6hipcub16HIPCUB_304000_NS22TransformInputIteratorIb7NonZeroIaEPalEEPllNS8_6detail34convert_binary_result_type_wrapperINS8_3SumESD_lEEEE10hipError_tPvRmT1_T2_T3_mT4_P12ihipStream_tbEUlT_E0_NS1_11comp_targetILNS1_3genE3ELNS1_11target_archE908ELNS1_3gpuE7ELNS1_3repE0EEENS1_30default_config_static_selectorELNS0_4arch9wavefront6targetE1EEEvSM_,"axG",@progbits,_ZN7rocprim17ROCPRIM_400000_NS6detail17trampoline_kernelINS0_14default_configENS1_22reduce_config_selectorIbEEZNS1_11reduce_implILb1ES3_N6hipcub16HIPCUB_304000_NS22TransformInputIteratorIb7NonZeroIaEPalEEPllNS8_6detail34convert_binary_result_type_wrapperINS8_3SumESD_lEEEE10hipError_tPvRmT1_T2_T3_mT4_P12ihipStream_tbEUlT_E0_NS1_11comp_targetILNS1_3genE3ELNS1_11target_archE908ELNS1_3gpuE7ELNS1_3repE0EEENS1_30default_config_static_selectorELNS0_4arch9wavefront6targetE1EEEvSM_,comdat
	.protected	_ZN7rocprim17ROCPRIM_400000_NS6detail17trampoline_kernelINS0_14default_configENS1_22reduce_config_selectorIbEEZNS1_11reduce_implILb1ES3_N6hipcub16HIPCUB_304000_NS22TransformInputIteratorIb7NonZeroIaEPalEEPllNS8_6detail34convert_binary_result_type_wrapperINS8_3SumESD_lEEEE10hipError_tPvRmT1_T2_T3_mT4_P12ihipStream_tbEUlT_E0_NS1_11comp_targetILNS1_3genE3ELNS1_11target_archE908ELNS1_3gpuE7ELNS1_3repE0EEENS1_30default_config_static_selectorELNS0_4arch9wavefront6targetE1EEEvSM_ ; -- Begin function _ZN7rocprim17ROCPRIM_400000_NS6detail17trampoline_kernelINS0_14default_configENS1_22reduce_config_selectorIbEEZNS1_11reduce_implILb1ES3_N6hipcub16HIPCUB_304000_NS22TransformInputIteratorIb7NonZeroIaEPalEEPllNS8_6detail34convert_binary_result_type_wrapperINS8_3SumESD_lEEEE10hipError_tPvRmT1_T2_T3_mT4_P12ihipStream_tbEUlT_E0_NS1_11comp_targetILNS1_3genE3ELNS1_11target_archE908ELNS1_3gpuE7ELNS1_3repE0EEENS1_30default_config_static_selectorELNS0_4arch9wavefront6targetE1EEEvSM_
	.globl	_ZN7rocprim17ROCPRIM_400000_NS6detail17trampoline_kernelINS0_14default_configENS1_22reduce_config_selectorIbEEZNS1_11reduce_implILb1ES3_N6hipcub16HIPCUB_304000_NS22TransformInputIteratorIb7NonZeroIaEPalEEPllNS8_6detail34convert_binary_result_type_wrapperINS8_3SumESD_lEEEE10hipError_tPvRmT1_T2_T3_mT4_P12ihipStream_tbEUlT_E0_NS1_11comp_targetILNS1_3genE3ELNS1_11target_archE908ELNS1_3gpuE7ELNS1_3repE0EEENS1_30default_config_static_selectorELNS0_4arch9wavefront6targetE1EEEvSM_
	.p2align	8
	.type	_ZN7rocprim17ROCPRIM_400000_NS6detail17trampoline_kernelINS0_14default_configENS1_22reduce_config_selectorIbEEZNS1_11reduce_implILb1ES3_N6hipcub16HIPCUB_304000_NS22TransformInputIteratorIb7NonZeroIaEPalEEPllNS8_6detail34convert_binary_result_type_wrapperINS8_3SumESD_lEEEE10hipError_tPvRmT1_T2_T3_mT4_P12ihipStream_tbEUlT_E0_NS1_11comp_targetILNS1_3genE3ELNS1_11target_archE908ELNS1_3gpuE7ELNS1_3repE0EEENS1_30default_config_static_selectorELNS0_4arch9wavefront6targetE1EEEvSM_,@function
_ZN7rocprim17ROCPRIM_400000_NS6detail17trampoline_kernelINS0_14default_configENS1_22reduce_config_selectorIbEEZNS1_11reduce_implILb1ES3_N6hipcub16HIPCUB_304000_NS22TransformInputIteratorIb7NonZeroIaEPalEEPllNS8_6detail34convert_binary_result_type_wrapperINS8_3SumESD_lEEEE10hipError_tPvRmT1_T2_T3_mT4_P12ihipStream_tbEUlT_E0_NS1_11comp_targetILNS1_3genE3ELNS1_11target_archE908ELNS1_3gpuE7ELNS1_3repE0EEENS1_30default_config_static_selectorELNS0_4arch9wavefront6targetE1EEEvSM_: ; @_ZN7rocprim17ROCPRIM_400000_NS6detail17trampoline_kernelINS0_14default_configENS1_22reduce_config_selectorIbEEZNS1_11reduce_implILb1ES3_N6hipcub16HIPCUB_304000_NS22TransformInputIteratorIb7NonZeroIaEPalEEPllNS8_6detail34convert_binary_result_type_wrapperINS8_3SumESD_lEEEE10hipError_tPvRmT1_T2_T3_mT4_P12ihipStream_tbEUlT_E0_NS1_11comp_targetILNS1_3genE3ELNS1_11target_archE908ELNS1_3gpuE7ELNS1_3repE0EEENS1_30default_config_static_selectorELNS0_4arch9wavefront6targetE1EEEvSM_
; %bb.0:
	.section	.rodata,"a",@progbits
	.p2align	6, 0x0
	.amdhsa_kernel _ZN7rocprim17ROCPRIM_400000_NS6detail17trampoline_kernelINS0_14default_configENS1_22reduce_config_selectorIbEEZNS1_11reduce_implILb1ES3_N6hipcub16HIPCUB_304000_NS22TransformInputIteratorIb7NonZeroIaEPalEEPllNS8_6detail34convert_binary_result_type_wrapperINS8_3SumESD_lEEEE10hipError_tPvRmT1_T2_T3_mT4_P12ihipStream_tbEUlT_E0_NS1_11comp_targetILNS1_3genE3ELNS1_11target_archE908ELNS1_3gpuE7ELNS1_3repE0EEENS1_30default_config_static_selectorELNS0_4arch9wavefront6targetE1EEEvSM_
		.amdhsa_group_segment_fixed_size 0
		.amdhsa_private_segment_fixed_size 0
		.amdhsa_kernarg_size 72
		.amdhsa_user_sgpr_count 6
		.amdhsa_user_sgpr_private_segment_buffer 1
		.amdhsa_user_sgpr_dispatch_ptr 0
		.amdhsa_user_sgpr_queue_ptr 0
		.amdhsa_user_sgpr_kernarg_segment_ptr 1
		.amdhsa_user_sgpr_dispatch_id 0
		.amdhsa_user_sgpr_flat_scratch_init 0
		.amdhsa_user_sgpr_private_segment_size 0
		.amdhsa_uses_dynamic_stack 0
		.amdhsa_system_sgpr_private_segment_wavefront_offset 0
		.amdhsa_system_sgpr_workgroup_id_x 1
		.amdhsa_system_sgpr_workgroup_id_y 0
		.amdhsa_system_sgpr_workgroup_id_z 0
		.amdhsa_system_sgpr_workgroup_info 0
		.amdhsa_system_vgpr_workitem_id 0
		.amdhsa_next_free_vgpr 1
		.amdhsa_next_free_sgpr 0
		.amdhsa_reserve_vcc 0
		.amdhsa_reserve_flat_scratch 0
		.amdhsa_float_round_mode_32 0
		.amdhsa_float_round_mode_16_64 0
		.amdhsa_float_denorm_mode_32 3
		.amdhsa_float_denorm_mode_16_64 3
		.amdhsa_dx10_clamp 1
		.amdhsa_ieee_mode 1
		.amdhsa_fp16_overflow 0
		.amdhsa_exception_fp_ieee_invalid_op 0
		.amdhsa_exception_fp_denorm_src 0
		.amdhsa_exception_fp_ieee_div_zero 0
		.amdhsa_exception_fp_ieee_overflow 0
		.amdhsa_exception_fp_ieee_underflow 0
		.amdhsa_exception_fp_ieee_inexact 0
		.amdhsa_exception_int_div_zero 0
	.end_amdhsa_kernel
	.section	.text._ZN7rocprim17ROCPRIM_400000_NS6detail17trampoline_kernelINS0_14default_configENS1_22reduce_config_selectorIbEEZNS1_11reduce_implILb1ES3_N6hipcub16HIPCUB_304000_NS22TransformInputIteratorIb7NonZeroIaEPalEEPllNS8_6detail34convert_binary_result_type_wrapperINS8_3SumESD_lEEEE10hipError_tPvRmT1_T2_T3_mT4_P12ihipStream_tbEUlT_E0_NS1_11comp_targetILNS1_3genE3ELNS1_11target_archE908ELNS1_3gpuE7ELNS1_3repE0EEENS1_30default_config_static_selectorELNS0_4arch9wavefront6targetE1EEEvSM_,"axG",@progbits,_ZN7rocprim17ROCPRIM_400000_NS6detail17trampoline_kernelINS0_14default_configENS1_22reduce_config_selectorIbEEZNS1_11reduce_implILb1ES3_N6hipcub16HIPCUB_304000_NS22TransformInputIteratorIb7NonZeroIaEPalEEPllNS8_6detail34convert_binary_result_type_wrapperINS8_3SumESD_lEEEE10hipError_tPvRmT1_T2_T3_mT4_P12ihipStream_tbEUlT_E0_NS1_11comp_targetILNS1_3genE3ELNS1_11target_archE908ELNS1_3gpuE7ELNS1_3repE0EEENS1_30default_config_static_selectorELNS0_4arch9wavefront6targetE1EEEvSM_,comdat
.Lfunc_end21:
	.size	_ZN7rocprim17ROCPRIM_400000_NS6detail17trampoline_kernelINS0_14default_configENS1_22reduce_config_selectorIbEEZNS1_11reduce_implILb1ES3_N6hipcub16HIPCUB_304000_NS22TransformInputIteratorIb7NonZeroIaEPalEEPllNS8_6detail34convert_binary_result_type_wrapperINS8_3SumESD_lEEEE10hipError_tPvRmT1_T2_T3_mT4_P12ihipStream_tbEUlT_E0_NS1_11comp_targetILNS1_3genE3ELNS1_11target_archE908ELNS1_3gpuE7ELNS1_3repE0EEENS1_30default_config_static_selectorELNS0_4arch9wavefront6targetE1EEEvSM_, .Lfunc_end21-_ZN7rocprim17ROCPRIM_400000_NS6detail17trampoline_kernelINS0_14default_configENS1_22reduce_config_selectorIbEEZNS1_11reduce_implILb1ES3_N6hipcub16HIPCUB_304000_NS22TransformInputIteratorIb7NonZeroIaEPalEEPllNS8_6detail34convert_binary_result_type_wrapperINS8_3SumESD_lEEEE10hipError_tPvRmT1_T2_T3_mT4_P12ihipStream_tbEUlT_E0_NS1_11comp_targetILNS1_3genE3ELNS1_11target_archE908ELNS1_3gpuE7ELNS1_3repE0EEENS1_30default_config_static_selectorELNS0_4arch9wavefront6targetE1EEEvSM_
                                        ; -- End function
	.set _ZN7rocprim17ROCPRIM_400000_NS6detail17trampoline_kernelINS0_14default_configENS1_22reduce_config_selectorIbEEZNS1_11reduce_implILb1ES3_N6hipcub16HIPCUB_304000_NS22TransformInputIteratorIb7NonZeroIaEPalEEPllNS8_6detail34convert_binary_result_type_wrapperINS8_3SumESD_lEEEE10hipError_tPvRmT1_T2_T3_mT4_P12ihipStream_tbEUlT_E0_NS1_11comp_targetILNS1_3genE3ELNS1_11target_archE908ELNS1_3gpuE7ELNS1_3repE0EEENS1_30default_config_static_selectorELNS0_4arch9wavefront6targetE1EEEvSM_.num_vgpr, 0
	.set _ZN7rocprim17ROCPRIM_400000_NS6detail17trampoline_kernelINS0_14default_configENS1_22reduce_config_selectorIbEEZNS1_11reduce_implILb1ES3_N6hipcub16HIPCUB_304000_NS22TransformInputIteratorIb7NonZeroIaEPalEEPllNS8_6detail34convert_binary_result_type_wrapperINS8_3SumESD_lEEEE10hipError_tPvRmT1_T2_T3_mT4_P12ihipStream_tbEUlT_E0_NS1_11comp_targetILNS1_3genE3ELNS1_11target_archE908ELNS1_3gpuE7ELNS1_3repE0EEENS1_30default_config_static_selectorELNS0_4arch9wavefront6targetE1EEEvSM_.num_agpr, 0
	.set _ZN7rocprim17ROCPRIM_400000_NS6detail17trampoline_kernelINS0_14default_configENS1_22reduce_config_selectorIbEEZNS1_11reduce_implILb1ES3_N6hipcub16HIPCUB_304000_NS22TransformInputIteratorIb7NonZeroIaEPalEEPllNS8_6detail34convert_binary_result_type_wrapperINS8_3SumESD_lEEEE10hipError_tPvRmT1_T2_T3_mT4_P12ihipStream_tbEUlT_E0_NS1_11comp_targetILNS1_3genE3ELNS1_11target_archE908ELNS1_3gpuE7ELNS1_3repE0EEENS1_30default_config_static_selectorELNS0_4arch9wavefront6targetE1EEEvSM_.numbered_sgpr, 0
	.set _ZN7rocprim17ROCPRIM_400000_NS6detail17trampoline_kernelINS0_14default_configENS1_22reduce_config_selectorIbEEZNS1_11reduce_implILb1ES3_N6hipcub16HIPCUB_304000_NS22TransformInputIteratorIb7NonZeroIaEPalEEPllNS8_6detail34convert_binary_result_type_wrapperINS8_3SumESD_lEEEE10hipError_tPvRmT1_T2_T3_mT4_P12ihipStream_tbEUlT_E0_NS1_11comp_targetILNS1_3genE3ELNS1_11target_archE908ELNS1_3gpuE7ELNS1_3repE0EEENS1_30default_config_static_selectorELNS0_4arch9wavefront6targetE1EEEvSM_.num_named_barrier, 0
	.set _ZN7rocprim17ROCPRIM_400000_NS6detail17trampoline_kernelINS0_14default_configENS1_22reduce_config_selectorIbEEZNS1_11reduce_implILb1ES3_N6hipcub16HIPCUB_304000_NS22TransformInputIteratorIb7NonZeroIaEPalEEPllNS8_6detail34convert_binary_result_type_wrapperINS8_3SumESD_lEEEE10hipError_tPvRmT1_T2_T3_mT4_P12ihipStream_tbEUlT_E0_NS1_11comp_targetILNS1_3genE3ELNS1_11target_archE908ELNS1_3gpuE7ELNS1_3repE0EEENS1_30default_config_static_selectorELNS0_4arch9wavefront6targetE1EEEvSM_.private_seg_size, 0
	.set _ZN7rocprim17ROCPRIM_400000_NS6detail17trampoline_kernelINS0_14default_configENS1_22reduce_config_selectorIbEEZNS1_11reduce_implILb1ES3_N6hipcub16HIPCUB_304000_NS22TransformInputIteratorIb7NonZeroIaEPalEEPllNS8_6detail34convert_binary_result_type_wrapperINS8_3SumESD_lEEEE10hipError_tPvRmT1_T2_T3_mT4_P12ihipStream_tbEUlT_E0_NS1_11comp_targetILNS1_3genE3ELNS1_11target_archE908ELNS1_3gpuE7ELNS1_3repE0EEENS1_30default_config_static_selectorELNS0_4arch9wavefront6targetE1EEEvSM_.uses_vcc, 0
	.set _ZN7rocprim17ROCPRIM_400000_NS6detail17trampoline_kernelINS0_14default_configENS1_22reduce_config_selectorIbEEZNS1_11reduce_implILb1ES3_N6hipcub16HIPCUB_304000_NS22TransformInputIteratorIb7NonZeroIaEPalEEPllNS8_6detail34convert_binary_result_type_wrapperINS8_3SumESD_lEEEE10hipError_tPvRmT1_T2_T3_mT4_P12ihipStream_tbEUlT_E0_NS1_11comp_targetILNS1_3genE3ELNS1_11target_archE908ELNS1_3gpuE7ELNS1_3repE0EEENS1_30default_config_static_selectorELNS0_4arch9wavefront6targetE1EEEvSM_.uses_flat_scratch, 0
	.set _ZN7rocprim17ROCPRIM_400000_NS6detail17trampoline_kernelINS0_14default_configENS1_22reduce_config_selectorIbEEZNS1_11reduce_implILb1ES3_N6hipcub16HIPCUB_304000_NS22TransformInputIteratorIb7NonZeroIaEPalEEPllNS8_6detail34convert_binary_result_type_wrapperINS8_3SumESD_lEEEE10hipError_tPvRmT1_T2_T3_mT4_P12ihipStream_tbEUlT_E0_NS1_11comp_targetILNS1_3genE3ELNS1_11target_archE908ELNS1_3gpuE7ELNS1_3repE0EEENS1_30default_config_static_selectorELNS0_4arch9wavefront6targetE1EEEvSM_.has_dyn_sized_stack, 0
	.set _ZN7rocprim17ROCPRIM_400000_NS6detail17trampoline_kernelINS0_14default_configENS1_22reduce_config_selectorIbEEZNS1_11reduce_implILb1ES3_N6hipcub16HIPCUB_304000_NS22TransformInputIteratorIb7NonZeroIaEPalEEPllNS8_6detail34convert_binary_result_type_wrapperINS8_3SumESD_lEEEE10hipError_tPvRmT1_T2_T3_mT4_P12ihipStream_tbEUlT_E0_NS1_11comp_targetILNS1_3genE3ELNS1_11target_archE908ELNS1_3gpuE7ELNS1_3repE0EEENS1_30default_config_static_selectorELNS0_4arch9wavefront6targetE1EEEvSM_.has_recursion, 0
	.set _ZN7rocprim17ROCPRIM_400000_NS6detail17trampoline_kernelINS0_14default_configENS1_22reduce_config_selectorIbEEZNS1_11reduce_implILb1ES3_N6hipcub16HIPCUB_304000_NS22TransformInputIteratorIb7NonZeroIaEPalEEPllNS8_6detail34convert_binary_result_type_wrapperINS8_3SumESD_lEEEE10hipError_tPvRmT1_T2_T3_mT4_P12ihipStream_tbEUlT_E0_NS1_11comp_targetILNS1_3genE3ELNS1_11target_archE908ELNS1_3gpuE7ELNS1_3repE0EEENS1_30default_config_static_selectorELNS0_4arch9wavefront6targetE1EEEvSM_.has_indirect_call, 0
	.section	.AMDGPU.csdata,"",@progbits
; Kernel info:
; codeLenInByte = 0
; TotalNumSgprs: 4
; NumVgprs: 0
; ScratchSize: 0
; MemoryBound: 0
; FloatMode: 240
; IeeeMode: 1
; LDSByteSize: 0 bytes/workgroup (compile time only)
; SGPRBlocks: 0
; VGPRBlocks: 0
; NumSGPRsForWavesPerEU: 4
; NumVGPRsForWavesPerEU: 1
; Occupancy: 10
; WaveLimiterHint : 0
; COMPUTE_PGM_RSRC2:SCRATCH_EN: 0
; COMPUTE_PGM_RSRC2:USER_SGPR: 6
; COMPUTE_PGM_RSRC2:TRAP_HANDLER: 0
; COMPUTE_PGM_RSRC2:TGID_X_EN: 1
; COMPUTE_PGM_RSRC2:TGID_Y_EN: 0
; COMPUTE_PGM_RSRC2:TGID_Z_EN: 0
; COMPUTE_PGM_RSRC2:TIDIG_COMP_CNT: 0
	.section	.text._ZN7rocprim17ROCPRIM_400000_NS6detail17trampoline_kernelINS0_14default_configENS1_22reduce_config_selectorIbEEZNS1_11reduce_implILb1ES3_N6hipcub16HIPCUB_304000_NS22TransformInputIteratorIb7NonZeroIaEPalEEPllNS8_6detail34convert_binary_result_type_wrapperINS8_3SumESD_lEEEE10hipError_tPvRmT1_T2_T3_mT4_P12ihipStream_tbEUlT_E0_NS1_11comp_targetILNS1_3genE2ELNS1_11target_archE906ELNS1_3gpuE6ELNS1_3repE0EEENS1_30default_config_static_selectorELNS0_4arch9wavefront6targetE1EEEvSM_,"axG",@progbits,_ZN7rocprim17ROCPRIM_400000_NS6detail17trampoline_kernelINS0_14default_configENS1_22reduce_config_selectorIbEEZNS1_11reduce_implILb1ES3_N6hipcub16HIPCUB_304000_NS22TransformInputIteratorIb7NonZeroIaEPalEEPllNS8_6detail34convert_binary_result_type_wrapperINS8_3SumESD_lEEEE10hipError_tPvRmT1_T2_T3_mT4_P12ihipStream_tbEUlT_E0_NS1_11comp_targetILNS1_3genE2ELNS1_11target_archE906ELNS1_3gpuE6ELNS1_3repE0EEENS1_30default_config_static_selectorELNS0_4arch9wavefront6targetE1EEEvSM_,comdat
	.protected	_ZN7rocprim17ROCPRIM_400000_NS6detail17trampoline_kernelINS0_14default_configENS1_22reduce_config_selectorIbEEZNS1_11reduce_implILb1ES3_N6hipcub16HIPCUB_304000_NS22TransformInputIteratorIb7NonZeroIaEPalEEPllNS8_6detail34convert_binary_result_type_wrapperINS8_3SumESD_lEEEE10hipError_tPvRmT1_T2_T3_mT4_P12ihipStream_tbEUlT_E0_NS1_11comp_targetILNS1_3genE2ELNS1_11target_archE906ELNS1_3gpuE6ELNS1_3repE0EEENS1_30default_config_static_selectorELNS0_4arch9wavefront6targetE1EEEvSM_ ; -- Begin function _ZN7rocprim17ROCPRIM_400000_NS6detail17trampoline_kernelINS0_14default_configENS1_22reduce_config_selectorIbEEZNS1_11reduce_implILb1ES3_N6hipcub16HIPCUB_304000_NS22TransformInputIteratorIb7NonZeroIaEPalEEPllNS8_6detail34convert_binary_result_type_wrapperINS8_3SumESD_lEEEE10hipError_tPvRmT1_T2_T3_mT4_P12ihipStream_tbEUlT_E0_NS1_11comp_targetILNS1_3genE2ELNS1_11target_archE906ELNS1_3gpuE6ELNS1_3repE0EEENS1_30default_config_static_selectorELNS0_4arch9wavefront6targetE1EEEvSM_
	.globl	_ZN7rocprim17ROCPRIM_400000_NS6detail17trampoline_kernelINS0_14default_configENS1_22reduce_config_selectorIbEEZNS1_11reduce_implILb1ES3_N6hipcub16HIPCUB_304000_NS22TransformInputIteratorIb7NonZeroIaEPalEEPllNS8_6detail34convert_binary_result_type_wrapperINS8_3SumESD_lEEEE10hipError_tPvRmT1_T2_T3_mT4_P12ihipStream_tbEUlT_E0_NS1_11comp_targetILNS1_3genE2ELNS1_11target_archE906ELNS1_3gpuE6ELNS1_3repE0EEENS1_30default_config_static_selectorELNS0_4arch9wavefront6targetE1EEEvSM_
	.p2align	8
	.type	_ZN7rocprim17ROCPRIM_400000_NS6detail17trampoline_kernelINS0_14default_configENS1_22reduce_config_selectorIbEEZNS1_11reduce_implILb1ES3_N6hipcub16HIPCUB_304000_NS22TransformInputIteratorIb7NonZeroIaEPalEEPllNS8_6detail34convert_binary_result_type_wrapperINS8_3SumESD_lEEEE10hipError_tPvRmT1_T2_T3_mT4_P12ihipStream_tbEUlT_E0_NS1_11comp_targetILNS1_3genE2ELNS1_11target_archE906ELNS1_3gpuE6ELNS1_3repE0EEENS1_30default_config_static_selectorELNS0_4arch9wavefront6targetE1EEEvSM_,@function
_ZN7rocprim17ROCPRIM_400000_NS6detail17trampoline_kernelINS0_14default_configENS1_22reduce_config_selectorIbEEZNS1_11reduce_implILb1ES3_N6hipcub16HIPCUB_304000_NS22TransformInputIteratorIb7NonZeroIaEPalEEPllNS8_6detail34convert_binary_result_type_wrapperINS8_3SumESD_lEEEE10hipError_tPvRmT1_T2_T3_mT4_P12ihipStream_tbEUlT_E0_NS1_11comp_targetILNS1_3genE2ELNS1_11target_archE906ELNS1_3gpuE6ELNS1_3repE0EEENS1_30default_config_static_selectorELNS0_4arch9wavefront6targetE1EEEvSM_: ; @_ZN7rocprim17ROCPRIM_400000_NS6detail17trampoline_kernelINS0_14default_configENS1_22reduce_config_selectorIbEEZNS1_11reduce_implILb1ES3_N6hipcub16HIPCUB_304000_NS22TransformInputIteratorIb7NonZeroIaEPalEEPllNS8_6detail34convert_binary_result_type_wrapperINS8_3SumESD_lEEEE10hipError_tPvRmT1_T2_T3_mT4_P12ihipStream_tbEUlT_E0_NS1_11comp_targetILNS1_3genE2ELNS1_11target_archE906ELNS1_3gpuE6ELNS1_3repE0EEENS1_30default_config_static_selectorELNS0_4arch9wavefront6targetE1EEEvSM_
; %bb.0:
	s_load_dwordx2 s[16:17], s[4:5], 0x0
	s_load_dwordx8 s[8:15], s[4:5], 0x10
	s_load_dwordx4 s[0:3], s[4:5], 0x30
	s_mov_b32 s7, 0
	v_mbcnt_lo_u32_b32 v33, -1, 0
	s_waitcnt lgkmcnt(0)
	s_add_u32 s4, s16, s8
	s_addc_u32 s5, s17, s9
	s_lshl_b32 s16, s6, 11
	s_lshr_b64 s[8:9], s[10:11], 11
	s_add_u32 s4, s4, s16
	s_addc_u32 s5, s5, 0
	s_cmp_lg_u64 s[8:9], s[6:7]
	s_cbranch_scc0 .LBB22_6
; %bb.1:
	global_load_ubyte v1, v0, s[4:5] offset:384
	global_load_ubyte v2, v0, s[4:5] offset:512
	;; [unrolled: 1-line block ×14, first 2 shown]
	global_load_ubyte v15, v0, s[4:5]
	global_load_ubyte v16, v0, s[4:5] offset:256
	v_mov_b32_e32 v17, 0
	s_waitcnt vmcnt(15)
	v_cmp_ne_u16_e32 vcc, 0, v1
	v_cndmask_b32_e64 v1, 0, 1, vcc
	s_waitcnt vmcnt(14)
	v_cmp_ne_u16_e32 vcc, 0, v2
	v_cndmask_b32_e64 v2, 0, 1, vcc
	;; [unrolled: 3-line block ×15, first 2 shown]
	s_waitcnt vmcnt(0)
	v_cmp_ne_u16_e32 vcc, 0, v16
	v_addc_co_u32_e32 v14, vcc, v14, v15, vcc
	v_add_co_u32_e32 v1, vcc, v14, v1
	v_addc_co_u32_e64 v14, s[8:9], 0, 0, vcc
	v_add_co_u32_e32 v1, vcc, v1, v2
	v_addc_co_u32_e32 v2, vcc, 0, v14, vcc
	v_add_co_u32_e32 v1, vcc, v1, v3
	v_addc_co_u32_e32 v2, vcc, 0, v2, vcc
	;; [unrolled: 2-line block ×12, first 2 shown]
	s_nop 0
	v_mov_b32_dpp v4, v1 quad_perm:[1,0,3,2] row_mask:0xf bank_mask:0xf bound_ctrl:1
	v_add_co_u32_e32 v1, vcc, v1, v4
	v_addc_co_u32_e32 v2, vcc, 0, v2, vcc
	v_mov_b32_dpp v5, v17 quad_perm:[1,0,3,2] row_mask:0xf bank_mask:0xf bound_ctrl:1
	v_add_co_u32_e32 v4, vcc, 0, v1
	v_addc_co_u32_e32 v2, vcc, v5, v2, vcc
	v_mov_b32_dpp v1, v1 quad_perm:[2,3,0,1] row_mask:0xf bank_mask:0xf bound_ctrl:1
	v_add_co_u32_e32 v1, vcc, v4, v1
	v_mov_b32_dpp v5, v2 quad_perm:[2,3,0,1] row_mask:0xf bank_mask:0xf bound_ctrl:1
	v_addc_co_u32_e32 v2, vcc, 0, v2, vcc
	v_add_co_u32_e32 v4, vcc, 0, v1
	v_addc_co_u32_e32 v2, vcc, v2, v5, vcc
	v_mov_b32_dpp v1, v1 row_ror:4 row_mask:0xf bank_mask:0xf bound_ctrl:1
	v_add_co_u32_e32 v1, vcc, v4, v1
	v_mov_b32_dpp v5, v2 row_ror:4 row_mask:0xf bank_mask:0xf bound_ctrl:1
	v_addc_co_u32_e32 v2, vcc, 0, v2, vcc
	v_add_co_u32_e32 v4, vcc, 0, v1
	v_addc_co_u32_e32 v2, vcc, v2, v5, vcc
	v_mov_b32_dpp v1, v1 row_ror:8 row_mask:0xf bank_mask:0xf bound_ctrl:1
	v_add_co_u32_e32 v1, vcc, v4, v1
	v_mov_b32_dpp v5, v2 row_ror:8 row_mask:0xf bank_mask:0xf bound_ctrl:1
	v_addc_co_u32_e32 v2, vcc, 0, v2, vcc
	v_add_co_u32_e32 v4, vcc, 0, v1
	v_addc_co_u32_e32 v2, vcc, v2, v5, vcc
	v_mov_b32_dpp v1, v1 row_bcast:15 row_mask:0xf bank_mask:0xf bound_ctrl:1
	v_add_co_u32_e32 v1, vcc, v4, v1
	v_mov_b32_dpp v5, v2 row_bcast:15 row_mask:0xf bank_mask:0xf bound_ctrl:1
	v_addc_co_u32_e32 v2, vcc, 0, v2, vcc
	v_add_co_u32_e32 v4, vcc, 0, v1
	v_addc_co_u32_e32 v2, vcc, v2, v5, vcc
	v_mov_b32_dpp v1, v1 row_bcast:31 row_mask:0xf bank_mask:0xf bound_ctrl:1
	v_add_co_u32_e32 v1, vcc, v4, v1
	v_mbcnt_hi_u32_b32 v3, -1, v33
	v_addc_co_u32_e32 v4, vcc, 0, v2, vcc
	v_cmp_eq_u32_e32 vcc, 0, v3
	s_nop 0
	v_add_u32_dpp v2, v2, v4 row_bcast:31 row_mask:0xf bank_mask:0xf bound_ctrl:1
	v_lshlrev_b32_e32 v4, 2, v3
	v_or_b32_e32 v5, 0xfc, v4
	ds_bpermute_b32 v1, v5, v1
	ds_bpermute_b32 v2, v5, v2
	s_and_saveexec_b64 s[8:9], vcc
	s_cbranch_execz .LBB22_3
; %bb.2:
	v_lshrrev_b32_e32 v5, 3, v0
	v_and_b32_e32 v5, 8, v5
	s_waitcnt lgkmcnt(0)
	ds_write_b64 v5, v[1:2]
.LBB22_3:
	s_or_b64 exec, exec, s[8:9]
	v_cmp_gt_u32_e32 vcc, 64, v0
	s_waitcnt lgkmcnt(0)
	s_barrier
	s_and_saveexec_b64 s[8:9], vcc
	s_cbranch_execz .LBB22_5
; %bb.4:
	v_and_b32_e32 v1, 1, v3
	v_lshlrev_b32_e32 v1, 3, v1
	ds_read_b64 v[1:2], v1
	v_or_b32_e32 v3, 4, v4
	s_waitcnt lgkmcnt(0)
	ds_bpermute_b32 v4, v3, v1
	ds_bpermute_b32 v3, v3, v2
	s_waitcnt lgkmcnt(1)
	v_add_co_u32_e32 v1, vcc, v1, v4
	v_addc_co_u32_e32 v2, vcc, 0, v2, vcc
	v_add_co_u32_e32 v1, vcc, 0, v1
	s_waitcnt lgkmcnt(0)
	v_addc_co_u32_e32 v2, vcc, v2, v3, vcc
.LBB22_5:
	s_or_b64 exec, exec, s[8:9]
	s_branch .LBB22_54
.LBB22_6:
                                        ; implicit-def: $vgpr1_vgpr2
	s_cbranch_execz .LBB22_54
; %bb.7:
	s_sub_i32 s16, s10, s16
	v_cmp_gt_u32_e32 vcc, s16, v0
                                        ; implicit-def: $vgpr1_vgpr2
	s_and_saveexec_b64 s[8:9], vcc
	s_cbranch_execz .LBB22_9
; %bb.8:
	global_load_ubyte v1, v0, s[4:5]
	s_mov_b32 s17, 0
	v_mov_b32_e32 v2, s17
	s_waitcnt vmcnt(0)
	v_cmp_ne_u16_e32 vcc, 0, v1
	v_cndmask_b32_e64 v1, 0, 1, vcc
.LBB22_9:
	s_or_b64 exec, exec, s[8:9]
	v_or_b32_e32 v7, 0x80, v0
	v_mov_b32_e32 v3, 0
	v_mov_b32_e32 v5, 0
	v_mov_b32_e32 v4, 0
	v_mov_b32_e32 v6, 0
	v_cmp_gt_u32_e32 vcc, s16, v7
	s_and_saveexec_b64 s[8:9], vcc
	s_cbranch_execz .LBB22_11
; %bb.10:
	global_load_ubyte v5, v0, s[4:5] offset:128
	s_mov_b32 s17, 0
	v_mov_b32_e32 v6, s17
	s_waitcnt vmcnt(0)
	v_cmp_ne_u16_e32 vcc, 0, v5
	v_cndmask_b32_e64 v5, 0, 1, vcc
.LBB22_11:
	s_or_b64 exec, exec, s[8:9]
	v_or_b32_e32 v7, 0x100, v0
	v_cmp_gt_u32_e32 vcc, s16, v7
	s_and_saveexec_b64 s[8:9], vcc
	s_cbranch_execz .LBB22_13
; %bb.12:
	global_load_ubyte v3, v0, s[4:5] offset:256
	s_mov_b32 s17, 0
	v_mov_b32_e32 v4, s17
	s_waitcnt vmcnt(0)
	v_cmp_ne_u16_e32 vcc, 0, v3
	v_cndmask_b32_e64 v3, 0, 1, vcc
.LBB22_13:
	s_or_b64 exec, exec, s[8:9]
	v_or_b32_e32 v11, 0x180, v0
	v_mov_b32_e32 v7, 0
	v_mov_b32_e32 v9, 0
	v_mov_b32_e32 v8, 0
	v_mov_b32_e32 v10, 0
	v_cmp_gt_u32_e32 vcc, s16, v11
	s_and_saveexec_b64 s[8:9], vcc
	s_cbranch_execz .LBB22_15
; %bb.14:
	global_load_ubyte v9, v0, s[4:5] offset:384
	s_mov_b32 s17, 0
	v_mov_b32_e32 v10, s17
	s_waitcnt vmcnt(0)
	v_cmp_ne_u16_e32 vcc, 0, v9
	v_cndmask_b32_e64 v9, 0, 1, vcc
.LBB22_15:
	s_or_b64 exec, exec, s[8:9]
	v_or_b32_e32 v11, 0x200, v0
	v_cmp_gt_u32_e32 vcc, s16, v11
	s_and_saveexec_b64 s[8:9], vcc
	s_cbranch_execz .LBB22_17
; %bb.16:
	global_load_ubyte v7, v0, s[4:5] offset:512
	s_mov_b32 s17, 0
	v_mov_b32_e32 v8, s17
	s_waitcnt vmcnt(0)
	v_cmp_ne_u16_e32 vcc, 0, v7
	v_cndmask_b32_e64 v7, 0, 1, vcc
.LBB22_17:
	;; [unrolled: 30-line block ×7, first 2 shown]
	s_or_b64 exec, exec, s[8:9]
	v_or_b32_e32 v34, 0x780, v0
	v_mov_b32_e32 v31, 0
	v_mov_b32_e32 v32, 0
	v_cmp_gt_u32_e32 vcc, s16, v34
	s_and_saveexec_b64 s[8:9], vcc
	s_cbranch_execz .LBB22_39
; %bb.38:
	global_load_ubyte v31, v0, s[4:5] offset:1920
	s_mov_b32 s4, 0
	v_mov_b32_e32 v32, s4
	s_waitcnt vmcnt(0)
	v_cmp_ne_u16_e32 vcc, 0, v31
	v_cndmask_b32_e64 v31, 0, 1, vcc
.LBB22_39:
	s_or_b64 exec, exec, s[8:9]
	v_add_co_u32_e32 v1, vcc, v5, v1
	v_addc_co_u32_e32 v2, vcc, v6, v2, vcc
	v_add_co_u32_e32 v1, vcc, v1, v3
	v_addc_co_u32_e32 v2, vcc, v2, v4, vcc
	;; [unrolled: 2-line block ×14, first 2 shown]
	v_add_co_u32_e32 v1, vcc, v1, v31
	v_mbcnt_hi_u32_b32 v3, -1, v33
	v_addc_co_u32_e32 v2, vcc, v2, v32, vcc
	v_and_b32_e32 v4, 63, v3
	v_cmp_ne_u32_e32 vcc, 63, v4
	v_addc_co_u32_e32 v6, vcc, 0, v3, vcc
	v_lshlrev_b32_e32 v6, 2, v6
	ds_bpermute_b32 v8, v6, v1
	ds_bpermute_b32 v7, v6, v2
	s_min_u32 s8, s16, 0x80
	v_and_b32_e32 v5, 64, v0
	v_sub_u32_e64 v5, s8, v5 clamp
	v_add_u32_e32 v6, 1, v4
	v_cmp_lt_u32_e32 vcc, v6, v5
	v_mov_b32_e32 v6, v1
	s_and_saveexec_b64 s[4:5], vcc
	s_cbranch_execz .LBB22_41
; %bb.40:
	s_waitcnt lgkmcnt(1)
	v_add_co_u32_e32 v6, vcc, v1, v8
	v_addc_co_u32_e32 v2, vcc, 0, v2, vcc
	v_add_co_u32_e32 v1, vcc, 0, v6
	s_waitcnt lgkmcnt(0)
	v_addc_co_u32_e32 v2, vcc, v7, v2, vcc
.LBB22_41:
	s_or_b64 exec, exec, s[4:5]
	v_cmp_gt_u32_e32 vcc, 62, v4
	s_waitcnt lgkmcnt(0)
	v_cndmask_b32_e64 v7, 0, 2, vcc
	v_add_lshl_u32 v7, v7, v3, 2
	ds_bpermute_b32 v8, v7, v6
	ds_bpermute_b32 v7, v7, v2
	v_add_u32_e32 v9, 2, v4
	v_cmp_lt_u32_e32 vcc, v9, v5
	s_and_saveexec_b64 s[4:5], vcc
	s_cbranch_execz .LBB22_43
; %bb.42:
	s_waitcnt lgkmcnt(1)
	v_add_co_u32_e32 v6, vcc, v1, v8
	v_addc_co_u32_e32 v2, vcc, 0, v2, vcc
	v_add_co_u32_e32 v1, vcc, 0, v6
	s_waitcnt lgkmcnt(0)
	v_addc_co_u32_e32 v2, vcc, v7, v2, vcc
.LBB22_43:
	s_or_b64 exec, exec, s[4:5]
	v_cmp_gt_u32_e32 vcc, 60, v4
	s_waitcnt lgkmcnt(0)
	v_cndmask_b32_e64 v7, 0, 4, vcc
	v_add_lshl_u32 v7, v7, v3, 2
	ds_bpermute_b32 v8, v7, v6
	ds_bpermute_b32 v7, v7, v2
	v_add_u32_e32 v9, 4, v4
	v_cmp_lt_u32_e32 vcc, v9, v5
	s_and_saveexec_b64 s[4:5], vcc
	s_cbranch_execz .LBB22_45
; %bb.44:
	s_waitcnt lgkmcnt(1)
	v_add_co_u32_e32 v6, vcc, v1, v8
	v_addc_co_u32_e32 v2, vcc, 0, v2, vcc
	v_add_co_u32_e32 v1, vcc, 0, v6
	s_waitcnt lgkmcnt(0)
	v_addc_co_u32_e32 v2, vcc, v7, v2, vcc
.LBB22_45:
	s_or_b64 exec, exec, s[4:5]
	v_cmp_gt_u32_e32 vcc, 56, v4
	s_waitcnt lgkmcnt(0)
	v_cndmask_b32_e64 v7, 0, 8, vcc
	v_add_lshl_u32 v7, v7, v3, 2
	ds_bpermute_b32 v8, v7, v6
	ds_bpermute_b32 v7, v7, v2
	v_add_u32_e32 v9, 8, v4
	v_cmp_lt_u32_e32 vcc, v9, v5
	s_and_saveexec_b64 s[4:5], vcc
	s_cbranch_execz .LBB22_47
; %bb.46:
	s_waitcnt lgkmcnt(1)
	v_add_co_u32_e32 v6, vcc, v1, v8
	v_addc_co_u32_e32 v2, vcc, 0, v2, vcc
	v_add_co_u32_e32 v1, vcc, 0, v6
	s_waitcnt lgkmcnt(0)
	v_addc_co_u32_e32 v2, vcc, v7, v2, vcc
.LBB22_47:
	s_or_b64 exec, exec, s[4:5]
	v_cmp_gt_u32_e32 vcc, 48, v4
	s_waitcnt lgkmcnt(0)
	v_cndmask_b32_e64 v7, 0, 16, vcc
	v_add_lshl_u32 v7, v7, v3, 2
	ds_bpermute_b32 v8, v7, v6
	ds_bpermute_b32 v7, v7, v2
	v_add_u32_e32 v9, 16, v4
	v_cmp_lt_u32_e32 vcc, v9, v5
	s_and_saveexec_b64 s[4:5], vcc
	s_cbranch_execz .LBB22_49
; %bb.48:
	s_waitcnt lgkmcnt(1)
	v_add_co_u32_e32 v6, vcc, v1, v8
	v_addc_co_u32_e32 v2, vcc, 0, v2, vcc
	v_add_co_u32_e32 v1, vcc, 0, v6
	s_waitcnt lgkmcnt(0)
	v_addc_co_u32_e32 v2, vcc, v7, v2, vcc
.LBB22_49:
	s_or_b64 exec, exec, s[4:5]
	s_waitcnt lgkmcnt(0)
	v_lshlrev_b32_e32 v7, 2, v3
	v_or_b32_e32 v8, 0x80, v7
	ds_bpermute_b32 v6, v8, v6
	ds_bpermute_b32 v8, v8, v2
	v_add_u32_e32 v4, 32, v4
	s_waitcnt lgkmcnt(1)
	v_add_co_u32_e32 v6, vcc, v1, v6
	v_addc_co_u32_e32 v9, vcc, 0, v2, vcc
	v_add_co_u32_e32 v6, vcc, 0, v6
	s_waitcnt lgkmcnt(0)
	v_addc_co_u32_e32 v8, vcc, v9, v8, vcc
	v_cmp_lt_u32_e32 vcc, v4, v5
	v_cndmask_b32_e32 v2, v2, v8, vcc
	v_cndmask_b32_e32 v1, v1, v6, vcc
	v_cmp_eq_u32_e32 vcc, 0, v3
	s_and_saveexec_b64 s[4:5], vcc
; %bb.50:
	v_lshrrev_b32_e32 v4, 3, v0
	v_and_b32_e32 v4, 8, v4
	ds_write_b64 v4, v[1:2] offset:16
; %bb.51:
	s_or_b64 exec, exec, s[4:5]
	v_cmp_gt_u32_e32 vcc, 2, v0
	s_waitcnt lgkmcnt(0)
	s_barrier
	s_and_saveexec_b64 s[4:5], vcc
	s_cbranch_execz .LBB22_53
; %bb.52:
	v_lshlrev_b32_e32 v1, 3, v3
	ds_read_b64 v[1:2], v1 offset:16
	v_or_b32_e32 v4, 4, v7
	s_add_i32 s8, s8, 63
	v_and_b32_e32 v3, 1, v3
	s_lshr_b32 s8, s8, 6
	s_waitcnt lgkmcnt(0)
	ds_bpermute_b32 v5, v4, v2
	ds_bpermute_b32 v4, v4, v1
	v_add_u32_e32 v3, 1, v3
	v_cmp_gt_u32_e32 vcc, s8, v3
	s_waitcnt lgkmcnt(1)
	v_cndmask_b32_e32 v3, 0, v5, vcc
	s_waitcnt lgkmcnt(0)
	v_cndmask_b32_e32 v4, 0, v4, vcc
	v_add_co_u32_e32 v1, vcc, v4, v1
	v_addc_co_u32_e32 v2, vcc, v3, v2, vcc
.LBB22_53:
	s_or_b64 exec, exec, s[4:5]
.LBB22_54:
	v_cmp_eq_u32_e32 vcc, 0, v0
	s_and_saveexec_b64 s[4:5], vcc
	s_cbranch_execnz .LBB22_56
; %bb.55:
	s_endpgm
.LBB22_56:
	s_mul_i32 s4, s0, s15
	s_mul_hi_u32 s5, s0, s14
	s_add_i32 s4, s5, s4
	s_mul_i32 s1, s1, s14
	s_add_i32 s1, s4, s1
	s_mul_i32 s0, s0, s14
	s_lshl_b64 s[0:1], s[0:1], 3
	s_add_u32 s4, s12, s0
	s_addc_u32 s5, s13, s1
	s_cmp_eq_u64 s[10:11], 0
	v_mov_b32_e32 v0, s3
	s_cselect_b64 vcc, -1, 0
	s_lshl_b64 s[0:1], s[6:7], 3
	v_cndmask_b32_e32 v2, v2, v0, vcc
	v_mov_b32_e32 v0, s2
	s_add_u32 s0, s4, s0
	v_cndmask_b32_e32 v1, v1, v0, vcc
	s_addc_u32 s1, s5, s1
	v_mov_b32_e32 v0, 0
	global_store_dwordx2 v0, v[1:2], s[0:1]
	s_endpgm
	.section	.rodata,"a",@progbits
	.p2align	6, 0x0
	.amdhsa_kernel _ZN7rocprim17ROCPRIM_400000_NS6detail17trampoline_kernelINS0_14default_configENS1_22reduce_config_selectorIbEEZNS1_11reduce_implILb1ES3_N6hipcub16HIPCUB_304000_NS22TransformInputIteratorIb7NonZeroIaEPalEEPllNS8_6detail34convert_binary_result_type_wrapperINS8_3SumESD_lEEEE10hipError_tPvRmT1_T2_T3_mT4_P12ihipStream_tbEUlT_E0_NS1_11comp_targetILNS1_3genE2ELNS1_11target_archE906ELNS1_3gpuE6ELNS1_3repE0EEENS1_30default_config_static_selectorELNS0_4arch9wavefront6targetE1EEEvSM_
		.amdhsa_group_segment_fixed_size 32
		.amdhsa_private_segment_fixed_size 0
		.amdhsa_kernarg_size 72
		.amdhsa_user_sgpr_count 6
		.amdhsa_user_sgpr_private_segment_buffer 1
		.amdhsa_user_sgpr_dispatch_ptr 0
		.amdhsa_user_sgpr_queue_ptr 0
		.amdhsa_user_sgpr_kernarg_segment_ptr 1
		.amdhsa_user_sgpr_dispatch_id 0
		.amdhsa_user_sgpr_flat_scratch_init 0
		.amdhsa_user_sgpr_private_segment_size 0
		.amdhsa_uses_dynamic_stack 0
		.amdhsa_system_sgpr_private_segment_wavefront_offset 0
		.amdhsa_system_sgpr_workgroup_id_x 1
		.amdhsa_system_sgpr_workgroup_id_y 0
		.amdhsa_system_sgpr_workgroup_id_z 0
		.amdhsa_system_sgpr_workgroup_info 0
		.amdhsa_system_vgpr_workitem_id 0
		.amdhsa_next_free_vgpr 35
		.amdhsa_next_free_sgpr 18
		.amdhsa_reserve_vcc 1
		.amdhsa_reserve_flat_scratch 0
		.amdhsa_float_round_mode_32 0
		.amdhsa_float_round_mode_16_64 0
		.amdhsa_float_denorm_mode_32 3
		.amdhsa_float_denorm_mode_16_64 3
		.amdhsa_dx10_clamp 1
		.amdhsa_ieee_mode 1
		.amdhsa_fp16_overflow 0
		.amdhsa_exception_fp_ieee_invalid_op 0
		.amdhsa_exception_fp_denorm_src 0
		.amdhsa_exception_fp_ieee_div_zero 0
		.amdhsa_exception_fp_ieee_overflow 0
		.amdhsa_exception_fp_ieee_underflow 0
		.amdhsa_exception_fp_ieee_inexact 0
		.amdhsa_exception_int_div_zero 0
	.end_amdhsa_kernel
	.section	.text._ZN7rocprim17ROCPRIM_400000_NS6detail17trampoline_kernelINS0_14default_configENS1_22reduce_config_selectorIbEEZNS1_11reduce_implILb1ES3_N6hipcub16HIPCUB_304000_NS22TransformInputIteratorIb7NonZeroIaEPalEEPllNS8_6detail34convert_binary_result_type_wrapperINS8_3SumESD_lEEEE10hipError_tPvRmT1_T2_T3_mT4_P12ihipStream_tbEUlT_E0_NS1_11comp_targetILNS1_3genE2ELNS1_11target_archE906ELNS1_3gpuE6ELNS1_3repE0EEENS1_30default_config_static_selectorELNS0_4arch9wavefront6targetE1EEEvSM_,"axG",@progbits,_ZN7rocprim17ROCPRIM_400000_NS6detail17trampoline_kernelINS0_14default_configENS1_22reduce_config_selectorIbEEZNS1_11reduce_implILb1ES3_N6hipcub16HIPCUB_304000_NS22TransformInputIteratorIb7NonZeroIaEPalEEPllNS8_6detail34convert_binary_result_type_wrapperINS8_3SumESD_lEEEE10hipError_tPvRmT1_T2_T3_mT4_P12ihipStream_tbEUlT_E0_NS1_11comp_targetILNS1_3genE2ELNS1_11target_archE906ELNS1_3gpuE6ELNS1_3repE0EEENS1_30default_config_static_selectorELNS0_4arch9wavefront6targetE1EEEvSM_,comdat
.Lfunc_end22:
	.size	_ZN7rocprim17ROCPRIM_400000_NS6detail17trampoline_kernelINS0_14default_configENS1_22reduce_config_selectorIbEEZNS1_11reduce_implILb1ES3_N6hipcub16HIPCUB_304000_NS22TransformInputIteratorIb7NonZeroIaEPalEEPllNS8_6detail34convert_binary_result_type_wrapperINS8_3SumESD_lEEEE10hipError_tPvRmT1_T2_T3_mT4_P12ihipStream_tbEUlT_E0_NS1_11comp_targetILNS1_3genE2ELNS1_11target_archE906ELNS1_3gpuE6ELNS1_3repE0EEENS1_30default_config_static_selectorELNS0_4arch9wavefront6targetE1EEEvSM_, .Lfunc_end22-_ZN7rocprim17ROCPRIM_400000_NS6detail17trampoline_kernelINS0_14default_configENS1_22reduce_config_selectorIbEEZNS1_11reduce_implILb1ES3_N6hipcub16HIPCUB_304000_NS22TransformInputIteratorIb7NonZeroIaEPalEEPllNS8_6detail34convert_binary_result_type_wrapperINS8_3SumESD_lEEEE10hipError_tPvRmT1_T2_T3_mT4_P12ihipStream_tbEUlT_E0_NS1_11comp_targetILNS1_3genE2ELNS1_11target_archE906ELNS1_3gpuE6ELNS1_3repE0EEENS1_30default_config_static_selectorELNS0_4arch9wavefront6targetE1EEEvSM_
                                        ; -- End function
	.set _ZN7rocprim17ROCPRIM_400000_NS6detail17trampoline_kernelINS0_14default_configENS1_22reduce_config_selectorIbEEZNS1_11reduce_implILb1ES3_N6hipcub16HIPCUB_304000_NS22TransformInputIteratorIb7NonZeroIaEPalEEPllNS8_6detail34convert_binary_result_type_wrapperINS8_3SumESD_lEEEE10hipError_tPvRmT1_T2_T3_mT4_P12ihipStream_tbEUlT_E0_NS1_11comp_targetILNS1_3genE2ELNS1_11target_archE906ELNS1_3gpuE6ELNS1_3repE0EEENS1_30default_config_static_selectorELNS0_4arch9wavefront6targetE1EEEvSM_.num_vgpr, 35
	.set _ZN7rocprim17ROCPRIM_400000_NS6detail17trampoline_kernelINS0_14default_configENS1_22reduce_config_selectorIbEEZNS1_11reduce_implILb1ES3_N6hipcub16HIPCUB_304000_NS22TransformInputIteratorIb7NonZeroIaEPalEEPllNS8_6detail34convert_binary_result_type_wrapperINS8_3SumESD_lEEEE10hipError_tPvRmT1_T2_T3_mT4_P12ihipStream_tbEUlT_E0_NS1_11comp_targetILNS1_3genE2ELNS1_11target_archE906ELNS1_3gpuE6ELNS1_3repE0EEENS1_30default_config_static_selectorELNS0_4arch9wavefront6targetE1EEEvSM_.num_agpr, 0
	.set _ZN7rocprim17ROCPRIM_400000_NS6detail17trampoline_kernelINS0_14default_configENS1_22reduce_config_selectorIbEEZNS1_11reduce_implILb1ES3_N6hipcub16HIPCUB_304000_NS22TransformInputIteratorIb7NonZeroIaEPalEEPllNS8_6detail34convert_binary_result_type_wrapperINS8_3SumESD_lEEEE10hipError_tPvRmT1_T2_T3_mT4_P12ihipStream_tbEUlT_E0_NS1_11comp_targetILNS1_3genE2ELNS1_11target_archE906ELNS1_3gpuE6ELNS1_3repE0EEENS1_30default_config_static_selectorELNS0_4arch9wavefront6targetE1EEEvSM_.numbered_sgpr, 18
	.set _ZN7rocprim17ROCPRIM_400000_NS6detail17trampoline_kernelINS0_14default_configENS1_22reduce_config_selectorIbEEZNS1_11reduce_implILb1ES3_N6hipcub16HIPCUB_304000_NS22TransformInputIteratorIb7NonZeroIaEPalEEPllNS8_6detail34convert_binary_result_type_wrapperINS8_3SumESD_lEEEE10hipError_tPvRmT1_T2_T3_mT4_P12ihipStream_tbEUlT_E0_NS1_11comp_targetILNS1_3genE2ELNS1_11target_archE906ELNS1_3gpuE6ELNS1_3repE0EEENS1_30default_config_static_selectorELNS0_4arch9wavefront6targetE1EEEvSM_.num_named_barrier, 0
	.set _ZN7rocprim17ROCPRIM_400000_NS6detail17trampoline_kernelINS0_14default_configENS1_22reduce_config_selectorIbEEZNS1_11reduce_implILb1ES3_N6hipcub16HIPCUB_304000_NS22TransformInputIteratorIb7NonZeroIaEPalEEPllNS8_6detail34convert_binary_result_type_wrapperINS8_3SumESD_lEEEE10hipError_tPvRmT1_T2_T3_mT4_P12ihipStream_tbEUlT_E0_NS1_11comp_targetILNS1_3genE2ELNS1_11target_archE906ELNS1_3gpuE6ELNS1_3repE0EEENS1_30default_config_static_selectorELNS0_4arch9wavefront6targetE1EEEvSM_.private_seg_size, 0
	.set _ZN7rocprim17ROCPRIM_400000_NS6detail17trampoline_kernelINS0_14default_configENS1_22reduce_config_selectorIbEEZNS1_11reduce_implILb1ES3_N6hipcub16HIPCUB_304000_NS22TransformInputIteratorIb7NonZeroIaEPalEEPllNS8_6detail34convert_binary_result_type_wrapperINS8_3SumESD_lEEEE10hipError_tPvRmT1_T2_T3_mT4_P12ihipStream_tbEUlT_E0_NS1_11comp_targetILNS1_3genE2ELNS1_11target_archE906ELNS1_3gpuE6ELNS1_3repE0EEENS1_30default_config_static_selectorELNS0_4arch9wavefront6targetE1EEEvSM_.uses_vcc, 1
	.set _ZN7rocprim17ROCPRIM_400000_NS6detail17trampoline_kernelINS0_14default_configENS1_22reduce_config_selectorIbEEZNS1_11reduce_implILb1ES3_N6hipcub16HIPCUB_304000_NS22TransformInputIteratorIb7NonZeroIaEPalEEPllNS8_6detail34convert_binary_result_type_wrapperINS8_3SumESD_lEEEE10hipError_tPvRmT1_T2_T3_mT4_P12ihipStream_tbEUlT_E0_NS1_11comp_targetILNS1_3genE2ELNS1_11target_archE906ELNS1_3gpuE6ELNS1_3repE0EEENS1_30default_config_static_selectorELNS0_4arch9wavefront6targetE1EEEvSM_.uses_flat_scratch, 0
	.set _ZN7rocprim17ROCPRIM_400000_NS6detail17trampoline_kernelINS0_14default_configENS1_22reduce_config_selectorIbEEZNS1_11reduce_implILb1ES3_N6hipcub16HIPCUB_304000_NS22TransformInputIteratorIb7NonZeroIaEPalEEPllNS8_6detail34convert_binary_result_type_wrapperINS8_3SumESD_lEEEE10hipError_tPvRmT1_T2_T3_mT4_P12ihipStream_tbEUlT_E0_NS1_11comp_targetILNS1_3genE2ELNS1_11target_archE906ELNS1_3gpuE6ELNS1_3repE0EEENS1_30default_config_static_selectorELNS0_4arch9wavefront6targetE1EEEvSM_.has_dyn_sized_stack, 0
	.set _ZN7rocprim17ROCPRIM_400000_NS6detail17trampoline_kernelINS0_14default_configENS1_22reduce_config_selectorIbEEZNS1_11reduce_implILb1ES3_N6hipcub16HIPCUB_304000_NS22TransformInputIteratorIb7NonZeroIaEPalEEPllNS8_6detail34convert_binary_result_type_wrapperINS8_3SumESD_lEEEE10hipError_tPvRmT1_T2_T3_mT4_P12ihipStream_tbEUlT_E0_NS1_11comp_targetILNS1_3genE2ELNS1_11target_archE906ELNS1_3gpuE6ELNS1_3repE0EEENS1_30default_config_static_selectorELNS0_4arch9wavefront6targetE1EEEvSM_.has_recursion, 0
	.set _ZN7rocprim17ROCPRIM_400000_NS6detail17trampoline_kernelINS0_14default_configENS1_22reduce_config_selectorIbEEZNS1_11reduce_implILb1ES3_N6hipcub16HIPCUB_304000_NS22TransformInputIteratorIb7NonZeroIaEPalEEPllNS8_6detail34convert_binary_result_type_wrapperINS8_3SumESD_lEEEE10hipError_tPvRmT1_T2_T3_mT4_P12ihipStream_tbEUlT_E0_NS1_11comp_targetILNS1_3genE2ELNS1_11target_archE906ELNS1_3gpuE6ELNS1_3repE0EEENS1_30default_config_static_selectorELNS0_4arch9wavefront6targetE1EEEvSM_.has_indirect_call, 0
	.section	.AMDGPU.csdata,"",@progbits
; Kernel info:
; codeLenInByte = 2808
; TotalNumSgprs: 22
; NumVgprs: 35
; ScratchSize: 0
; MemoryBound: 0
; FloatMode: 240
; IeeeMode: 1
; LDSByteSize: 32 bytes/workgroup (compile time only)
; SGPRBlocks: 2
; VGPRBlocks: 8
; NumSGPRsForWavesPerEU: 22
; NumVGPRsForWavesPerEU: 35
; Occupancy: 7
; WaveLimiterHint : 1
; COMPUTE_PGM_RSRC2:SCRATCH_EN: 0
; COMPUTE_PGM_RSRC2:USER_SGPR: 6
; COMPUTE_PGM_RSRC2:TRAP_HANDLER: 0
; COMPUTE_PGM_RSRC2:TGID_X_EN: 1
; COMPUTE_PGM_RSRC2:TGID_Y_EN: 0
; COMPUTE_PGM_RSRC2:TGID_Z_EN: 0
; COMPUTE_PGM_RSRC2:TIDIG_COMP_CNT: 0
	.section	.text._ZN7rocprim17ROCPRIM_400000_NS6detail17trampoline_kernelINS0_14default_configENS1_22reduce_config_selectorIbEEZNS1_11reduce_implILb1ES3_N6hipcub16HIPCUB_304000_NS22TransformInputIteratorIb7NonZeroIaEPalEEPllNS8_6detail34convert_binary_result_type_wrapperINS8_3SumESD_lEEEE10hipError_tPvRmT1_T2_T3_mT4_P12ihipStream_tbEUlT_E0_NS1_11comp_targetILNS1_3genE10ELNS1_11target_archE1201ELNS1_3gpuE5ELNS1_3repE0EEENS1_30default_config_static_selectorELNS0_4arch9wavefront6targetE1EEEvSM_,"axG",@progbits,_ZN7rocprim17ROCPRIM_400000_NS6detail17trampoline_kernelINS0_14default_configENS1_22reduce_config_selectorIbEEZNS1_11reduce_implILb1ES3_N6hipcub16HIPCUB_304000_NS22TransformInputIteratorIb7NonZeroIaEPalEEPllNS8_6detail34convert_binary_result_type_wrapperINS8_3SumESD_lEEEE10hipError_tPvRmT1_T2_T3_mT4_P12ihipStream_tbEUlT_E0_NS1_11comp_targetILNS1_3genE10ELNS1_11target_archE1201ELNS1_3gpuE5ELNS1_3repE0EEENS1_30default_config_static_selectorELNS0_4arch9wavefront6targetE1EEEvSM_,comdat
	.protected	_ZN7rocprim17ROCPRIM_400000_NS6detail17trampoline_kernelINS0_14default_configENS1_22reduce_config_selectorIbEEZNS1_11reduce_implILb1ES3_N6hipcub16HIPCUB_304000_NS22TransformInputIteratorIb7NonZeroIaEPalEEPllNS8_6detail34convert_binary_result_type_wrapperINS8_3SumESD_lEEEE10hipError_tPvRmT1_T2_T3_mT4_P12ihipStream_tbEUlT_E0_NS1_11comp_targetILNS1_3genE10ELNS1_11target_archE1201ELNS1_3gpuE5ELNS1_3repE0EEENS1_30default_config_static_selectorELNS0_4arch9wavefront6targetE1EEEvSM_ ; -- Begin function _ZN7rocprim17ROCPRIM_400000_NS6detail17trampoline_kernelINS0_14default_configENS1_22reduce_config_selectorIbEEZNS1_11reduce_implILb1ES3_N6hipcub16HIPCUB_304000_NS22TransformInputIteratorIb7NonZeroIaEPalEEPllNS8_6detail34convert_binary_result_type_wrapperINS8_3SumESD_lEEEE10hipError_tPvRmT1_T2_T3_mT4_P12ihipStream_tbEUlT_E0_NS1_11comp_targetILNS1_3genE10ELNS1_11target_archE1201ELNS1_3gpuE5ELNS1_3repE0EEENS1_30default_config_static_selectorELNS0_4arch9wavefront6targetE1EEEvSM_
	.globl	_ZN7rocprim17ROCPRIM_400000_NS6detail17trampoline_kernelINS0_14default_configENS1_22reduce_config_selectorIbEEZNS1_11reduce_implILb1ES3_N6hipcub16HIPCUB_304000_NS22TransformInputIteratorIb7NonZeroIaEPalEEPllNS8_6detail34convert_binary_result_type_wrapperINS8_3SumESD_lEEEE10hipError_tPvRmT1_T2_T3_mT4_P12ihipStream_tbEUlT_E0_NS1_11comp_targetILNS1_3genE10ELNS1_11target_archE1201ELNS1_3gpuE5ELNS1_3repE0EEENS1_30default_config_static_selectorELNS0_4arch9wavefront6targetE1EEEvSM_
	.p2align	8
	.type	_ZN7rocprim17ROCPRIM_400000_NS6detail17trampoline_kernelINS0_14default_configENS1_22reduce_config_selectorIbEEZNS1_11reduce_implILb1ES3_N6hipcub16HIPCUB_304000_NS22TransformInputIteratorIb7NonZeroIaEPalEEPllNS8_6detail34convert_binary_result_type_wrapperINS8_3SumESD_lEEEE10hipError_tPvRmT1_T2_T3_mT4_P12ihipStream_tbEUlT_E0_NS1_11comp_targetILNS1_3genE10ELNS1_11target_archE1201ELNS1_3gpuE5ELNS1_3repE0EEENS1_30default_config_static_selectorELNS0_4arch9wavefront6targetE1EEEvSM_,@function
_ZN7rocprim17ROCPRIM_400000_NS6detail17trampoline_kernelINS0_14default_configENS1_22reduce_config_selectorIbEEZNS1_11reduce_implILb1ES3_N6hipcub16HIPCUB_304000_NS22TransformInputIteratorIb7NonZeroIaEPalEEPllNS8_6detail34convert_binary_result_type_wrapperINS8_3SumESD_lEEEE10hipError_tPvRmT1_T2_T3_mT4_P12ihipStream_tbEUlT_E0_NS1_11comp_targetILNS1_3genE10ELNS1_11target_archE1201ELNS1_3gpuE5ELNS1_3repE0EEENS1_30default_config_static_selectorELNS0_4arch9wavefront6targetE1EEEvSM_: ; @_ZN7rocprim17ROCPRIM_400000_NS6detail17trampoline_kernelINS0_14default_configENS1_22reduce_config_selectorIbEEZNS1_11reduce_implILb1ES3_N6hipcub16HIPCUB_304000_NS22TransformInputIteratorIb7NonZeroIaEPalEEPllNS8_6detail34convert_binary_result_type_wrapperINS8_3SumESD_lEEEE10hipError_tPvRmT1_T2_T3_mT4_P12ihipStream_tbEUlT_E0_NS1_11comp_targetILNS1_3genE10ELNS1_11target_archE1201ELNS1_3gpuE5ELNS1_3repE0EEENS1_30default_config_static_selectorELNS0_4arch9wavefront6targetE1EEEvSM_
; %bb.0:
	.section	.rodata,"a",@progbits
	.p2align	6, 0x0
	.amdhsa_kernel _ZN7rocprim17ROCPRIM_400000_NS6detail17trampoline_kernelINS0_14default_configENS1_22reduce_config_selectorIbEEZNS1_11reduce_implILb1ES3_N6hipcub16HIPCUB_304000_NS22TransformInputIteratorIb7NonZeroIaEPalEEPllNS8_6detail34convert_binary_result_type_wrapperINS8_3SumESD_lEEEE10hipError_tPvRmT1_T2_T3_mT4_P12ihipStream_tbEUlT_E0_NS1_11comp_targetILNS1_3genE10ELNS1_11target_archE1201ELNS1_3gpuE5ELNS1_3repE0EEENS1_30default_config_static_selectorELNS0_4arch9wavefront6targetE1EEEvSM_
		.amdhsa_group_segment_fixed_size 0
		.amdhsa_private_segment_fixed_size 0
		.amdhsa_kernarg_size 72
		.amdhsa_user_sgpr_count 6
		.amdhsa_user_sgpr_private_segment_buffer 1
		.amdhsa_user_sgpr_dispatch_ptr 0
		.amdhsa_user_sgpr_queue_ptr 0
		.amdhsa_user_sgpr_kernarg_segment_ptr 1
		.amdhsa_user_sgpr_dispatch_id 0
		.amdhsa_user_sgpr_flat_scratch_init 0
		.amdhsa_user_sgpr_private_segment_size 0
		.amdhsa_uses_dynamic_stack 0
		.amdhsa_system_sgpr_private_segment_wavefront_offset 0
		.amdhsa_system_sgpr_workgroup_id_x 1
		.amdhsa_system_sgpr_workgroup_id_y 0
		.amdhsa_system_sgpr_workgroup_id_z 0
		.amdhsa_system_sgpr_workgroup_info 0
		.amdhsa_system_vgpr_workitem_id 0
		.amdhsa_next_free_vgpr 1
		.amdhsa_next_free_sgpr 0
		.amdhsa_reserve_vcc 0
		.amdhsa_reserve_flat_scratch 0
		.amdhsa_float_round_mode_32 0
		.amdhsa_float_round_mode_16_64 0
		.amdhsa_float_denorm_mode_32 3
		.amdhsa_float_denorm_mode_16_64 3
		.amdhsa_dx10_clamp 1
		.amdhsa_ieee_mode 1
		.amdhsa_fp16_overflow 0
		.amdhsa_exception_fp_ieee_invalid_op 0
		.amdhsa_exception_fp_denorm_src 0
		.amdhsa_exception_fp_ieee_div_zero 0
		.amdhsa_exception_fp_ieee_overflow 0
		.amdhsa_exception_fp_ieee_underflow 0
		.amdhsa_exception_fp_ieee_inexact 0
		.amdhsa_exception_int_div_zero 0
	.end_amdhsa_kernel
	.section	.text._ZN7rocprim17ROCPRIM_400000_NS6detail17trampoline_kernelINS0_14default_configENS1_22reduce_config_selectorIbEEZNS1_11reduce_implILb1ES3_N6hipcub16HIPCUB_304000_NS22TransformInputIteratorIb7NonZeroIaEPalEEPllNS8_6detail34convert_binary_result_type_wrapperINS8_3SumESD_lEEEE10hipError_tPvRmT1_T2_T3_mT4_P12ihipStream_tbEUlT_E0_NS1_11comp_targetILNS1_3genE10ELNS1_11target_archE1201ELNS1_3gpuE5ELNS1_3repE0EEENS1_30default_config_static_selectorELNS0_4arch9wavefront6targetE1EEEvSM_,"axG",@progbits,_ZN7rocprim17ROCPRIM_400000_NS6detail17trampoline_kernelINS0_14default_configENS1_22reduce_config_selectorIbEEZNS1_11reduce_implILb1ES3_N6hipcub16HIPCUB_304000_NS22TransformInputIteratorIb7NonZeroIaEPalEEPllNS8_6detail34convert_binary_result_type_wrapperINS8_3SumESD_lEEEE10hipError_tPvRmT1_T2_T3_mT4_P12ihipStream_tbEUlT_E0_NS1_11comp_targetILNS1_3genE10ELNS1_11target_archE1201ELNS1_3gpuE5ELNS1_3repE0EEENS1_30default_config_static_selectorELNS0_4arch9wavefront6targetE1EEEvSM_,comdat
.Lfunc_end23:
	.size	_ZN7rocprim17ROCPRIM_400000_NS6detail17trampoline_kernelINS0_14default_configENS1_22reduce_config_selectorIbEEZNS1_11reduce_implILb1ES3_N6hipcub16HIPCUB_304000_NS22TransformInputIteratorIb7NonZeroIaEPalEEPllNS8_6detail34convert_binary_result_type_wrapperINS8_3SumESD_lEEEE10hipError_tPvRmT1_T2_T3_mT4_P12ihipStream_tbEUlT_E0_NS1_11comp_targetILNS1_3genE10ELNS1_11target_archE1201ELNS1_3gpuE5ELNS1_3repE0EEENS1_30default_config_static_selectorELNS0_4arch9wavefront6targetE1EEEvSM_, .Lfunc_end23-_ZN7rocprim17ROCPRIM_400000_NS6detail17trampoline_kernelINS0_14default_configENS1_22reduce_config_selectorIbEEZNS1_11reduce_implILb1ES3_N6hipcub16HIPCUB_304000_NS22TransformInputIteratorIb7NonZeroIaEPalEEPllNS8_6detail34convert_binary_result_type_wrapperINS8_3SumESD_lEEEE10hipError_tPvRmT1_T2_T3_mT4_P12ihipStream_tbEUlT_E0_NS1_11comp_targetILNS1_3genE10ELNS1_11target_archE1201ELNS1_3gpuE5ELNS1_3repE0EEENS1_30default_config_static_selectorELNS0_4arch9wavefront6targetE1EEEvSM_
                                        ; -- End function
	.set _ZN7rocprim17ROCPRIM_400000_NS6detail17trampoline_kernelINS0_14default_configENS1_22reduce_config_selectorIbEEZNS1_11reduce_implILb1ES3_N6hipcub16HIPCUB_304000_NS22TransformInputIteratorIb7NonZeroIaEPalEEPllNS8_6detail34convert_binary_result_type_wrapperINS8_3SumESD_lEEEE10hipError_tPvRmT1_T2_T3_mT4_P12ihipStream_tbEUlT_E0_NS1_11comp_targetILNS1_3genE10ELNS1_11target_archE1201ELNS1_3gpuE5ELNS1_3repE0EEENS1_30default_config_static_selectorELNS0_4arch9wavefront6targetE1EEEvSM_.num_vgpr, 0
	.set _ZN7rocprim17ROCPRIM_400000_NS6detail17trampoline_kernelINS0_14default_configENS1_22reduce_config_selectorIbEEZNS1_11reduce_implILb1ES3_N6hipcub16HIPCUB_304000_NS22TransformInputIteratorIb7NonZeroIaEPalEEPllNS8_6detail34convert_binary_result_type_wrapperINS8_3SumESD_lEEEE10hipError_tPvRmT1_T2_T3_mT4_P12ihipStream_tbEUlT_E0_NS1_11comp_targetILNS1_3genE10ELNS1_11target_archE1201ELNS1_3gpuE5ELNS1_3repE0EEENS1_30default_config_static_selectorELNS0_4arch9wavefront6targetE1EEEvSM_.num_agpr, 0
	.set _ZN7rocprim17ROCPRIM_400000_NS6detail17trampoline_kernelINS0_14default_configENS1_22reduce_config_selectorIbEEZNS1_11reduce_implILb1ES3_N6hipcub16HIPCUB_304000_NS22TransformInputIteratorIb7NonZeroIaEPalEEPllNS8_6detail34convert_binary_result_type_wrapperINS8_3SumESD_lEEEE10hipError_tPvRmT1_T2_T3_mT4_P12ihipStream_tbEUlT_E0_NS1_11comp_targetILNS1_3genE10ELNS1_11target_archE1201ELNS1_3gpuE5ELNS1_3repE0EEENS1_30default_config_static_selectorELNS0_4arch9wavefront6targetE1EEEvSM_.numbered_sgpr, 0
	.set _ZN7rocprim17ROCPRIM_400000_NS6detail17trampoline_kernelINS0_14default_configENS1_22reduce_config_selectorIbEEZNS1_11reduce_implILb1ES3_N6hipcub16HIPCUB_304000_NS22TransformInputIteratorIb7NonZeroIaEPalEEPllNS8_6detail34convert_binary_result_type_wrapperINS8_3SumESD_lEEEE10hipError_tPvRmT1_T2_T3_mT4_P12ihipStream_tbEUlT_E0_NS1_11comp_targetILNS1_3genE10ELNS1_11target_archE1201ELNS1_3gpuE5ELNS1_3repE0EEENS1_30default_config_static_selectorELNS0_4arch9wavefront6targetE1EEEvSM_.num_named_barrier, 0
	.set _ZN7rocprim17ROCPRIM_400000_NS6detail17trampoline_kernelINS0_14default_configENS1_22reduce_config_selectorIbEEZNS1_11reduce_implILb1ES3_N6hipcub16HIPCUB_304000_NS22TransformInputIteratorIb7NonZeroIaEPalEEPllNS8_6detail34convert_binary_result_type_wrapperINS8_3SumESD_lEEEE10hipError_tPvRmT1_T2_T3_mT4_P12ihipStream_tbEUlT_E0_NS1_11comp_targetILNS1_3genE10ELNS1_11target_archE1201ELNS1_3gpuE5ELNS1_3repE0EEENS1_30default_config_static_selectorELNS0_4arch9wavefront6targetE1EEEvSM_.private_seg_size, 0
	.set _ZN7rocprim17ROCPRIM_400000_NS6detail17trampoline_kernelINS0_14default_configENS1_22reduce_config_selectorIbEEZNS1_11reduce_implILb1ES3_N6hipcub16HIPCUB_304000_NS22TransformInputIteratorIb7NonZeroIaEPalEEPllNS8_6detail34convert_binary_result_type_wrapperINS8_3SumESD_lEEEE10hipError_tPvRmT1_T2_T3_mT4_P12ihipStream_tbEUlT_E0_NS1_11comp_targetILNS1_3genE10ELNS1_11target_archE1201ELNS1_3gpuE5ELNS1_3repE0EEENS1_30default_config_static_selectorELNS0_4arch9wavefront6targetE1EEEvSM_.uses_vcc, 0
	.set _ZN7rocprim17ROCPRIM_400000_NS6detail17trampoline_kernelINS0_14default_configENS1_22reduce_config_selectorIbEEZNS1_11reduce_implILb1ES3_N6hipcub16HIPCUB_304000_NS22TransformInputIteratorIb7NonZeroIaEPalEEPllNS8_6detail34convert_binary_result_type_wrapperINS8_3SumESD_lEEEE10hipError_tPvRmT1_T2_T3_mT4_P12ihipStream_tbEUlT_E0_NS1_11comp_targetILNS1_3genE10ELNS1_11target_archE1201ELNS1_3gpuE5ELNS1_3repE0EEENS1_30default_config_static_selectorELNS0_4arch9wavefront6targetE1EEEvSM_.uses_flat_scratch, 0
	.set _ZN7rocprim17ROCPRIM_400000_NS6detail17trampoline_kernelINS0_14default_configENS1_22reduce_config_selectorIbEEZNS1_11reduce_implILb1ES3_N6hipcub16HIPCUB_304000_NS22TransformInputIteratorIb7NonZeroIaEPalEEPllNS8_6detail34convert_binary_result_type_wrapperINS8_3SumESD_lEEEE10hipError_tPvRmT1_T2_T3_mT4_P12ihipStream_tbEUlT_E0_NS1_11comp_targetILNS1_3genE10ELNS1_11target_archE1201ELNS1_3gpuE5ELNS1_3repE0EEENS1_30default_config_static_selectorELNS0_4arch9wavefront6targetE1EEEvSM_.has_dyn_sized_stack, 0
	.set _ZN7rocprim17ROCPRIM_400000_NS6detail17trampoline_kernelINS0_14default_configENS1_22reduce_config_selectorIbEEZNS1_11reduce_implILb1ES3_N6hipcub16HIPCUB_304000_NS22TransformInputIteratorIb7NonZeroIaEPalEEPllNS8_6detail34convert_binary_result_type_wrapperINS8_3SumESD_lEEEE10hipError_tPvRmT1_T2_T3_mT4_P12ihipStream_tbEUlT_E0_NS1_11comp_targetILNS1_3genE10ELNS1_11target_archE1201ELNS1_3gpuE5ELNS1_3repE0EEENS1_30default_config_static_selectorELNS0_4arch9wavefront6targetE1EEEvSM_.has_recursion, 0
	.set _ZN7rocprim17ROCPRIM_400000_NS6detail17trampoline_kernelINS0_14default_configENS1_22reduce_config_selectorIbEEZNS1_11reduce_implILb1ES3_N6hipcub16HIPCUB_304000_NS22TransformInputIteratorIb7NonZeroIaEPalEEPllNS8_6detail34convert_binary_result_type_wrapperINS8_3SumESD_lEEEE10hipError_tPvRmT1_T2_T3_mT4_P12ihipStream_tbEUlT_E0_NS1_11comp_targetILNS1_3genE10ELNS1_11target_archE1201ELNS1_3gpuE5ELNS1_3repE0EEENS1_30default_config_static_selectorELNS0_4arch9wavefront6targetE1EEEvSM_.has_indirect_call, 0
	.section	.AMDGPU.csdata,"",@progbits
; Kernel info:
; codeLenInByte = 0
; TotalNumSgprs: 4
; NumVgprs: 0
; ScratchSize: 0
; MemoryBound: 0
; FloatMode: 240
; IeeeMode: 1
; LDSByteSize: 0 bytes/workgroup (compile time only)
; SGPRBlocks: 0
; VGPRBlocks: 0
; NumSGPRsForWavesPerEU: 4
; NumVGPRsForWavesPerEU: 1
; Occupancy: 10
; WaveLimiterHint : 0
; COMPUTE_PGM_RSRC2:SCRATCH_EN: 0
; COMPUTE_PGM_RSRC2:USER_SGPR: 6
; COMPUTE_PGM_RSRC2:TRAP_HANDLER: 0
; COMPUTE_PGM_RSRC2:TGID_X_EN: 1
; COMPUTE_PGM_RSRC2:TGID_Y_EN: 0
; COMPUTE_PGM_RSRC2:TGID_Z_EN: 0
; COMPUTE_PGM_RSRC2:TIDIG_COMP_CNT: 0
	.section	.text._ZN7rocprim17ROCPRIM_400000_NS6detail17trampoline_kernelINS0_14default_configENS1_22reduce_config_selectorIbEEZNS1_11reduce_implILb1ES3_N6hipcub16HIPCUB_304000_NS22TransformInputIteratorIb7NonZeroIaEPalEEPllNS8_6detail34convert_binary_result_type_wrapperINS8_3SumESD_lEEEE10hipError_tPvRmT1_T2_T3_mT4_P12ihipStream_tbEUlT_E0_NS1_11comp_targetILNS1_3genE10ELNS1_11target_archE1200ELNS1_3gpuE4ELNS1_3repE0EEENS1_30default_config_static_selectorELNS0_4arch9wavefront6targetE1EEEvSM_,"axG",@progbits,_ZN7rocprim17ROCPRIM_400000_NS6detail17trampoline_kernelINS0_14default_configENS1_22reduce_config_selectorIbEEZNS1_11reduce_implILb1ES3_N6hipcub16HIPCUB_304000_NS22TransformInputIteratorIb7NonZeroIaEPalEEPllNS8_6detail34convert_binary_result_type_wrapperINS8_3SumESD_lEEEE10hipError_tPvRmT1_T2_T3_mT4_P12ihipStream_tbEUlT_E0_NS1_11comp_targetILNS1_3genE10ELNS1_11target_archE1200ELNS1_3gpuE4ELNS1_3repE0EEENS1_30default_config_static_selectorELNS0_4arch9wavefront6targetE1EEEvSM_,comdat
	.protected	_ZN7rocprim17ROCPRIM_400000_NS6detail17trampoline_kernelINS0_14default_configENS1_22reduce_config_selectorIbEEZNS1_11reduce_implILb1ES3_N6hipcub16HIPCUB_304000_NS22TransformInputIteratorIb7NonZeroIaEPalEEPllNS8_6detail34convert_binary_result_type_wrapperINS8_3SumESD_lEEEE10hipError_tPvRmT1_T2_T3_mT4_P12ihipStream_tbEUlT_E0_NS1_11comp_targetILNS1_3genE10ELNS1_11target_archE1200ELNS1_3gpuE4ELNS1_3repE0EEENS1_30default_config_static_selectorELNS0_4arch9wavefront6targetE1EEEvSM_ ; -- Begin function _ZN7rocprim17ROCPRIM_400000_NS6detail17trampoline_kernelINS0_14default_configENS1_22reduce_config_selectorIbEEZNS1_11reduce_implILb1ES3_N6hipcub16HIPCUB_304000_NS22TransformInputIteratorIb7NonZeroIaEPalEEPllNS8_6detail34convert_binary_result_type_wrapperINS8_3SumESD_lEEEE10hipError_tPvRmT1_T2_T3_mT4_P12ihipStream_tbEUlT_E0_NS1_11comp_targetILNS1_3genE10ELNS1_11target_archE1200ELNS1_3gpuE4ELNS1_3repE0EEENS1_30default_config_static_selectorELNS0_4arch9wavefront6targetE1EEEvSM_
	.globl	_ZN7rocprim17ROCPRIM_400000_NS6detail17trampoline_kernelINS0_14default_configENS1_22reduce_config_selectorIbEEZNS1_11reduce_implILb1ES3_N6hipcub16HIPCUB_304000_NS22TransformInputIteratorIb7NonZeroIaEPalEEPllNS8_6detail34convert_binary_result_type_wrapperINS8_3SumESD_lEEEE10hipError_tPvRmT1_T2_T3_mT4_P12ihipStream_tbEUlT_E0_NS1_11comp_targetILNS1_3genE10ELNS1_11target_archE1200ELNS1_3gpuE4ELNS1_3repE0EEENS1_30default_config_static_selectorELNS0_4arch9wavefront6targetE1EEEvSM_
	.p2align	8
	.type	_ZN7rocprim17ROCPRIM_400000_NS6detail17trampoline_kernelINS0_14default_configENS1_22reduce_config_selectorIbEEZNS1_11reduce_implILb1ES3_N6hipcub16HIPCUB_304000_NS22TransformInputIteratorIb7NonZeroIaEPalEEPllNS8_6detail34convert_binary_result_type_wrapperINS8_3SumESD_lEEEE10hipError_tPvRmT1_T2_T3_mT4_P12ihipStream_tbEUlT_E0_NS1_11comp_targetILNS1_3genE10ELNS1_11target_archE1200ELNS1_3gpuE4ELNS1_3repE0EEENS1_30default_config_static_selectorELNS0_4arch9wavefront6targetE1EEEvSM_,@function
_ZN7rocprim17ROCPRIM_400000_NS6detail17trampoline_kernelINS0_14default_configENS1_22reduce_config_selectorIbEEZNS1_11reduce_implILb1ES3_N6hipcub16HIPCUB_304000_NS22TransformInputIteratorIb7NonZeroIaEPalEEPllNS8_6detail34convert_binary_result_type_wrapperINS8_3SumESD_lEEEE10hipError_tPvRmT1_T2_T3_mT4_P12ihipStream_tbEUlT_E0_NS1_11comp_targetILNS1_3genE10ELNS1_11target_archE1200ELNS1_3gpuE4ELNS1_3repE0EEENS1_30default_config_static_selectorELNS0_4arch9wavefront6targetE1EEEvSM_: ; @_ZN7rocprim17ROCPRIM_400000_NS6detail17trampoline_kernelINS0_14default_configENS1_22reduce_config_selectorIbEEZNS1_11reduce_implILb1ES3_N6hipcub16HIPCUB_304000_NS22TransformInputIteratorIb7NonZeroIaEPalEEPllNS8_6detail34convert_binary_result_type_wrapperINS8_3SumESD_lEEEE10hipError_tPvRmT1_T2_T3_mT4_P12ihipStream_tbEUlT_E0_NS1_11comp_targetILNS1_3genE10ELNS1_11target_archE1200ELNS1_3gpuE4ELNS1_3repE0EEENS1_30default_config_static_selectorELNS0_4arch9wavefront6targetE1EEEvSM_
; %bb.0:
	.section	.rodata,"a",@progbits
	.p2align	6, 0x0
	.amdhsa_kernel _ZN7rocprim17ROCPRIM_400000_NS6detail17trampoline_kernelINS0_14default_configENS1_22reduce_config_selectorIbEEZNS1_11reduce_implILb1ES3_N6hipcub16HIPCUB_304000_NS22TransformInputIteratorIb7NonZeroIaEPalEEPllNS8_6detail34convert_binary_result_type_wrapperINS8_3SumESD_lEEEE10hipError_tPvRmT1_T2_T3_mT4_P12ihipStream_tbEUlT_E0_NS1_11comp_targetILNS1_3genE10ELNS1_11target_archE1200ELNS1_3gpuE4ELNS1_3repE0EEENS1_30default_config_static_selectorELNS0_4arch9wavefront6targetE1EEEvSM_
		.amdhsa_group_segment_fixed_size 0
		.amdhsa_private_segment_fixed_size 0
		.amdhsa_kernarg_size 72
		.amdhsa_user_sgpr_count 6
		.amdhsa_user_sgpr_private_segment_buffer 1
		.amdhsa_user_sgpr_dispatch_ptr 0
		.amdhsa_user_sgpr_queue_ptr 0
		.amdhsa_user_sgpr_kernarg_segment_ptr 1
		.amdhsa_user_sgpr_dispatch_id 0
		.amdhsa_user_sgpr_flat_scratch_init 0
		.amdhsa_user_sgpr_private_segment_size 0
		.amdhsa_uses_dynamic_stack 0
		.amdhsa_system_sgpr_private_segment_wavefront_offset 0
		.amdhsa_system_sgpr_workgroup_id_x 1
		.amdhsa_system_sgpr_workgroup_id_y 0
		.amdhsa_system_sgpr_workgroup_id_z 0
		.amdhsa_system_sgpr_workgroup_info 0
		.amdhsa_system_vgpr_workitem_id 0
		.amdhsa_next_free_vgpr 1
		.amdhsa_next_free_sgpr 0
		.amdhsa_reserve_vcc 0
		.amdhsa_reserve_flat_scratch 0
		.amdhsa_float_round_mode_32 0
		.amdhsa_float_round_mode_16_64 0
		.amdhsa_float_denorm_mode_32 3
		.amdhsa_float_denorm_mode_16_64 3
		.amdhsa_dx10_clamp 1
		.amdhsa_ieee_mode 1
		.amdhsa_fp16_overflow 0
		.amdhsa_exception_fp_ieee_invalid_op 0
		.amdhsa_exception_fp_denorm_src 0
		.amdhsa_exception_fp_ieee_div_zero 0
		.amdhsa_exception_fp_ieee_overflow 0
		.amdhsa_exception_fp_ieee_underflow 0
		.amdhsa_exception_fp_ieee_inexact 0
		.amdhsa_exception_int_div_zero 0
	.end_amdhsa_kernel
	.section	.text._ZN7rocprim17ROCPRIM_400000_NS6detail17trampoline_kernelINS0_14default_configENS1_22reduce_config_selectorIbEEZNS1_11reduce_implILb1ES3_N6hipcub16HIPCUB_304000_NS22TransformInputIteratorIb7NonZeroIaEPalEEPllNS8_6detail34convert_binary_result_type_wrapperINS8_3SumESD_lEEEE10hipError_tPvRmT1_T2_T3_mT4_P12ihipStream_tbEUlT_E0_NS1_11comp_targetILNS1_3genE10ELNS1_11target_archE1200ELNS1_3gpuE4ELNS1_3repE0EEENS1_30default_config_static_selectorELNS0_4arch9wavefront6targetE1EEEvSM_,"axG",@progbits,_ZN7rocprim17ROCPRIM_400000_NS6detail17trampoline_kernelINS0_14default_configENS1_22reduce_config_selectorIbEEZNS1_11reduce_implILb1ES3_N6hipcub16HIPCUB_304000_NS22TransformInputIteratorIb7NonZeroIaEPalEEPllNS8_6detail34convert_binary_result_type_wrapperINS8_3SumESD_lEEEE10hipError_tPvRmT1_T2_T3_mT4_P12ihipStream_tbEUlT_E0_NS1_11comp_targetILNS1_3genE10ELNS1_11target_archE1200ELNS1_3gpuE4ELNS1_3repE0EEENS1_30default_config_static_selectorELNS0_4arch9wavefront6targetE1EEEvSM_,comdat
.Lfunc_end24:
	.size	_ZN7rocprim17ROCPRIM_400000_NS6detail17trampoline_kernelINS0_14default_configENS1_22reduce_config_selectorIbEEZNS1_11reduce_implILb1ES3_N6hipcub16HIPCUB_304000_NS22TransformInputIteratorIb7NonZeroIaEPalEEPllNS8_6detail34convert_binary_result_type_wrapperINS8_3SumESD_lEEEE10hipError_tPvRmT1_T2_T3_mT4_P12ihipStream_tbEUlT_E0_NS1_11comp_targetILNS1_3genE10ELNS1_11target_archE1200ELNS1_3gpuE4ELNS1_3repE0EEENS1_30default_config_static_selectorELNS0_4arch9wavefront6targetE1EEEvSM_, .Lfunc_end24-_ZN7rocprim17ROCPRIM_400000_NS6detail17trampoline_kernelINS0_14default_configENS1_22reduce_config_selectorIbEEZNS1_11reduce_implILb1ES3_N6hipcub16HIPCUB_304000_NS22TransformInputIteratorIb7NonZeroIaEPalEEPllNS8_6detail34convert_binary_result_type_wrapperINS8_3SumESD_lEEEE10hipError_tPvRmT1_T2_T3_mT4_P12ihipStream_tbEUlT_E0_NS1_11comp_targetILNS1_3genE10ELNS1_11target_archE1200ELNS1_3gpuE4ELNS1_3repE0EEENS1_30default_config_static_selectorELNS0_4arch9wavefront6targetE1EEEvSM_
                                        ; -- End function
	.set _ZN7rocprim17ROCPRIM_400000_NS6detail17trampoline_kernelINS0_14default_configENS1_22reduce_config_selectorIbEEZNS1_11reduce_implILb1ES3_N6hipcub16HIPCUB_304000_NS22TransformInputIteratorIb7NonZeroIaEPalEEPllNS8_6detail34convert_binary_result_type_wrapperINS8_3SumESD_lEEEE10hipError_tPvRmT1_T2_T3_mT4_P12ihipStream_tbEUlT_E0_NS1_11comp_targetILNS1_3genE10ELNS1_11target_archE1200ELNS1_3gpuE4ELNS1_3repE0EEENS1_30default_config_static_selectorELNS0_4arch9wavefront6targetE1EEEvSM_.num_vgpr, 0
	.set _ZN7rocprim17ROCPRIM_400000_NS6detail17trampoline_kernelINS0_14default_configENS1_22reduce_config_selectorIbEEZNS1_11reduce_implILb1ES3_N6hipcub16HIPCUB_304000_NS22TransformInputIteratorIb7NonZeroIaEPalEEPllNS8_6detail34convert_binary_result_type_wrapperINS8_3SumESD_lEEEE10hipError_tPvRmT1_T2_T3_mT4_P12ihipStream_tbEUlT_E0_NS1_11comp_targetILNS1_3genE10ELNS1_11target_archE1200ELNS1_3gpuE4ELNS1_3repE0EEENS1_30default_config_static_selectorELNS0_4arch9wavefront6targetE1EEEvSM_.num_agpr, 0
	.set _ZN7rocprim17ROCPRIM_400000_NS6detail17trampoline_kernelINS0_14default_configENS1_22reduce_config_selectorIbEEZNS1_11reduce_implILb1ES3_N6hipcub16HIPCUB_304000_NS22TransformInputIteratorIb7NonZeroIaEPalEEPllNS8_6detail34convert_binary_result_type_wrapperINS8_3SumESD_lEEEE10hipError_tPvRmT1_T2_T3_mT4_P12ihipStream_tbEUlT_E0_NS1_11comp_targetILNS1_3genE10ELNS1_11target_archE1200ELNS1_3gpuE4ELNS1_3repE0EEENS1_30default_config_static_selectorELNS0_4arch9wavefront6targetE1EEEvSM_.numbered_sgpr, 0
	.set _ZN7rocprim17ROCPRIM_400000_NS6detail17trampoline_kernelINS0_14default_configENS1_22reduce_config_selectorIbEEZNS1_11reduce_implILb1ES3_N6hipcub16HIPCUB_304000_NS22TransformInputIteratorIb7NonZeroIaEPalEEPllNS8_6detail34convert_binary_result_type_wrapperINS8_3SumESD_lEEEE10hipError_tPvRmT1_T2_T3_mT4_P12ihipStream_tbEUlT_E0_NS1_11comp_targetILNS1_3genE10ELNS1_11target_archE1200ELNS1_3gpuE4ELNS1_3repE0EEENS1_30default_config_static_selectorELNS0_4arch9wavefront6targetE1EEEvSM_.num_named_barrier, 0
	.set _ZN7rocprim17ROCPRIM_400000_NS6detail17trampoline_kernelINS0_14default_configENS1_22reduce_config_selectorIbEEZNS1_11reduce_implILb1ES3_N6hipcub16HIPCUB_304000_NS22TransformInputIteratorIb7NonZeroIaEPalEEPllNS8_6detail34convert_binary_result_type_wrapperINS8_3SumESD_lEEEE10hipError_tPvRmT1_T2_T3_mT4_P12ihipStream_tbEUlT_E0_NS1_11comp_targetILNS1_3genE10ELNS1_11target_archE1200ELNS1_3gpuE4ELNS1_3repE0EEENS1_30default_config_static_selectorELNS0_4arch9wavefront6targetE1EEEvSM_.private_seg_size, 0
	.set _ZN7rocprim17ROCPRIM_400000_NS6detail17trampoline_kernelINS0_14default_configENS1_22reduce_config_selectorIbEEZNS1_11reduce_implILb1ES3_N6hipcub16HIPCUB_304000_NS22TransformInputIteratorIb7NonZeroIaEPalEEPllNS8_6detail34convert_binary_result_type_wrapperINS8_3SumESD_lEEEE10hipError_tPvRmT1_T2_T3_mT4_P12ihipStream_tbEUlT_E0_NS1_11comp_targetILNS1_3genE10ELNS1_11target_archE1200ELNS1_3gpuE4ELNS1_3repE0EEENS1_30default_config_static_selectorELNS0_4arch9wavefront6targetE1EEEvSM_.uses_vcc, 0
	.set _ZN7rocprim17ROCPRIM_400000_NS6detail17trampoline_kernelINS0_14default_configENS1_22reduce_config_selectorIbEEZNS1_11reduce_implILb1ES3_N6hipcub16HIPCUB_304000_NS22TransformInputIteratorIb7NonZeroIaEPalEEPllNS8_6detail34convert_binary_result_type_wrapperINS8_3SumESD_lEEEE10hipError_tPvRmT1_T2_T3_mT4_P12ihipStream_tbEUlT_E0_NS1_11comp_targetILNS1_3genE10ELNS1_11target_archE1200ELNS1_3gpuE4ELNS1_3repE0EEENS1_30default_config_static_selectorELNS0_4arch9wavefront6targetE1EEEvSM_.uses_flat_scratch, 0
	.set _ZN7rocprim17ROCPRIM_400000_NS6detail17trampoline_kernelINS0_14default_configENS1_22reduce_config_selectorIbEEZNS1_11reduce_implILb1ES3_N6hipcub16HIPCUB_304000_NS22TransformInputIteratorIb7NonZeroIaEPalEEPllNS8_6detail34convert_binary_result_type_wrapperINS8_3SumESD_lEEEE10hipError_tPvRmT1_T2_T3_mT4_P12ihipStream_tbEUlT_E0_NS1_11comp_targetILNS1_3genE10ELNS1_11target_archE1200ELNS1_3gpuE4ELNS1_3repE0EEENS1_30default_config_static_selectorELNS0_4arch9wavefront6targetE1EEEvSM_.has_dyn_sized_stack, 0
	.set _ZN7rocprim17ROCPRIM_400000_NS6detail17trampoline_kernelINS0_14default_configENS1_22reduce_config_selectorIbEEZNS1_11reduce_implILb1ES3_N6hipcub16HIPCUB_304000_NS22TransformInputIteratorIb7NonZeroIaEPalEEPllNS8_6detail34convert_binary_result_type_wrapperINS8_3SumESD_lEEEE10hipError_tPvRmT1_T2_T3_mT4_P12ihipStream_tbEUlT_E0_NS1_11comp_targetILNS1_3genE10ELNS1_11target_archE1200ELNS1_3gpuE4ELNS1_3repE0EEENS1_30default_config_static_selectorELNS0_4arch9wavefront6targetE1EEEvSM_.has_recursion, 0
	.set _ZN7rocprim17ROCPRIM_400000_NS6detail17trampoline_kernelINS0_14default_configENS1_22reduce_config_selectorIbEEZNS1_11reduce_implILb1ES3_N6hipcub16HIPCUB_304000_NS22TransformInputIteratorIb7NonZeroIaEPalEEPllNS8_6detail34convert_binary_result_type_wrapperINS8_3SumESD_lEEEE10hipError_tPvRmT1_T2_T3_mT4_P12ihipStream_tbEUlT_E0_NS1_11comp_targetILNS1_3genE10ELNS1_11target_archE1200ELNS1_3gpuE4ELNS1_3repE0EEENS1_30default_config_static_selectorELNS0_4arch9wavefront6targetE1EEEvSM_.has_indirect_call, 0
	.section	.AMDGPU.csdata,"",@progbits
; Kernel info:
; codeLenInByte = 0
; TotalNumSgprs: 4
; NumVgprs: 0
; ScratchSize: 0
; MemoryBound: 0
; FloatMode: 240
; IeeeMode: 1
; LDSByteSize: 0 bytes/workgroup (compile time only)
; SGPRBlocks: 0
; VGPRBlocks: 0
; NumSGPRsForWavesPerEU: 4
; NumVGPRsForWavesPerEU: 1
; Occupancy: 10
; WaveLimiterHint : 0
; COMPUTE_PGM_RSRC2:SCRATCH_EN: 0
; COMPUTE_PGM_RSRC2:USER_SGPR: 6
; COMPUTE_PGM_RSRC2:TRAP_HANDLER: 0
; COMPUTE_PGM_RSRC2:TGID_X_EN: 1
; COMPUTE_PGM_RSRC2:TGID_Y_EN: 0
; COMPUTE_PGM_RSRC2:TGID_Z_EN: 0
; COMPUTE_PGM_RSRC2:TIDIG_COMP_CNT: 0
	.section	.text._ZN7rocprim17ROCPRIM_400000_NS6detail17trampoline_kernelINS0_14default_configENS1_22reduce_config_selectorIbEEZNS1_11reduce_implILb1ES3_N6hipcub16HIPCUB_304000_NS22TransformInputIteratorIb7NonZeroIaEPalEEPllNS8_6detail34convert_binary_result_type_wrapperINS8_3SumESD_lEEEE10hipError_tPvRmT1_T2_T3_mT4_P12ihipStream_tbEUlT_E0_NS1_11comp_targetILNS1_3genE9ELNS1_11target_archE1100ELNS1_3gpuE3ELNS1_3repE0EEENS1_30default_config_static_selectorELNS0_4arch9wavefront6targetE1EEEvSM_,"axG",@progbits,_ZN7rocprim17ROCPRIM_400000_NS6detail17trampoline_kernelINS0_14default_configENS1_22reduce_config_selectorIbEEZNS1_11reduce_implILb1ES3_N6hipcub16HIPCUB_304000_NS22TransformInputIteratorIb7NonZeroIaEPalEEPllNS8_6detail34convert_binary_result_type_wrapperINS8_3SumESD_lEEEE10hipError_tPvRmT1_T2_T3_mT4_P12ihipStream_tbEUlT_E0_NS1_11comp_targetILNS1_3genE9ELNS1_11target_archE1100ELNS1_3gpuE3ELNS1_3repE0EEENS1_30default_config_static_selectorELNS0_4arch9wavefront6targetE1EEEvSM_,comdat
	.protected	_ZN7rocprim17ROCPRIM_400000_NS6detail17trampoline_kernelINS0_14default_configENS1_22reduce_config_selectorIbEEZNS1_11reduce_implILb1ES3_N6hipcub16HIPCUB_304000_NS22TransformInputIteratorIb7NonZeroIaEPalEEPllNS8_6detail34convert_binary_result_type_wrapperINS8_3SumESD_lEEEE10hipError_tPvRmT1_T2_T3_mT4_P12ihipStream_tbEUlT_E0_NS1_11comp_targetILNS1_3genE9ELNS1_11target_archE1100ELNS1_3gpuE3ELNS1_3repE0EEENS1_30default_config_static_selectorELNS0_4arch9wavefront6targetE1EEEvSM_ ; -- Begin function _ZN7rocprim17ROCPRIM_400000_NS6detail17trampoline_kernelINS0_14default_configENS1_22reduce_config_selectorIbEEZNS1_11reduce_implILb1ES3_N6hipcub16HIPCUB_304000_NS22TransformInputIteratorIb7NonZeroIaEPalEEPllNS8_6detail34convert_binary_result_type_wrapperINS8_3SumESD_lEEEE10hipError_tPvRmT1_T2_T3_mT4_P12ihipStream_tbEUlT_E0_NS1_11comp_targetILNS1_3genE9ELNS1_11target_archE1100ELNS1_3gpuE3ELNS1_3repE0EEENS1_30default_config_static_selectorELNS0_4arch9wavefront6targetE1EEEvSM_
	.globl	_ZN7rocprim17ROCPRIM_400000_NS6detail17trampoline_kernelINS0_14default_configENS1_22reduce_config_selectorIbEEZNS1_11reduce_implILb1ES3_N6hipcub16HIPCUB_304000_NS22TransformInputIteratorIb7NonZeroIaEPalEEPllNS8_6detail34convert_binary_result_type_wrapperINS8_3SumESD_lEEEE10hipError_tPvRmT1_T2_T3_mT4_P12ihipStream_tbEUlT_E0_NS1_11comp_targetILNS1_3genE9ELNS1_11target_archE1100ELNS1_3gpuE3ELNS1_3repE0EEENS1_30default_config_static_selectorELNS0_4arch9wavefront6targetE1EEEvSM_
	.p2align	8
	.type	_ZN7rocprim17ROCPRIM_400000_NS6detail17trampoline_kernelINS0_14default_configENS1_22reduce_config_selectorIbEEZNS1_11reduce_implILb1ES3_N6hipcub16HIPCUB_304000_NS22TransformInputIteratorIb7NonZeroIaEPalEEPllNS8_6detail34convert_binary_result_type_wrapperINS8_3SumESD_lEEEE10hipError_tPvRmT1_T2_T3_mT4_P12ihipStream_tbEUlT_E0_NS1_11comp_targetILNS1_3genE9ELNS1_11target_archE1100ELNS1_3gpuE3ELNS1_3repE0EEENS1_30default_config_static_selectorELNS0_4arch9wavefront6targetE1EEEvSM_,@function
_ZN7rocprim17ROCPRIM_400000_NS6detail17trampoline_kernelINS0_14default_configENS1_22reduce_config_selectorIbEEZNS1_11reduce_implILb1ES3_N6hipcub16HIPCUB_304000_NS22TransformInputIteratorIb7NonZeroIaEPalEEPllNS8_6detail34convert_binary_result_type_wrapperINS8_3SumESD_lEEEE10hipError_tPvRmT1_T2_T3_mT4_P12ihipStream_tbEUlT_E0_NS1_11comp_targetILNS1_3genE9ELNS1_11target_archE1100ELNS1_3gpuE3ELNS1_3repE0EEENS1_30default_config_static_selectorELNS0_4arch9wavefront6targetE1EEEvSM_: ; @_ZN7rocprim17ROCPRIM_400000_NS6detail17trampoline_kernelINS0_14default_configENS1_22reduce_config_selectorIbEEZNS1_11reduce_implILb1ES3_N6hipcub16HIPCUB_304000_NS22TransformInputIteratorIb7NonZeroIaEPalEEPllNS8_6detail34convert_binary_result_type_wrapperINS8_3SumESD_lEEEE10hipError_tPvRmT1_T2_T3_mT4_P12ihipStream_tbEUlT_E0_NS1_11comp_targetILNS1_3genE9ELNS1_11target_archE1100ELNS1_3gpuE3ELNS1_3repE0EEENS1_30default_config_static_selectorELNS0_4arch9wavefront6targetE1EEEvSM_
; %bb.0:
	.section	.rodata,"a",@progbits
	.p2align	6, 0x0
	.amdhsa_kernel _ZN7rocprim17ROCPRIM_400000_NS6detail17trampoline_kernelINS0_14default_configENS1_22reduce_config_selectorIbEEZNS1_11reduce_implILb1ES3_N6hipcub16HIPCUB_304000_NS22TransformInputIteratorIb7NonZeroIaEPalEEPllNS8_6detail34convert_binary_result_type_wrapperINS8_3SumESD_lEEEE10hipError_tPvRmT1_T2_T3_mT4_P12ihipStream_tbEUlT_E0_NS1_11comp_targetILNS1_3genE9ELNS1_11target_archE1100ELNS1_3gpuE3ELNS1_3repE0EEENS1_30default_config_static_selectorELNS0_4arch9wavefront6targetE1EEEvSM_
		.amdhsa_group_segment_fixed_size 0
		.amdhsa_private_segment_fixed_size 0
		.amdhsa_kernarg_size 72
		.amdhsa_user_sgpr_count 6
		.amdhsa_user_sgpr_private_segment_buffer 1
		.amdhsa_user_sgpr_dispatch_ptr 0
		.amdhsa_user_sgpr_queue_ptr 0
		.amdhsa_user_sgpr_kernarg_segment_ptr 1
		.amdhsa_user_sgpr_dispatch_id 0
		.amdhsa_user_sgpr_flat_scratch_init 0
		.amdhsa_user_sgpr_private_segment_size 0
		.amdhsa_uses_dynamic_stack 0
		.amdhsa_system_sgpr_private_segment_wavefront_offset 0
		.amdhsa_system_sgpr_workgroup_id_x 1
		.amdhsa_system_sgpr_workgroup_id_y 0
		.amdhsa_system_sgpr_workgroup_id_z 0
		.amdhsa_system_sgpr_workgroup_info 0
		.amdhsa_system_vgpr_workitem_id 0
		.amdhsa_next_free_vgpr 1
		.amdhsa_next_free_sgpr 0
		.amdhsa_reserve_vcc 0
		.amdhsa_reserve_flat_scratch 0
		.amdhsa_float_round_mode_32 0
		.amdhsa_float_round_mode_16_64 0
		.amdhsa_float_denorm_mode_32 3
		.amdhsa_float_denorm_mode_16_64 3
		.amdhsa_dx10_clamp 1
		.amdhsa_ieee_mode 1
		.amdhsa_fp16_overflow 0
		.amdhsa_exception_fp_ieee_invalid_op 0
		.amdhsa_exception_fp_denorm_src 0
		.amdhsa_exception_fp_ieee_div_zero 0
		.amdhsa_exception_fp_ieee_overflow 0
		.amdhsa_exception_fp_ieee_underflow 0
		.amdhsa_exception_fp_ieee_inexact 0
		.amdhsa_exception_int_div_zero 0
	.end_amdhsa_kernel
	.section	.text._ZN7rocprim17ROCPRIM_400000_NS6detail17trampoline_kernelINS0_14default_configENS1_22reduce_config_selectorIbEEZNS1_11reduce_implILb1ES3_N6hipcub16HIPCUB_304000_NS22TransformInputIteratorIb7NonZeroIaEPalEEPllNS8_6detail34convert_binary_result_type_wrapperINS8_3SumESD_lEEEE10hipError_tPvRmT1_T2_T3_mT4_P12ihipStream_tbEUlT_E0_NS1_11comp_targetILNS1_3genE9ELNS1_11target_archE1100ELNS1_3gpuE3ELNS1_3repE0EEENS1_30default_config_static_selectorELNS0_4arch9wavefront6targetE1EEEvSM_,"axG",@progbits,_ZN7rocprim17ROCPRIM_400000_NS6detail17trampoline_kernelINS0_14default_configENS1_22reduce_config_selectorIbEEZNS1_11reduce_implILb1ES3_N6hipcub16HIPCUB_304000_NS22TransformInputIteratorIb7NonZeroIaEPalEEPllNS8_6detail34convert_binary_result_type_wrapperINS8_3SumESD_lEEEE10hipError_tPvRmT1_T2_T3_mT4_P12ihipStream_tbEUlT_E0_NS1_11comp_targetILNS1_3genE9ELNS1_11target_archE1100ELNS1_3gpuE3ELNS1_3repE0EEENS1_30default_config_static_selectorELNS0_4arch9wavefront6targetE1EEEvSM_,comdat
.Lfunc_end25:
	.size	_ZN7rocprim17ROCPRIM_400000_NS6detail17trampoline_kernelINS0_14default_configENS1_22reduce_config_selectorIbEEZNS1_11reduce_implILb1ES3_N6hipcub16HIPCUB_304000_NS22TransformInputIteratorIb7NonZeroIaEPalEEPllNS8_6detail34convert_binary_result_type_wrapperINS8_3SumESD_lEEEE10hipError_tPvRmT1_T2_T3_mT4_P12ihipStream_tbEUlT_E0_NS1_11comp_targetILNS1_3genE9ELNS1_11target_archE1100ELNS1_3gpuE3ELNS1_3repE0EEENS1_30default_config_static_selectorELNS0_4arch9wavefront6targetE1EEEvSM_, .Lfunc_end25-_ZN7rocprim17ROCPRIM_400000_NS6detail17trampoline_kernelINS0_14default_configENS1_22reduce_config_selectorIbEEZNS1_11reduce_implILb1ES3_N6hipcub16HIPCUB_304000_NS22TransformInputIteratorIb7NonZeroIaEPalEEPllNS8_6detail34convert_binary_result_type_wrapperINS8_3SumESD_lEEEE10hipError_tPvRmT1_T2_T3_mT4_P12ihipStream_tbEUlT_E0_NS1_11comp_targetILNS1_3genE9ELNS1_11target_archE1100ELNS1_3gpuE3ELNS1_3repE0EEENS1_30default_config_static_selectorELNS0_4arch9wavefront6targetE1EEEvSM_
                                        ; -- End function
	.set _ZN7rocprim17ROCPRIM_400000_NS6detail17trampoline_kernelINS0_14default_configENS1_22reduce_config_selectorIbEEZNS1_11reduce_implILb1ES3_N6hipcub16HIPCUB_304000_NS22TransformInputIteratorIb7NonZeroIaEPalEEPllNS8_6detail34convert_binary_result_type_wrapperINS8_3SumESD_lEEEE10hipError_tPvRmT1_T2_T3_mT4_P12ihipStream_tbEUlT_E0_NS1_11comp_targetILNS1_3genE9ELNS1_11target_archE1100ELNS1_3gpuE3ELNS1_3repE0EEENS1_30default_config_static_selectorELNS0_4arch9wavefront6targetE1EEEvSM_.num_vgpr, 0
	.set _ZN7rocprim17ROCPRIM_400000_NS6detail17trampoline_kernelINS0_14default_configENS1_22reduce_config_selectorIbEEZNS1_11reduce_implILb1ES3_N6hipcub16HIPCUB_304000_NS22TransformInputIteratorIb7NonZeroIaEPalEEPllNS8_6detail34convert_binary_result_type_wrapperINS8_3SumESD_lEEEE10hipError_tPvRmT1_T2_T3_mT4_P12ihipStream_tbEUlT_E0_NS1_11comp_targetILNS1_3genE9ELNS1_11target_archE1100ELNS1_3gpuE3ELNS1_3repE0EEENS1_30default_config_static_selectorELNS0_4arch9wavefront6targetE1EEEvSM_.num_agpr, 0
	.set _ZN7rocprim17ROCPRIM_400000_NS6detail17trampoline_kernelINS0_14default_configENS1_22reduce_config_selectorIbEEZNS1_11reduce_implILb1ES3_N6hipcub16HIPCUB_304000_NS22TransformInputIteratorIb7NonZeroIaEPalEEPllNS8_6detail34convert_binary_result_type_wrapperINS8_3SumESD_lEEEE10hipError_tPvRmT1_T2_T3_mT4_P12ihipStream_tbEUlT_E0_NS1_11comp_targetILNS1_3genE9ELNS1_11target_archE1100ELNS1_3gpuE3ELNS1_3repE0EEENS1_30default_config_static_selectorELNS0_4arch9wavefront6targetE1EEEvSM_.numbered_sgpr, 0
	.set _ZN7rocprim17ROCPRIM_400000_NS6detail17trampoline_kernelINS0_14default_configENS1_22reduce_config_selectorIbEEZNS1_11reduce_implILb1ES3_N6hipcub16HIPCUB_304000_NS22TransformInputIteratorIb7NonZeroIaEPalEEPllNS8_6detail34convert_binary_result_type_wrapperINS8_3SumESD_lEEEE10hipError_tPvRmT1_T2_T3_mT4_P12ihipStream_tbEUlT_E0_NS1_11comp_targetILNS1_3genE9ELNS1_11target_archE1100ELNS1_3gpuE3ELNS1_3repE0EEENS1_30default_config_static_selectorELNS0_4arch9wavefront6targetE1EEEvSM_.num_named_barrier, 0
	.set _ZN7rocprim17ROCPRIM_400000_NS6detail17trampoline_kernelINS0_14default_configENS1_22reduce_config_selectorIbEEZNS1_11reduce_implILb1ES3_N6hipcub16HIPCUB_304000_NS22TransformInputIteratorIb7NonZeroIaEPalEEPllNS8_6detail34convert_binary_result_type_wrapperINS8_3SumESD_lEEEE10hipError_tPvRmT1_T2_T3_mT4_P12ihipStream_tbEUlT_E0_NS1_11comp_targetILNS1_3genE9ELNS1_11target_archE1100ELNS1_3gpuE3ELNS1_3repE0EEENS1_30default_config_static_selectorELNS0_4arch9wavefront6targetE1EEEvSM_.private_seg_size, 0
	.set _ZN7rocprim17ROCPRIM_400000_NS6detail17trampoline_kernelINS0_14default_configENS1_22reduce_config_selectorIbEEZNS1_11reduce_implILb1ES3_N6hipcub16HIPCUB_304000_NS22TransformInputIteratorIb7NonZeroIaEPalEEPllNS8_6detail34convert_binary_result_type_wrapperINS8_3SumESD_lEEEE10hipError_tPvRmT1_T2_T3_mT4_P12ihipStream_tbEUlT_E0_NS1_11comp_targetILNS1_3genE9ELNS1_11target_archE1100ELNS1_3gpuE3ELNS1_3repE0EEENS1_30default_config_static_selectorELNS0_4arch9wavefront6targetE1EEEvSM_.uses_vcc, 0
	.set _ZN7rocprim17ROCPRIM_400000_NS6detail17trampoline_kernelINS0_14default_configENS1_22reduce_config_selectorIbEEZNS1_11reduce_implILb1ES3_N6hipcub16HIPCUB_304000_NS22TransformInputIteratorIb7NonZeroIaEPalEEPllNS8_6detail34convert_binary_result_type_wrapperINS8_3SumESD_lEEEE10hipError_tPvRmT1_T2_T3_mT4_P12ihipStream_tbEUlT_E0_NS1_11comp_targetILNS1_3genE9ELNS1_11target_archE1100ELNS1_3gpuE3ELNS1_3repE0EEENS1_30default_config_static_selectorELNS0_4arch9wavefront6targetE1EEEvSM_.uses_flat_scratch, 0
	.set _ZN7rocprim17ROCPRIM_400000_NS6detail17trampoline_kernelINS0_14default_configENS1_22reduce_config_selectorIbEEZNS1_11reduce_implILb1ES3_N6hipcub16HIPCUB_304000_NS22TransformInputIteratorIb7NonZeroIaEPalEEPllNS8_6detail34convert_binary_result_type_wrapperINS8_3SumESD_lEEEE10hipError_tPvRmT1_T2_T3_mT4_P12ihipStream_tbEUlT_E0_NS1_11comp_targetILNS1_3genE9ELNS1_11target_archE1100ELNS1_3gpuE3ELNS1_3repE0EEENS1_30default_config_static_selectorELNS0_4arch9wavefront6targetE1EEEvSM_.has_dyn_sized_stack, 0
	.set _ZN7rocprim17ROCPRIM_400000_NS6detail17trampoline_kernelINS0_14default_configENS1_22reduce_config_selectorIbEEZNS1_11reduce_implILb1ES3_N6hipcub16HIPCUB_304000_NS22TransformInputIteratorIb7NonZeroIaEPalEEPllNS8_6detail34convert_binary_result_type_wrapperINS8_3SumESD_lEEEE10hipError_tPvRmT1_T2_T3_mT4_P12ihipStream_tbEUlT_E0_NS1_11comp_targetILNS1_3genE9ELNS1_11target_archE1100ELNS1_3gpuE3ELNS1_3repE0EEENS1_30default_config_static_selectorELNS0_4arch9wavefront6targetE1EEEvSM_.has_recursion, 0
	.set _ZN7rocprim17ROCPRIM_400000_NS6detail17trampoline_kernelINS0_14default_configENS1_22reduce_config_selectorIbEEZNS1_11reduce_implILb1ES3_N6hipcub16HIPCUB_304000_NS22TransformInputIteratorIb7NonZeroIaEPalEEPllNS8_6detail34convert_binary_result_type_wrapperINS8_3SumESD_lEEEE10hipError_tPvRmT1_T2_T3_mT4_P12ihipStream_tbEUlT_E0_NS1_11comp_targetILNS1_3genE9ELNS1_11target_archE1100ELNS1_3gpuE3ELNS1_3repE0EEENS1_30default_config_static_selectorELNS0_4arch9wavefront6targetE1EEEvSM_.has_indirect_call, 0
	.section	.AMDGPU.csdata,"",@progbits
; Kernel info:
; codeLenInByte = 0
; TotalNumSgprs: 4
; NumVgprs: 0
; ScratchSize: 0
; MemoryBound: 0
; FloatMode: 240
; IeeeMode: 1
; LDSByteSize: 0 bytes/workgroup (compile time only)
; SGPRBlocks: 0
; VGPRBlocks: 0
; NumSGPRsForWavesPerEU: 4
; NumVGPRsForWavesPerEU: 1
; Occupancy: 10
; WaveLimiterHint : 0
; COMPUTE_PGM_RSRC2:SCRATCH_EN: 0
; COMPUTE_PGM_RSRC2:USER_SGPR: 6
; COMPUTE_PGM_RSRC2:TRAP_HANDLER: 0
; COMPUTE_PGM_RSRC2:TGID_X_EN: 1
; COMPUTE_PGM_RSRC2:TGID_Y_EN: 0
; COMPUTE_PGM_RSRC2:TGID_Z_EN: 0
; COMPUTE_PGM_RSRC2:TIDIG_COMP_CNT: 0
	.section	.text._ZN7rocprim17ROCPRIM_400000_NS6detail17trampoline_kernelINS0_14default_configENS1_22reduce_config_selectorIbEEZNS1_11reduce_implILb1ES3_N6hipcub16HIPCUB_304000_NS22TransformInputIteratorIb7NonZeroIaEPalEEPllNS8_6detail34convert_binary_result_type_wrapperINS8_3SumESD_lEEEE10hipError_tPvRmT1_T2_T3_mT4_P12ihipStream_tbEUlT_E0_NS1_11comp_targetILNS1_3genE8ELNS1_11target_archE1030ELNS1_3gpuE2ELNS1_3repE0EEENS1_30default_config_static_selectorELNS0_4arch9wavefront6targetE1EEEvSM_,"axG",@progbits,_ZN7rocprim17ROCPRIM_400000_NS6detail17trampoline_kernelINS0_14default_configENS1_22reduce_config_selectorIbEEZNS1_11reduce_implILb1ES3_N6hipcub16HIPCUB_304000_NS22TransformInputIteratorIb7NonZeroIaEPalEEPllNS8_6detail34convert_binary_result_type_wrapperINS8_3SumESD_lEEEE10hipError_tPvRmT1_T2_T3_mT4_P12ihipStream_tbEUlT_E0_NS1_11comp_targetILNS1_3genE8ELNS1_11target_archE1030ELNS1_3gpuE2ELNS1_3repE0EEENS1_30default_config_static_selectorELNS0_4arch9wavefront6targetE1EEEvSM_,comdat
	.protected	_ZN7rocprim17ROCPRIM_400000_NS6detail17trampoline_kernelINS0_14default_configENS1_22reduce_config_selectorIbEEZNS1_11reduce_implILb1ES3_N6hipcub16HIPCUB_304000_NS22TransformInputIteratorIb7NonZeroIaEPalEEPllNS8_6detail34convert_binary_result_type_wrapperINS8_3SumESD_lEEEE10hipError_tPvRmT1_T2_T3_mT4_P12ihipStream_tbEUlT_E0_NS1_11comp_targetILNS1_3genE8ELNS1_11target_archE1030ELNS1_3gpuE2ELNS1_3repE0EEENS1_30default_config_static_selectorELNS0_4arch9wavefront6targetE1EEEvSM_ ; -- Begin function _ZN7rocprim17ROCPRIM_400000_NS6detail17trampoline_kernelINS0_14default_configENS1_22reduce_config_selectorIbEEZNS1_11reduce_implILb1ES3_N6hipcub16HIPCUB_304000_NS22TransformInputIteratorIb7NonZeroIaEPalEEPllNS8_6detail34convert_binary_result_type_wrapperINS8_3SumESD_lEEEE10hipError_tPvRmT1_T2_T3_mT4_P12ihipStream_tbEUlT_E0_NS1_11comp_targetILNS1_3genE8ELNS1_11target_archE1030ELNS1_3gpuE2ELNS1_3repE0EEENS1_30default_config_static_selectorELNS0_4arch9wavefront6targetE1EEEvSM_
	.globl	_ZN7rocprim17ROCPRIM_400000_NS6detail17trampoline_kernelINS0_14default_configENS1_22reduce_config_selectorIbEEZNS1_11reduce_implILb1ES3_N6hipcub16HIPCUB_304000_NS22TransformInputIteratorIb7NonZeroIaEPalEEPllNS8_6detail34convert_binary_result_type_wrapperINS8_3SumESD_lEEEE10hipError_tPvRmT1_T2_T3_mT4_P12ihipStream_tbEUlT_E0_NS1_11comp_targetILNS1_3genE8ELNS1_11target_archE1030ELNS1_3gpuE2ELNS1_3repE0EEENS1_30default_config_static_selectorELNS0_4arch9wavefront6targetE1EEEvSM_
	.p2align	8
	.type	_ZN7rocprim17ROCPRIM_400000_NS6detail17trampoline_kernelINS0_14default_configENS1_22reduce_config_selectorIbEEZNS1_11reduce_implILb1ES3_N6hipcub16HIPCUB_304000_NS22TransformInputIteratorIb7NonZeroIaEPalEEPllNS8_6detail34convert_binary_result_type_wrapperINS8_3SumESD_lEEEE10hipError_tPvRmT1_T2_T3_mT4_P12ihipStream_tbEUlT_E0_NS1_11comp_targetILNS1_3genE8ELNS1_11target_archE1030ELNS1_3gpuE2ELNS1_3repE0EEENS1_30default_config_static_selectorELNS0_4arch9wavefront6targetE1EEEvSM_,@function
_ZN7rocprim17ROCPRIM_400000_NS6detail17trampoline_kernelINS0_14default_configENS1_22reduce_config_selectorIbEEZNS1_11reduce_implILb1ES3_N6hipcub16HIPCUB_304000_NS22TransformInputIteratorIb7NonZeroIaEPalEEPllNS8_6detail34convert_binary_result_type_wrapperINS8_3SumESD_lEEEE10hipError_tPvRmT1_T2_T3_mT4_P12ihipStream_tbEUlT_E0_NS1_11comp_targetILNS1_3genE8ELNS1_11target_archE1030ELNS1_3gpuE2ELNS1_3repE0EEENS1_30default_config_static_selectorELNS0_4arch9wavefront6targetE1EEEvSM_: ; @_ZN7rocprim17ROCPRIM_400000_NS6detail17trampoline_kernelINS0_14default_configENS1_22reduce_config_selectorIbEEZNS1_11reduce_implILb1ES3_N6hipcub16HIPCUB_304000_NS22TransformInputIteratorIb7NonZeroIaEPalEEPllNS8_6detail34convert_binary_result_type_wrapperINS8_3SumESD_lEEEE10hipError_tPvRmT1_T2_T3_mT4_P12ihipStream_tbEUlT_E0_NS1_11comp_targetILNS1_3genE8ELNS1_11target_archE1030ELNS1_3gpuE2ELNS1_3repE0EEENS1_30default_config_static_selectorELNS0_4arch9wavefront6targetE1EEEvSM_
; %bb.0:
	.section	.rodata,"a",@progbits
	.p2align	6, 0x0
	.amdhsa_kernel _ZN7rocprim17ROCPRIM_400000_NS6detail17trampoline_kernelINS0_14default_configENS1_22reduce_config_selectorIbEEZNS1_11reduce_implILb1ES3_N6hipcub16HIPCUB_304000_NS22TransformInputIteratorIb7NonZeroIaEPalEEPllNS8_6detail34convert_binary_result_type_wrapperINS8_3SumESD_lEEEE10hipError_tPvRmT1_T2_T3_mT4_P12ihipStream_tbEUlT_E0_NS1_11comp_targetILNS1_3genE8ELNS1_11target_archE1030ELNS1_3gpuE2ELNS1_3repE0EEENS1_30default_config_static_selectorELNS0_4arch9wavefront6targetE1EEEvSM_
		.amdhsa_group_segment_fixed_size 0
		.amdhsa_private_segment_fixed_size 0
		.amdhsa_kernarg_size 72
		.amdhsa_user_sgpr_count 6
		.amdhsa_user_sgpr_private_segment_buffer 1
		.amdhsa_user_sgpr_dispatch_ptr 0
		.amdhsa_user_sgpr_queue_ptr 0
		.amdhsa_user_sgpr_kernarg_segment_ptr 1
		.amdhsa_user_sgpr_dispatch_id 0
		.amdhsa_user_sgpr_flat_scratch_init 0
		.amdhsa_user_sgpr_private_segment_size 0
		.amdhsa_uses_dynamic_stack 0
		.amdhsa_system_sgpr_private_segment_wavefront_offset 0
		.amdhsa_system_sgpr_workgroup_id_x 1
		.amdhsa_system_sgpr_workgroup_id_y 0
		.amdhsa_system_sgpr_workgroup_id_z 0
		.amdhsa_system_sgpr_workgroup_info 0
		.amdhsa_system_vgpr_workitem_id 0
		.amdhsa_next_free_vgpr 1
		.amdhsa_next_free_sgpr 0
		.amdhsa_reserve_vcc 0
		.amdhsa_reserve_flat_scratch 0
		.amdhsa_float_round_mode_32 0
		.amdhsa_float_round_mode_16_64 0
		.amdhsa_float_denorm_mode_32 3
		.amdhsa_float_denorm_mode_16_64 3
		.amdhsa_dx10_clamp 1
		.amdhsa_ieee_mode 1
		.amdhsa_fp16_overflow 0
		.amdhsa_exception_fp_ieee_invalid_op 0
		.amdhsa_exception_fp_denorm_src 0
		.amdhsa_exception_fp_ieee_div_zero 0
		.amdhsa_exception_fp_ieee_overflow 0
		.amdhsa_exception_fp_ieee_underflow 0
		.amdhsa_exception_fp_ieee_inexact 0
		.amdhsa_exception_int_div_zero 0
	.end_amdhsa_kernel
	.section	.text._ZN7rocprim17ROCPRIM_400000_NS6detail17trampoline_kernelINS0_14default_configENS1_22reduce_config_selectorIbEEZNS1_11reduce_implILb1ES3_N6hipcub16HIPCUB_304000_NS22TransformInputIteratorIb7NonZeroIaEPalEEPllNS8_6detail34convert_binary_result_type_wrapperINS8_3SumESD_lEEEE10hipError_tPvRmT1_T2_T3_mT4_P12ihipStream_tbEUlT_E0_NS1_11comp_targetILNS1_3genE8ELNS1_11target_archE1030ELNS1_3gpuE2ELNS1_3repE0EEENS1_30default_config_static_selectorELNS0_4arch9wavefront6targetE1EEEvSM_,"axG",@progbits,_ZN7rocprim17ROCPRIM_400000_NS6detail17trampoline_kernelINS0_14default_configENS1_22reduce_config_selectorIbEEZNS1_11reduce_implILb1ES3_N6hipcub16HIPCUB_304000_NS22TransformInputIteratorIb7NonZeroIaEPalEEPllNS8_6detail34convert_binary_result_type_wrapperINS8_3SumESD_lEEEE10hipError_tPvRmT1_T2_T3_mT4_P12ihipStream_tbEUlT_E0_NS1_11comp_targetILNS1_3genE8ELNS1_11target_archE1030ELNS1_3gpuE2ELNS1_3repE0EEENS1_30default_config_static_selectorELNS0_4arch9wavefront6targetE1EEEvSM_,comdat
.Lfunc_end26:
	.size	_ZN7rocprim17ROCPRIM_400000_NS6detail17trampoline_kernelINS0_14default_configENS1_22reduce_config_selectorIbEEZNS1_11reduce_implILb1ES3_N6hipcub16HIPCUB_304000_NS22TransformInputIteratorIb7NonZeroIaEPalEEPllNS8_6detail34convert_binary_result_type_wrapperINS8_3SumESD_lEEEE10hipError_tPvRmT1_T2_T3_mT4_P12ihipStream_tbEUlT_E0_NS1_11comp_targetILNS1_3genE8ELNS1_11target_archE1030ELNS1_3gpuE2ELNS1_3repE0EEENS1_30default_config_static_selectorELNS0_4arch9wavefront6targetE1EEEvSM_, .Lfunc_end26-_ZN7rocprim17ROCPRIM_400000_NS6detail17trampoline_kernelINS0_14default_configENS1_22reduce_config_selectorIbEEZNS1_11reduce_implILb1ES3_N6hipcub16HIPCUB_304000_NS22TransformInputIteratorIb7NonZeroIaEPalEEPllNS8_6detail34convert_binary_result_type_wrapperINS8_3SumESD_lEEEE10hipError_tPvRmT1_T2_T3_mT4_P12ihipStream_tbEUlT_E0_NS1_11comp_targetILNS1_3genE8ELNS1_11target_archE1030ELNS1_3gpuE2ELNS1_3repE0EEENS1_30default_config_static_selectorELNS0_4arch9wavefront6targetE1EEEvSM_
                                        ; -- End function
	.set _ZN7rocprim17ROCPRIM_400000_NS6detail17trampoline_kernelINS0_14default_configENS1_22reduce_config_selectorIbEEZNS1_11reduce_implILb1ES3_N6hipcub16HIPCUB_304000_NS22TransformInputIteratorIb7NonZeroIaEPalEEPllNS8_6detail34convert_binary_result_type_wrapperINS8_3SumESD_lEEEE10hipError_tPvRmT1_T2_T3_mT4_P12ihipStream_tbEUlT_E0_NS1_11comp_targetILNS1_3genE8ELNS1_11target_archE1030ELNS1_3gpuE2ELNS1_3repE0EEENS1_30default_config_static_selectorELNS0_4arch9wavefront6targetE1EEEvSM_.num_vgpr, 0
	.set _ZN7rocprim17ROCPRIM_400000_NS6detail17trampoline_kernelINS0_14default_configENS1_22reduce_config_selectorIbEEZNS1_11reduce_implILb1ES3_N6hipcub16HIPCUB_304000_NS22TransformInputIteratorIb7NonZeroIaEPalEEPllNS8_6detail34convert_binary_result_type_wrapperINS8_3SumESD_lEEEE10hipError_tPvRmT1_T2_T3_mT4_P12ihipStream_tbEUlT_E0_NS1_11comp_targetILNS1_3genE8ELNS1_11target_archE1030ELNS1_3gpuE2ELNS1_3repE0EEENS1_30default_config_static_selectorELNS0_4arch9wavefront6targetE1EEEvSM_.num_agpr, 0
	.set _ZN7rocprim17ROCPRIM_400000_NS6detail17trampoline_kernelINS0_14default_configENS1_22reduce_config_selectorIbEEZNS1_11reduce_implILb1ES3_N6hipcub16HIPCUB_304000_NS22TransformInputIteratorIb7NonZeroIaEPalEEPllNS8_6detail34convert_binary_result_type_wrapperINS8_3SumESD_lEEEE10hipError_tPvRmT1_T2_T3_mT4_P12ihipStream_tbEUlT_E0_NS1_11comp_targetILNS1_3genE8ELNS1_11target_archE1030ELNS1_3gpuE2ELNS1_3repE0EEENS1_30default_config_static_selectorELNS0_4arch9wavefront6targetE1EEEvSM_.numbered_sgpr, 0
	.set _ZN7rocprim17ROCPRIM_400000_NS6detail17trampoline_kernelINS0_14default_configENS1_22reduce_config_selectorIbEEZNS1_11reduce_implILb1ES3_N6hipcub16HIPCUB_304000_NS22TransformInputIteratorIb7NonZeroIaEPalEEPllNS8_6detail34convert_binary_result_type_wrapperINS8_3SumESD_lEEEE10hipError_tPvRmT1_T2_T3_mT4_P12ihipStream_tbEUlT_E0_NS1_11comp_targetILNS1_3genE8ELNS1_11target_archE1030ELNS1_3gpuE2ELNS1_3repE0EEENS1_30default_config_static_selectorELNS0_4arch9wavefront6targetE1EEEvSM_.num_named_barrier, 0
	.set _ZN7rocprim17ROCPRIM_400000_NS6detail17trampoline_kernelINS0_14default_configENS1_22reduce_config_selectorIbEEZNS1_11reduce_implILb1ES3_N6hipcub16HIPCUB_304000_NS22TransformInputIteratorIb7NonZeroIaEPalEEPllNS8_6detail34convert_binary_result_type_wrapperINS8_3SumESD_lEEEE10hipError_tPvRmT1_T2_T3_mT4_P12ihipStream_tbEUlT_E0_NS1_11comp_targetILNS1_3genE8ELNS1_11target_archE1030ELNS1_3gpuE2ELNS1_3repE0EEENS1_30default_config_static_selectorELNS0_4arch9wavefront6targetE1EEEvSM_.private_seg_size, 0
	.set _ZN7rocprim17ROCPRIM_400000_NS6detail17trampoline_kernelINS0_14default_configENS1_22reduce_config_selectorIbEEZNS1_11reduce_implILb1ES3_N6hipcub16HIPCUB_304000_NS22TransformInputIteratorIb7NonZeroIaEPalEEPllNS8_6detail34convert_binary_result_type_wrapperINS8_3SumESD_lEEEE10hipError_tPvRmT1_T2_T3_mT4_P12ihipStream_tbEUlT_E0_NS1_11comp_targetILNS1_3genE8ELNS1_11target_archE1030ELNS1_3gpuE2ELNS1_3repE0EEENS1_30default_config_static_selectorELNS0_4arch9wavefront6targetE1EEEvSM_.uses_vcc, 0
	.set _ZN7rocprim17ROCPRIM_400000_NS6detail17trampoline_kernelINS0_14default_configENS1_22reduce_config_selectorIbEEZNS1_11reduce_implILb1ES3_N6hipcub16HIPCUB_304000_NS22TransformInputIteratorIb7NonZeroIaEPalEEPllNS8_6detail34convert_binary_result_type_wrapperINS8_3SumESD_lEEEE10hipError_tPvRmT1_T2_T3_mT4_P12ihipStream_tbEUlT_E0_NS1_11comp_targetILNS1_3genE8ELNS1_11target_archE1030ELNS1_3gpuE2ELNS1_3repE0EEENS1_30default_config_static_selectorELNS0_4arch9wavefront6targetE1EEEvSM_.uses_flat_scratch, 0
	.set _ZN7rocprim17ROCPRIM_400000_NS6detail17trampoline_kernelINS0_14default_configENS1_22reduce_config_selectorIbEEZNS1_11reduce_implILb1ES3_N6hipcub16HIPCUB_304000_NS22TransformInputIteratorIb7NonZeroIaEPalEEPllNS8_6detail34convert_binary_result_type_wrapperINS8_3SumESD_lEEEE10hipError_tPvRmT1_T2_T3_mT4_P12ihipStream_tbEUlT_E0_NS1_11comp_targetILNS1_3genE8ELNS1_11target_archE1030ELNS1_3gpuE2ELNS1_3repE0EEENS1_30default_config_static_selectorELNS0_4arch9wavefront6targetE1EEEvSM_.has_dyn_sized_stack, 0
	.set _ZN7rocprim17ROCPRIM_400000_NS6detail17trampoline_kernelINS0_14default_configENS1_22reduce_config_selectorIbEEZNS1_11reduce_implILb1ES3_N6hipcub16HIPCUB_304000_NS22TransformInputIteratorIb7NonZeroIaEPalEEPllNS8_6detail34convert_binary_result_type_wrapperINS8_3SumESD_lEEEE10hipError_tPvRmT1_T2_T3_mT4_P12ihipStream_tbEUlT_E0_NS1_11comp_targetILNS1_3genE8ELNS1_11target_archE1030ELNS1_3gpuE2ELNS1_3repE0EEENS1_30default_config_static_selectorELNS0_4arch9wavefront6targetE1EEEvSM_.has_recursion, 0
	.set _ZN7rocprim17ROCPRIM_400000_NS6detail17trampoline_kernelINS0_14default_configENS1_22reduce_config_selectorIbEEZNS1_11reduce_implILb1ES3_N6hipcub16HIPCUB_304000_NS22TransformInputIteratorIb7NonZeroIaEPalEEPllNS8_6detail34convert_binary_result_type_wrapperINS8_3SumESD_lEEEE10hipError_tPvRmT1_T2_T3_mT4_P12ihipStream_tbEUlT_E0_NS1_11comp_targetILNS1_3genE8ELNS1_11target_archE1030ELNS1_3gpuE2ELNS1_3repE0EEENS1_30default_config_static_selectorELNS0_4arch9wavefront6targetE1EEEvSM_.has_indirect_call, 0
	.section	.AMDGPU.csdata,"",@progbits
; Kernel info:
; codeLenInByte = 0
; TotalNumSgprs: 4
; NumVgprs: 0
; ScratchSize: 0
; MemoryBound: 0
; FloatMode: 240
; IeeeMode: 1
; LDSByteSize: 0 bytes/workgroup (compile time only)
; SGPRBlocks: 0
; VGPRBlocks: 0
; NumSGPRsForWavesPerEU: 4
; NumVGPRsForWavesPerEU: 1
; Occupancy: 10
; WaveLimiterHint : 0
; COMPUTE_PGM_RSRC2:SCRATCH_EN: 0
; COMPUTE_PGM_RSRC2:USER_SGPR: 6
; COMPUTE_PGM_RSRC2:TRAP_HANDLER: 0
; COMPUTE_PGM_RSRC2:TGID_X_EN: 1
; COMPUTE_PGM_RSRC2:TGID_Y_EN: 0
; COMPUTE_PGM_RSRC2:TGID_Z_EN: 0
; COMPUTE_PGM_RSRC2:TIDIG_COMP_CNT: 0
	.section	.text._ZN7rocprim17ROCPRIM_400000_NS6detail17trampoline_kernelINS0_14default_configENS1_22reduce_config_selectorIbEEZNS1_11reduce_implILb1ES3_N6hipcub16HIPCUB_304000_NS22TransformInputIteratorIb7NonZeroIaEPalEEPllNS8_6detail34convert_binary_result_type_wrapperINS8_3SumESD_lEEEE10hipError_tPvRmT1_T2_T3_mT4_P12ihipStream_tbEUlT_E1_NS1_11comp_targetILNS1_3genE0ELNS1_11target_archE4294967295ELNS1_3gpuE0ELNS1_3repE0EEENS1_30default_config_static_selectorELNS0_4arch9wavefront6targetE1EEEvSM_,"axG",@progbits,_ZN7rocprim17ROCPRIM_400000_NS6detail17trampoline_kernelINS0_14default_configENS1_22reduce_config_selectorIbEEZNS1_11reduce_implILb1ES3_N6hipcub16HIPCUB_304000_NS22TransformInputIteratorIb7NonZeroIaEPalEEPllNS8_6detail34convert_binary_result_type_wrapperINS8_3SumESD_lEEEE10hipError_tPvRmT1_T2_T3_mT4_P12ihipStream_tbEUlT_E1_NS1_11comp_targetILNS1_3genE0ELNS1_11target_archE4294967295ELNS1_3gpuE0ELNS1_3repE0EEENS1_30default_config_static_selectorELNS0_4arch9wavefront6targetE1EEEvSM_,comdat
	.protected	_ZN7rocprim17ROCPRIM_400000_NS6detail17trampoline_kernelINS0_14default_configENS1_22reduce_config_selectorIbEEZNS1_11reduce_implILb1ES3_N6hipcub16HIPCUB_304000_NS22TransformInputIteratorIb7NonZeroIaEPalEEPllNS8_6detail34convert_binary_result_type_wrapperINS8_3SumESD_lEEEE10hipError_tPvRmT1_T2_T3_mT4_P12ihipStream_tbEUlT_E1_NS1_11comp_targetILNS1_3genE0ELNS1_11target_archE4294967295ELNS1_3gpuE0ELNS1_3repE0EEENS1_30default_config_static_selectorELNS0_4arch9wavefront6targetE1EEEvSM_ ; -- Begin function _ZN7rocprim17ROCPRIM_400000_NS6detail17trampoline_kernelINS0_14default_configENS1_22reduce_config_selectorIbEEZNS1_11reduce_implILb1ES3_N6hipcub16HIPCUB_304000_NS22TransformInputIteratorIb7NonZeroIaEPalEEPllNS8_6detail34convert_binary_result_type_wrapperINS8_3SumESD_lEEEE10hipError_tPvRmT1_T2_T3_mT4_P12ihipStream_tbEUlT_E1_NS1_11comp_targetILNS1_3genE0ELNS1_11target_archE4294967295ELNS1_3gpuE0ELNS1_3repE0EEENS1_30default_config_static_selectorELNS0_4arch9wavefront6targetE1EEEvSM_
	.globl	_ZN7rocprim17ROCPRIM_400000_NS6detail17trampoline_kernelINS0_14default_configENS1_22reduce_config_selectorIbEEZNS1_11reduce_implILb1ES3_N6hipcub16HIPCUB_304000_NS22TransformInputIteratorIb7NonZeroIaEPalEEPllNS8_6detail34convert_binary_result_type_wrapperINS8_3SumESD_lEEEE10hipError_tPvRmT1_T2_T3_mT4_P12ihipStream_tbEUlT_E1_NS1_11comp_targetILNS1_3genE0ELNS1_11target_archE4294967295ELNS1_3gpuE0ELNS1_3repE0EEENS1_30default_config_static_selectorELNS0_4arch9wavefront6targetE1EEEvSM_
	.p2align	8
	.type	_ZN7rocprim17ROCPRIM_400000_NS6detail17trampoline_kernelINS0_14default_configENS1_22reduce_config_selectorIbEEZNS1_11reduce_implILb1ES3_N6hipcub16HIPCUB_304000_NS22TransformInputIteratorIb7NonZeroIaEPalEEPllNS8_6detail34convert_binary_result_type_wrapperINS8_3SumESD_lEEEE10hipError_tPvRmT1_T2_T3_mT4_P12ihipStream_tbEUlT_E1_NS1_11comp_targetILNS1_3genE0ELNS1_11target_archE4294967295ELNS1_3gpuE0ELNS1_3repE0EEENS1_30default_config_static_selectorELNS0_4arch9wavefront6targetE1EEEvSM_,@function
_ZN7rocprim17ROCPRIM_400000_NS6detail17trampoline_kernelINS0_14default_configENS1_22reduce_config_selectorIbEEZNS1_11reduce_implILb1ES3_N6hipcub16HIPCUB_304000_NS22TransformInputIteratorIb7NonZeroIaEPalEEPllNS8_6detail34convert_binary_result_type_wrapperINS8_3SumESD_lEEEE10hipError_tPvRmT1_T2_T3_mT4_P12ihipStream_tbEUlT_E1_NS1_11comp_targetILNS1_3genE0ELNS1_11target_archE4294967295ELNS1_3gpuE0ELNS1_3repE0EEENS1_30default_config_static_selectorELNS0_4arch9wavefront6targetE1EEEvSM_: ; @_ZN7rocprim17ROCPRIM_400000_NS6detail17trampoline_kernelINS0_14default_configENS1_22reduce_config_selectorIbEEZNS1_11reduce_implILb1ES3_N6hipcub16HIPCUB_304000_NS22TransformInputIteratorIb7NonZeroIaEPalEEPllNS8_6detail34convert_binary_result_type_wrapperINS8_3SumESD_lEEEE10hipError_tPvRmT1_T2_T3_mT4_P12ihipStream_tbEUlT_E1_NS1_11comp_targetILNS1_3genE0ELNS1_11target_archE4294967295ELNS1_3gpuE0ELNS1_3repE0EEENS1_30default_config_static_selectorELNS0_4arch9wavefront6targetE1EEEvSM_
; %bb.0:
	.section	.rodata,"a",@progbits
	.p2align	6, 0x0
	.amdhsa_kernel _ZN7rocprim17ROCPRIM_400000_NS6detail17trampoline_kernelINS0_14default_configENS1_22reduce_config_selectorIbEEZNS1_11reduce_implILb1ES3_N6hipcub16HIPCUB_304000_NS22TransformInputIteratorIb7NonZeroIaEPalEEPllNS8_6detail34convert_binary_result_type_wrapperINS8_3SumESD_lEEEE10hipError_tPvRmT1_T2_T3_mT4_P12ihipStream_tbEUlT_E1_NS1_11comp_targetILNS1_3genE0ELNS1_11target_archE4294967295ELNS1_3gpuE0ELNS1_3repE0EEENS1_30default_config_static_selectorELNS0_4arch9wavefront6targetE1EEEvSM_
		.amdhsa_group_segment_fixed_size 0
		.amdhsa_private_segment_fixed_size 0
		.amdhsa_kernarg_size 56
		.amdhsa_user_sgpr_count 6
		.amdhsa_user_sgpr_private_segment_buffer 1
		.amdhsa_user_sgpr_dispatch_ptr 0
		.amdhsa_user_sgpr_queue_ptr 0
		.amdhsa_user_sgpr_kernarg_segment_ptr 1
		.amdhsa_user_sgpr_dispatch_id 0
		.amdhsa_user_sgpr_flat_scratch_init 0
		.amdhsa_user_sgpr_private_segment_size 0
		.amdhsa_uses_dynamic_stack 0
		.amdhsa_system_sgpr_private_segment_wavefront_offset 0
		.amdhsa_system_sgpr_workgroup_id_x 1
		.amdhsa_system_sgpr_workgroup_id_y 0
		.amdhsa_system_sgpr_workgroup_id_z 0
		.amdhsa_system_sgpr_workgroup_info 0
		.amdhsa_system_vgpr_workitem_id 0
		.amdhsa_next_free_vgpr 1
		.amdhsa_next_free_sgpr 0
		.amdhsa_reserve_vcc 0
		.amdhsa_reserve_flat_scratch 0
		.amdhsa_float_round_mode_32 0
		.amdhsa_float_round_mode_16_64 0
		.amdhsa_float_denorm_mode_32 3
		.amdhsa_float_denorm_mode_16_64 3
		.amdhsa_dx10_clamp 1
		.amdhsa_ieee_mode 1
		.amdhsa_fp16_overflow 0
		.amdhsa_exception_fp_ieee_invalid_op 0
		.amdhsa_exception_fp_denorm_src 0
		.amdhsa_exception_fp_ieee_div_zero 0
		.amdhsa_exception_fp_ieee_overflow 0
		.amdhsa_exception_fp_ieee_underflow 0
		.amdhsa_exception_fp_ieee_inexact 0
		.amdhsa_exception_int_div_zero 0
	.end_amdhsa_kernel
	.section	.text._ZN7rocprim17ROCPRIM_400000_NS6detail17trampoline_kernelINS0_14default_configENS1_22reduce_config_selectorIbEEZNS1_11reduce_implILb1ES3_N6hipcub16HIPCUB_304000_NS22TransformInputIteratorIb7NonZeroIaEPalEEPllNS8_6detail34convert_binary_result_type_wrapperINS8_3SumESD_lEEEE10hipError_tPvRmT1_T2_T3_mT4_P12ihipStream_tbEUlT_E1_NS1_11comp_targetILNS1_3genE0ELNS1_11target_archE4294967295ELNS1_3gpuE0ELNS1_3repE0EEENS1_30default_config_static_selectorELNS0_4arch9wavefront6targetE1EEEvSM_,"axG",@progbits,_ZN7rocprim17ROCPRIM_400000_NS6detail17trampoline_kernelINS0_14default_configENS1_22reduce_config_selectorIbEEZNS1_11reduce_implILb1ES3_N6hipcub16HIPCUB_304000_NS22TransformInputIteratorIb7NonZeroIaEPalEEPllNS8_6detail34convert_binary_result_type_wrapperINS8_3SumESD_lEEEE10hipError_tPvRmT1_T2_T3_mT4_P12ihipStream_tbEUlT_E1_NS1_11comp_targetILNS1_3genE0ELNS1_11target_archE4294967295ELNS1_3gpuE0ELNS1_3repE0EEENS1_30default_config_static_selectorELNS0_4arch9wavefront6targetE1EEEvSM_,comdat
.Lfunc_end27:
	.size	_ZN7rocprim17ROCPRIM_400000_NS6detail17trampoline_kernelINS0_14default_configENS1_22reduce_config_selectorIbEEZNS1_11reduce_implILb1ES3_N6hipcub16HIPCUB_304000_NS22TransformInputIteratorIb7NonZeroIaEPalEEPllNS8_6detail34convert_binary_result_type_wrapperINS8_3SumESD_lEEEE10hipError_tPvRmT1_T2_T3_mT4_P12ihipStream_tbEUlT_E1_NS1_11comp_targetILNS1_3genE0ELNS1_11target_archE4294967295ELNS1_3gpuE0ELNS1_3repE0EEENS1_30default_config_static_selectorELNS0_4arch9wavefront6targetE1EEEvSM_, .Lfunc_end27-_ZN7rocprim17ROCPRIM_400000_NS6detail17trampoline_kernelINS0_14default_configENS1_22reduce_config_selectorIbEEZNS1_11reduce_implILb1ES3_N6hipcub16HIPCUB_304000_NS22TransformInputIteratorIb7NonZeroIaEPalEEPllNS8_6detail34convert_binary_result_type_wrapperINS8_3SumESD_lEEEE10hipError_tPvRmT1_T2_T3_mT4_P12ihipStream_tbEUlT_E1_NS1_11comp_targetILNS1_3genE0ELNS1_11target_archE4294967295ELNS1_3gpuE0ELNS1_3repE0EEENS1_30default_config_static_selectorELNS0_4arch9wavefront6targetE1EEEvSM_
                                        ; -- End function
	.set _ZN7rocprim17ROCPRIM_400000_NS6detail17trampoline_kernelINS0_14default_configENS1_22reduce_config_selectorIbEEZNS1_11reduce_implILb1ES3_N6hipcub16HIPCUB_304000_NS22TransformInputIteratorIb7NonZeroIaEPalEEPllNS8_6detail34convert_binary_result_type_wrapperINS8_3SumESD_lEEEE10hipError_tPvRmT1_T2_T3_mT4_P12ihipStream_tbEUlT_E1_NS1_11comp_targetILNS1_3genE0ELNS1_11target_archE4294967295ELNS1_3gpuE0ELNS1_3repE0EEENS1_30default_config_static_selectorELNS0_4arch9wavefront6targetE1EEEvSM_.num_vgpr, 0
	.set _ZN7rocprim17ROCPRIM_400000_NS6detail17trampoline_kernelINS0_14default_configENS1_22reduce_config_selectorIbEEZNS1_11reduce_implILb1ES3_N6hipcub16HIPCUB_304000_NS22TransformInputIteratorIb7NonZeroIaEPalEEPllNS8_6detail34convert_binary_result_type_wrapperINS8_3SumESD_lEEEE10hipError_tPvRmT1_T2_T3_mT4_P12ihipStream_tbEUlT_E1_NS1_11comp_targetILNS1_3genE0ELNS1_11target_archE4294967295ELNS1_3gpuE0ELNS1_3repE0EEENS1_30default_config_static_selectorELNS0_4arch9wavefront6targetE1EEEvSM_.num_agpr, 0
	.set _ZN7rocprim17ROCPRIM_400000_NS6detail17trampoline_kernelINS0_14default_configENS1_22reduce_config_selectorIbEEZNS1_11reduce_implILb1ES3_N6hipcub16HIPCUB_304000_NS22TransformInputIteratorIb7NonZeroIaEPalEEPllNS8_6detail34convert_binary_result_type_wrapperINS8_3SumESD_lEEEE10hipError_tPvRmT1_T2_T3_mT4_P12ihipStream_tbEUlT_E1_NS1_11comp_targetILNS1_3genE0ELNS1_11target_archE4294967295ELNS1_3gpuE0ELNS1_3repE0EEENS1_30default_config_static_selectorELNS0_4arch9wavefront6targetE1EEEvSM_.numbered_sgpr, 0
	.set _ZN7rocprim17ROCPRIM_400000_NS6detail17trampoline_kernelINS0_14default_configENS1_22reduce_config_selectorIbEEZNS1_11reduce_implILb1ES3_N6hipcub16HIPCUB_304000_NS22TransformInputIteratorIb7NonZeroIaEPalEEPllNS8_6detail34convert_binary_result_type_wrapperINS8_3SumESD_lEEEE10hipError_tPvRmT1_T2_T3_mT4_P12ihipStream_tbEUlT_E1_NS1_11comp_targetILNS1_3genE0ELNS1_11target_archE4294967295ELNS1_3gpuE0ELNS1_3repE0EEENS1_30default_config_static_selectorELNS0_4arch9wavefront6targetE1EEEvSM_.num_named_barrier, 0
	.set _ZN7rocprim17ROCPRIM_400000_NS6detail17trampoline_kernelINS0_14default_configENS1_22reduce_config_selectorIbEEZNS1_11reduce_implILb1ES3_N6hipcub16HIPCUB_304000_NS22TransformInputIteratorIb7NonZeroIaEPalEEPllNS8_6detail34convert_binary_result_type_wrapperINS8_3SumESD_lEEEE10hipError_tPvRmT1_T2_T3_mT4_P12ihipStream_tbEUlT_E1_NS1_11comp_targetILNS1_3genE0ELNS1_11target_archE4294967295ELNS1_3gpuE0ELNS1_3repE0EEENS1_30default_config_static_selectorELNS0_4arch9wavefront6targetE1EEEvSM_.private_seg_size, 0
	.set _ZN7rocprim17ROCPRIM_400000_NS6detail17trampoline_kernelINS0_14default_configENS1_22reduce_config_selectorIbEEZNS1_11reduce_implILb1ES3_N6hipcub16HIPCUB_304000_NS22TransformInputIteratorIb7NonZeroIaEPalEEPllNS8_6detail34convert_binary_result_type_wrapperINS8_3SumESD_lEEEE10hipError_tPvRmT1_T2_T3_mT4_P12ihipStream_tbEUlT_E1_NS1_11comp_targetILNS1_3genE0ELNS1_11target_archE4294967295ELNS1_3gpuE0ELNS1_3repE0EEENS1_30default_config_static_selectorELNS0_4arch9wavefront6targetE1EEEvSM_.uses_vcc, 0
	.set _ZN7rocprim17ROCPRIM_400000_NS6detail17trampoline_kernelINS0_14default_configENS1_22reduce_config_selectorIbEEZNS1_11reduce_implILb1ES3_N6hipcub16HIPCUB_304000_NS22TransformInputIteratorIb7NonZeroIaEPalEEPllNS8_6detail34convert_binary_result_type_wrapperINS8_3SumESD_lEEEE10hipError_tPvRmT1_T2_T3_mT4_P12ihipStream_tbEUlT_E1_NS1_11comp_targetILNS1_3genE0ELNS1_11target_archE4294967295ELNS1_3gpuE0ELNS1_3repE0EEENS1_30default_config_static_selectorELNS0_4arch9wavefront6targetE1EEEvSM_.uses_flat_scratch, 0
	.set _ZN7rocprim17ROCPRIM_400000_NS6detail17trampoline_kernelINS0_14default_configENS1_22reduce_config_selectorIbEEZNS1_11reduce_implILb1ES3_N6hipcub16HIPCUB_304000_NS22TransformInputIteratorIb7NonZeroIaEPalEEPllNS8_6detail34convert_binary_result_type_wrapperINS8_3SumESD_lEEEE10hipError_tPvRmT1_T2_T3_mT4_P12ihipStream_tbEUlT_E1_NS1_11comp_targetILNS1_3genE0ELNS1_11target_archE4294967295ELNS1_3gpuE0ELNS1_3repE0EEENS1_30default_config_static_selectorELNS0_4arch9wavefront6targetE1EEEvSM_.has_dyn_sized_stack, 0
	.set _ZN7rocprim17ROCPRIM_400000_NS6detail17trampoline_kernelINS0_14default_configENS1_22reduce_config_selectorIbEEZNS1_11reduce_implILb1ES3_N6hipcub16HIPCUB_304000_NS22TransformInputIteratorIb7NonZeroIaEPalEEPllNS8_6detail34convert_binary_result_type_wrapperINS8_3SumESD_lEEEE10hipError_tPvRmT1_T2_T3_mT4_P12ihipStream_tbEUlT_E1_NS1_11comp_targetILNS1_3genE0ELNS1_11target_archE4294967295ELNS1_3gpuE0ELNS1_3repE0EEENS1_30default_config_static_selectorELNS0_4arch9wavefront6targetE1EEEvSM_.has_recursion, 0
	.set _ZN7rocprim17ROCPRIM_400000_NS6detail17trampoline_kernelINS0_14default_configENS1_22reduce_config_selectorIbEEZNS1_11reduce_implILb1ES3_N6hipcub16HIPCUB_304000_NS22TransformInputIteratorIb7NonZeroIaEPalEEPllNS8_6detail34convert_binary_result_type_wrapperINS8_3SumESD_lEEEE10hipError_tPvRmT1_T2_T3_mT4_P12ihipStream_tbEUlT_E1_NS1_11comp_targetILNS1_3genE0ELNS1_11target_archE4294967295ELNS1_3gpuE0ELNS1_3repE0EEENS1_30default_config_static_selectorELNS0_4arch9wavefront6targetE1EEEvSM_.has_indirect_call, 0
	.section	.AMDGPU.csdata,"",@progbits
; Kernel info:
; codeLenInByte = 0
; TotalNumSgprs: 4
; NumVgprs: 0
; ScratchSize: 0
; MemoryBound: 0
; FloatMode: 240
; IeeeMode: 1
; LDSByteSize: 0 bytes/workgroup (compile time only)
; SGPRBlocks: 0
; VGPRBlocks: 0
; NumSGPRsForWavesPerEU: 4
; NumVGPRsForWavesPerEU: 1
; Occupancy: 10
; WaveLimiterHint : 0
; COMPUTE_PGM_RSRC2:SCRATCH_EN: 0
; COMPUTE_PGM_RSRC2:USER_SGPR: 6
; COMPUTE_PGM_RSRC2:TRAP_HANDLER: 0
; COMPUTE_PGM_RSRC2:TGID_X_EN: 1
; COMPUTE_PGM_RSRC2:TGID_Y_EN: 0
; COMPUTE_PGM_RSRC2:TGID_Z_EN: 0
; COMPUTE_PGM_RSRC2:TIDIG_COMP_CNT: 0
	.section	.text._ZN7rocprim17ROCPRIM_400000_NS6detail17trampoline_kernelINS0_14default_configENS1_22reduce_config_selectorIbEEZNS1_11reduce_implILb1ES3_N6hipcub16HIPCUB_304000_NS22TransformInputIteratorIb7NonZeroIaEPalEEPllNS8_6detail34convert_binary_result_type_wrapperINS8_3SumESD_lEEEE10hipError_tPvRmT1_T2_T3_mT4_P12ihipStream_tbEUlT_E1_NS1_11comp_targetILNS1_3genE5ELNS1_11target_archE942ELNS1_3gpuE9ELNS1_3repE0EEENS1_30default_config_static_selectorELNS0_4arch9wavefront6targetE1EEEvSM_,"axG",@progbits,_ZN7rocprim17ROCPRIM_400000_NS6detail17trampoline_kernelINS0_14default_configENS1_22reduce_config_selectorIbEEZNS1_11reduce_implILb1ES3_N6hipcub16HIPCUB_304000_NS22TransformInputIteratorIb7NonZeroIaEPalEEPllNS8_6detail34convert_binary_result_type_wrapperINS8_3SumESD_lEEEE10hipError_tPvRmT1_T2_T3_mT4_P12ihipStream_tbEUlT_E1_NS1_11comp_targetILNS1_3genE5ELNS1_11target_archE942ELNS1_3gpuE9ELNS1_3repE0EEENS1_30default_config_static_selectorELNS0_4arch9wavefront6targetE1EEEvSM_,comdat
	.protected	_ZN7rocprim17ROCPRIM_400000_NS6detail17trampoline_kernelINS0_14default_configENS1_22reduce_config_selectorIbEEZNS1_11reduce_implILb1ES3_N6hipcub16HIPCUB_304000_NS22TransformInputIteratorIb7NonZeroIaEPalEEPllNS8_6detail34convert_binary_result_type_wrapperINS8_3SumESD_lEEEE10hipError_tPvRmT1_T2_T3_mT4_P12ihipStream_tbEUlT_E1_NS1_11comp_targetILNS1_3genE5ELNS1_11target_archE942ELNS1_3gpuE9ELNS1_3repE0EEENS1_30default_config_static_selectorELNS0_4arch9wavefront6targetE1EEEvSM_ ; -- Begin function _ZN7rocprim17ROCPRIM_400000_NS6detail17trampoline_kernelINS0_14default_configENS1_22reduce_config_selectorIbEEZNS1_11reduce_implILb1ES3_N6hipcub16HIPCUB_304000_NS22TransformInputIteratorIb7NonZeroIaEPalEEPllNS8_6detail34convert_binary_result_type_wrapperINS8_3SumESD_lEEEE10hipError_tPvRmT1_T2_T3_mT4_P12ihipStream_tbEUlT_E1_NS1_11comp_targetILNS1_3genE5ELNS1_11target_archE942ELNS1_3gpuE9ELNS1_3repE0EEENS1_30default_config_static_selectorELNS0_4arch9wavefront6targetE1EEEvSM_
	.globl	_ZN7rocprim17ROCPRIM_400000_NS6detail17trampoline_kernelINS0_14default_configENS1_22reduce_config_selectorIbEEZNS1_11reduce_implILb1ES3_N6hipcub16HIPCUB_304000_NS22TransformInputIteratorIb7NonZeroIaEPalEEPllNS8_6detail34convert_binary_result_type_wrapperINS8_3SumESD_lEEEE10hipError_tPvRmT1_T2_T3_mT4_P12ihipStream_tbEUlT_E1_NS1_11comp_targetILNS1_3genE5ELNS1_11target_archE942ELNS1_3gpuE9ELNS1_3repE0EEENS1_30default_config_static_selectorELNS0_4arch9wavefront6targetE1EEEvSM_
	.p2align	8
	.type	_ZN7rocprim17ROCPRIM_400000_NS6detail17trampoline_kernelINS0_14default_configENS1_22reduce_config_selectorIbEEZNS1_11reduce_implILb1ES3_N6hipcub16HIPCUB_304000_NS22TransformInputIteratorIb7NonZeroIaEPalEEPllNS8_6detail34convert_binary_result_type_wrapperINS8_3SumESD_lEEEE10hipError_tPvRmT1_T2_T3_mT4_P12ihipStream_tbEUlT_E1_NS1_11comp_targetILNS1_3genE5ELNS1_11target_archE942ELNS1_3gpuE9ELNS1_3repE0EEENS1_30default_config_static_selectorELNS0_4arch9wavefront6targetE1EEEvSM_,@function
_ZN7rocprim17ROCPRIM_400000_NS6detail17trampoline_kernelINS0_14default_configENS1_22reduce_config_selectorIbEEZNS1_11reduce_implILb1ES3_N6hipcub16HIPCUB_304000_NS22TransformInputIteratorIb7NonZeroIaEPalEEPllNS8_6detail34convert_binary_result_type_wrapperINS8_3SumESD_lEEEE10hipError_tPvRmT1_T2_T3_mT4_P12ihipStream_tbEUlT_E1_NS1_11comp_targetILNS1_3genE5ELNS1_11target_archE942ELNS1_3gpuE9ELNS1_3repE0EEENS1_30default_config_static_selectorELNS0_4arch9wavefront6targetE1EEEvSM_: ; @_ZN7rocprim17ROCPRIM_400000_NS6detail17trampoline_kernelINS0_14default_configENS1_22reduce_config_selectorIbEEZNS1_11reduce_implILb1ES3_N6hipcub16HIPCUB_304000_NS22TransformInputIteratorIb7NonZeroIaEPalEEPllNS8_6detail34convert_binary_result_type_wrapperINS8_3SumESD_lEEEE10hipError_tPvRmT1_T2_T3_mT4_P12ihipStream_tbEUlT_E1_NS1_11comp_targetILNS1_3genE5ELNS1_11target_archE942ELNS1_3gpuE9ELNS1_3repE0EEENS1_30default_config_static_selectorELNS0_4arch9wavefront6targetE1EEEvSM_
; %bb.0:
	.section	.rodata,"a",@progbits
	.p2align	6, 0x0
	.amdhsa_kernel _ZN7rocprim17ROCPRIM_400000_NS6detail17trampoline_kernelINS0_14default_configENS1_22reduce_config_selectorIbEEZNS1_11reduce_implILb1ES3_N6hipcub16HIPCUB_304000_NS22TransformInputIteratorIb7NonZeroIaEPalEEPllNS8_6detail34convert_binary_result_type_wrapperINS8_3SumESD_lEEEE10hipError_tPvRmT1_T2_T3_mT4_P12ihipStream_tbEUlT_E1_NS1_11comp_targetILNS1_3genE5ELNS1_11target_archE942ELNS1_3gpuE9ELNS1_3repE0EEENS1_30default_config_static_selectorELNS0_4arch9wavefront6targetE1EEEvSM_
		.amdhsa_group_segment_fixed_size 0
		.amdhsa_private_segment_fixed_size 0
		.amdhsa_kernarg_size 56
		.amdhsa_user_sgpr_count 6
		.amdhsa_user_sgpr_private_segment_buffer 1
		.amdhsa_user_sgpr_dispatch_ptr 0
		.amdhsa_user_sgpr_queue_ptr 0
		.amdhsa_user_sgpr_kernarg_segment_ptr 1
		.amdhsa_user_sgpr_dispatch_id 0
		.amdhsa_user_sgpr_flat_scratch_init 0
		.amdhsa_user_sgpr_private_segment_size 0
		.amdhsa_uses_dynamic_stack 0
		.amdhsa_system_sgpr_private_segment_wavefront_offset 0
		.amdhsa_system_sgpr_workgroup_id_x 1
		.amdhsa_system_sgpr_workgroup_id_y 0
		.amdhsa_system_sgpr_workgroup_id_z 0
		.amdhsa_system_sgpr_workgroup_info 0
		.amdhsa_system_vgpr_workitem_id 0
		.amdhsa_next_free_vgpr 1
		.amdhsa_next_free_sgpr 0
		.amdhsa_reserve_vcc 0
		.amdhsa_reserve_flat_scratch 0
		.amdhsa_float_round_mode_32 0
		.amdhsa_float_round_mode_16_64 0
		.amdhsa_float_denorm_mode_32 3
		.amdhsa_float_denorm_mode_16_64 3
		.amdhsa_dx10_clamp 1
		.amdhsa_ieee_mode 1
		.amdhsa_fp16_overflow 0
		.amdhsa_exception_fp_ieee_invalid_op 0
		.amdhsa_exception_fp_denorm_src 0
		.amdhsa_exception_fp_ieee_div_zero 0
		.amdhsa_exception_fp_ieee_overflow 0
		.amdhsa_exception_fp_ieee_underflow 0
		.amdhsa_exception_fp_ieee_inexact 0
		.amdhsa_exception_int_div_zero 0
	.end_amdhsa_kernel
	.section	.text._ZN7rocprim17ROCPRIM_400000_NS6detail17trampoline_kernelINS0_14default_configENS1_22reduce_config_selectorIbEEZNS1_11reduce_implILb1ES3_N6hipcub16HIPCUB_304000_NS22TransformInputIteratorIb7NonZeroIaEPalEEPllNS8_6detail34convert_binary_result_type_wrapperINS8_3SumESD_lEEEE10hipError_tPvRmT1_T2_T3_mT4_P12ihipStream_tbEUlT_E1_NS1_11comp_targetILNS1_3genE5ELNS1_11target_archE942ELNS1_3gpuE9ELNS1_3repE0EEENS1_30default_config_static_selectorELNS0_4arch9wavefront6targetE1EEEvSM_,"axG",@progbits,_ZN7rocprim17ROCPRIM_400000_NS6detail17trampoline_kernelINS0_14default_configENS1_22reduce_config_selectorIbEEZNS1_11reduce_implILb1ES3_N6hipcub16HIPCUB_304000_NS22TransformInputIteratorIb7NonZeroIaEPalEEPllNS8_6detail34convert_binary_result_type_wrapperINS8_3SumESD_lEEEE10hipError_tPvRmT1_T2_T3_mT4_P12ihipStream_tbEUlT_E1_NS1_11comp_targetILNS1_3genE5ELNS1_11target_archE942ELNS1_3gpuE9ELNS1_3repE0EEENS1_30default_config_static_selectorELNS0_4arch9wavefront6targetE1EEEvSM_,comdat
.Lfunc_end28:
	.size	_ZN7rocprim17ROCPRIM_400000_NS6detail17trampoline_kernelINS0_14default_configENS1_22reduce_config_selectorIbEEZNS1_11reduce_implILb1ES3_N6hipcub16HIPCUB_304000_NS22TransformInputIteratorIb7NonZeroIaEPalEEPllNS8_6detail34convert_binary_result_type_wrapperINS8_3SumESD_lEEEE10hipError_tPvRmT1_T2_T3_mT4_P12ihipStream_tbEUlT_E1_NS1_11comp_targetILNS1_3genE5ELNS1_11target_archE942ELNS1_3gpuE9ELNS1_3repE0EEENS1_30default_config_static_selectorELNS0_4arch9wavefront6targetE1EEEvSM_, .Lfunc_end28-_ZN7rocprim17ROCPRIM_400000_NS6detail17trampoline_kernelINS0_14default_configENS1_22reduce_config_selectorIbEEZNS1_11reduce_implILb1ES3_N6hipcub16HIPCUB_304000_NS22TransformInputIteratorIb7NonZeroIaEPalEEPllNS8_6detail34convert_binary_result_type_wrapperINS8_3SumESD_lEEEE10hipError_tPvRmT1_T2_T3_mT4_P12ihipStream_tbEUlT_E1_NS1_11comp_targetILNS1_3genE5ELNS1_11target_archE942ELNS1_3gpuE9ELNS1_3repE0EEENS1_30default_config_static_selectorELNS0_4arch9wavefront6targetE1EEEvSM_
                                        ; -- End function
	.set _ZN7rocprim17ROCPRIM_400000_NS6detail17trampoline_kernelINS0_14default_configENS1_22reduce_config_selectorIbEEZNS1_11reduce_implILb1ES3_N6hipcub16HIPCUB_304000_NS22TransformInputIteratorIb7NonZeroIaEPalEEPllNS8_6detail34convert_binary_result_type_wrapperINS8_3SumESD_lEEEE10hipError_tPvRmT1_T2_T3_mT4_P12ihipStream_tbEUlT_E1_NS1_11comp_targetILNS1_3genE5ELNS1_11target_archE942ELNS1_3gpuE9ELNS1_3repE0EEENS1_30default_config_static_selectorELNS0_4arch9wavefront6targetE1EEEvSM_.num_vgpr, 0
	.set _ZN7rocprim17ROCPRIM_400000_NS6detail17trampoline_kernelINS0_14default_configENS1_22reduce_config_selectorIbEEZNS1_11reduce_implILb1ES3_N6hipcub16HIPCUB_304000_NS22TransformInputIteratorIb7NonZeroIaEPalEEPllNS8_6detail34convert_binary_result_type_wrapperINS8_3SumESD_lEEEE10hipError_tPvRmT1_T2_T3_mT4_P12ihipStream_tbEUlT_E1_NS1_11comp_targetILNS1_3genE5ELNS1_11target_archE942ELNS1_3gpuE9ELNS1_3repE0EEENS1_30default_config_static_selectorELNS0_4arch9wavefront6targetE1EEEvSM_.num_agpr, 0
	.set _ZN7rocprim17ROCPRIM_400000_NS6detail17trampoline_kernelINS0_14default_configENS1_22reduce_config_selectorIbEEZNS1_11reduce_implILb1ES3_N6hipcub16HIPCUB_304000_NS22TransformInputIteratorIb7NonZeroIaEPalEEPllNS8_6detail34convert_binary_result_type_wrapperINS8_3SumESD_lEEEE10hipError_tPvRmT1_T2_T3_mT4_P12ihipStream_tbEUlT_E1_NS1_11comp_targetILNS1_3genE5ELNS1_11target_archE942ELNS1_3gpuE9ELNS1_3repE0EEENS1_30default_config_static_selectorELNS0_4arch9wavefront6targetE1EEEvSM_.numbered_sgpr, 0
	.set _ZN7rocprim17ROCPRIM_400000_NS6detail17trampoline_kernelINS0_14default_configENS1_22reduce_config_selectorIbEEZNS1_11reduce_implILb1ES3_N6hipcub16HIPCUB_304000_NS22TransformInputIteratorIb7NonZeroIaEPalEEPllNS8_6detail34convert_binary_result_type_wrapperINS8_3SumESD_lEEEE10hipError_tPvRmT1_T2_T3_mT4_P12ihipStream_tbEUlT_E1_NS1_11comp_targetILNS1_3genE5ELNS1_11target_archE942ELNS1_3gpuE9ELNS1_3repE0EEENS1_30default_config_static_selectorELNS0_4arch9wavefront6targetE1EEEvSM_.num_named_barrier, 0
	.set _ZN7rocprim17ROCPRIM_400000_NS6detail17trampoline_kernelINS0_14default_configENS1_22reduce_config_selectorIbEEZNS1_11reduce_implILb1ES3_N6hipcub16HIPCUB_304000_NS22TransformInputIteratorIb7NonZeroIaEPalEEPllNS8_6detail34convert_binary_result_type_wrapperINS8_3SumESD_lEEEE10hipError_tPvRmT1_T2_T3_mT4_P12ihipStream_tbEUlT_E1_NS1_11comp_targetILNS1_3genE5ELNS1_11target_archE942ELNS1_3gpuE9ELNS1_3repE0EEENS1_30default_config_static_selectorELNS0_4arch9wavefront6targetE1EEEvSM_.private_seg_size, 0
	.set _ZN7rocprim17ROCPRIM_400000_NS6detail17trampoline_kernelINS0_14default_configENS1_22reduce_config_selectorIbEEZNS1_11reduce_implILb1ES3_N6hipcub16HIPCUB_304000_NS22TransformInputIteratorIb7NonZeroIaEPalEEPllNS8_6detail34convert_binary_result_type_wrapperINS8_3SumESD_lEEEE10hipError_tPvRmT1_T2_T3_mT4_P12ihipStream_tbEUlT_E1_NS1_11comp_targetILNS1_3genE5ELNS1_11target_archE942ELNS1_3gpuE9ELNS1_3repE0EEENS1_30default_config_static_selectorELNS0_4arch9wavefront6targetE1EEEvSM_.uses_vcc, 0
	.set _ZN7rocprim17ROCPRIM_400000_NS6detail17trampoline_kernelINS0_14default_configENS1_22reduce_config_selectorIbEEZNS1_11reduce_implILb1ES3_N6hipcub16HIPCUB_304000_NS22TransformInputIteratorIb7NonZeroIaEPalEEPllNS8_6detail34convert_binary_result_type_wrapperINS8_3SumESD_lEEEE10hipError_tPvRmT1_T2_T3_mT4_P12ihipStream_tbEUlT_E1_NS1_11comp_targetILNS1_3genE5ELNS1_11target_archE942ELNS1_3gpuE9ELNS1_3repE0EEENS1_30default_config_static_selectorELNS0_4arch9wavefront6targetE1EEEvSM_.uses_flat_scratch, 0
	.set _ZN7rocprim17ROCPRIM_400000_NS6detail17trampoline_kernelINS0_14default_configENS1_22reduce_config_selectorIbEEZNS1_11reduce_implILb1ES3_N6hipcub16HIPCUB_304000_NS22TransformInputIteratorIb7NonZeroIaEPalEEPllNS8_6detail34convert_binary_result_type_wrapperINS8_3SumESD_lEEEE10hipError_tPvRmT1_T2_T3_mT4_P12ihipStream_tbEUlT_E1_NS1_11comp_targetILNS1_3genE5ELNS1_11target_archE942ELNS1_3gpuE9ELNS1_3repE0EEENS1_30default_config_static_selectorELNS0_4arch9wavefront6targetE1EEEvSM_.has_dyn_sized_stack, 0
	.set _ZN7rocprim17ROCPRIM_400000_NS6detail17trampoline_kernelINS0_14default_configENS1_22reduce_config_selectorIbEEZNS1_11reduce_implILb1ES3_N6hipcub16HIPCUB_304000_NS22TransformInputIteratorIb7NonZeroIaEPalEEPllNS8_6detail34convert_binary_result_type_wrapperINS8_3SumESD_lEEEE10hipError_tPvRmT1_T2_T3_mT4_P12ihipStream_tbEUlT_E1_NS1_11comp_targetILNS1_3genE5ELNS1_11target_archE942ELNS1_3gpuE9ELNS1_3repE0EEENS1_30default_config_static_selectorELNS0_4arch9wavefront6targetE1EEEvSM_.has_recursion, 0
	.set _ZN7rocprim17ROCPRIM_400000_NS6detail17trampoline_kernelINS0_14default_configENS1_22reduce_config_selectorIbEEZNS1_11reduce_implILb1ES3_N6hipcub16HIPCUB_304000_NS22TransformInputIteratorIb7NonZeroIaEPalEEPllNS8_6detail34convert_binary_result_type_wrapperINS8_3SumESD_lEEEE10hipError_tPvRmT1_T2_T3_mT4_P12ihipStream_tbEUlT_E1_NS1_11comp_targetILNS1_3genE5ELNS1_11target_archE942ELNS1_3gpuE9ELNS1_3repE0EEENS1_30default_config_static_selectorELNS0_4arch9wavefront6targetE1EEEvSM_.has_indirect_call, 0
	.section	.AMDGPU.csdata,"",@progbits
; Kernel info:
; codeLenInByte = 0
; TotalNumSgprs: 4
; NumVgprs: 0
; ScratchSize: 0
; MemoryBound: 0
; FloatMode: 240
; IeeeMode: 1
; LDSByteSize: 0 bytes/workgroup (compile time only)
; SGPRBlocks: 0
; VGPRBlocks: 0
; NumSGPRsForWavesPerEU: 4
; NumVGPRsForWavesPerEU: 1
; Occupancy: 10
; WaveLimiterHint : 0
; COMPUTE_PGM_RSRC2:SCRATCH_EN: 0
; COMPUTE_PGM_RSRC2:USER_SGPR: 6
; COMPUTE_PGM_RSRC2:TRAP_HANDLER: 0
; COMPUTE_PGM_RSRC2:TGID_X_EN: 1
; COMPUTE_PGM_RSRC2:TGID_Y_EN: 0
; COMPUTE_PGM_RSRC2:TGID_Z_EN: 0
; COMPUTE_PGM_RSRC2:TIDIG_COMP_CNT: 0
	.section	.text._ZN7rocprim17ROCPRIM_400000_NS6detail17trampoline_kernelINS0_14default_configENS1_22reduce_config_selectorIbEEZNS1_11reduce_implILb1ES3_N6hipcub16HIPCUB_304000_NS22TransformInputIteratorIb7NonZeroIaEPalEEPllNS8_6detail34convert_binary_result_type_wrapperINS8_3SumESD_lEEEE10hipError_tPvRmT1_T2_T3_mT4_P12ihipStream_tbEUlT_E1_NS1_11comp_targetILNS1_3genE4ELNS1_11target_archE910ELNS1_3gpuE8ELNS1_3repE0EEENS1_30default_config_static_selectorELNS0_4arch9wavefront6targetE1EEEvSM_,"axG",@progbits,_ZN7rocprim17ROCPRIM_400000_NS6detail17trampoline_kernelINS0_14default_configENS1_22reduce_config_selectorIbEEZNS1_11reduce_implILb1ES3_N6hipcub16HIPCUB_304000_NS22TransformInputIteratorIb7NonZeroIaEPalEEPllNS8_6detail34convert_binary_result_type_wrapperINS8_3SumESD_lEEEE10hipError_tPvRmT1_T2_T3_mT4_P12ihipStream_tbEUlT_E1_NS1_11comp_targetILNS1_3genE4ELNS1_11target_archE910ELNS1_3gpuE8ELNS1_3repE0EEENS1_30default_config_static_selectorELNS0_4arch9wavefront6targetE1EEEvSM_,comdat
	.protected	_ZN7rocprim17ROCPRIM_400000_NS6detail17trampoline_kernelINS0_14default_configENS1_22reduce_config_selectorIbEEZNS1_11reduce_implILb1ES3_N6hipcub16HIPCUB_304000_NS22TransformInputIteratorIb7NonZeroIaEPalEEPllNS8_6detail34convert_binary_result_type_wrapperINS8_3SumESD_lEEEE10hipError_tPvRmT1_T2_T3_mT4_P12ihipStream_tbEUlT_E1_NS1_11comp_targetILNS1_3genE4ELNS1_11target_archE910ELNS1_3gpuE8ELNS1_3repE0EEENS1_30default_config_static_selectorELNS0_4arch9wavefront6targetE1EEEvSM_ ; -- Begin function _ZN7rocprim17ROCPRIM_400000_NS6detail17trampoline_kernelINS0_14default_configENS1_22reduce_config_selectorIbEEZNS1_11reduce_implILb1ES3_N6hipcub16HIPCUB_304000_NS22TransformInputIteratorIb7NonZeroIaEPalEEPllNS8_6detail34convert_binary_result_type_wrapperINS8_3SumESD_lEEEE10hipError_tPvRmT1_T2_T3_mT4_P12ihipStream_tbEUlT_E1_NS1_11comp_targetILNS1_3genE4ELNS1_11target_archE910ELNS1_3gpuE8ELNS1_3repE0EEENS1_30default_config_static_selectorELNS0_4arch9wavefront6targetE1EEEvSM_
	.globl	_ZN7rocprim17ROCPRIM_400000_NS6detail17trampoline_kernelINS0_14default_configENS1_22reduce_config_selectorIbEEZNS1_11reduce_implILb1ES3_N6hipcub16HIPCUB_304000_NS22TransformInputIteratorIb7NonZeroIaEPalEEPllNS8_6detail34convert_binary_result_type_wrapperINS8_3SumESD_lEEEE10hipError_tPvRmT1_T2_T3_mT4_P12ihipStream_tbEUlT_E1_NS1_11comp_targetILNS1_3genE4ELNS1_11target_archE910ELNS1_3gpuE8ELNS1_3repE0EEENS1_30default_config_static_selectorELNS0_4arch9wavefront6targetE1EEEvSM_
	.p2align	8
	.type	_ZN7rocprim17ROCPRIM_400000_NS6detail17trampoline_kernelINS0_14default_configENS1_22reduce_config_selectorIbEEZNS1_11reduce_implILb1ES3_N6hipcub16HIPCUB_304000_NS22TransformInputIteratorIb7NonZeroIaEPalEEPllNS8_6detail34convert_binary_result_type_wrapperINS8_3SumESD_lEEEE10hipError_tPvRmT1_T2_T3_mT4_P12ihipStream_tbEUlT_E1_NS1_11comp_targetILNS1_3genE4ELNS1_11target_archE910ELNS1_3gpuE8ELNS1_3repE0EEENS1_30default_config_static_selectorELNS0_4arch9wavefront6targetE1EEEvSM_,@function
_ZN7rocprim17ROCPRIM_400000_NS6detail17trampoline_kernelINS0_14default_configENS1_22reduce_config_selectorIbEEZNS1_11reduce_implILb1ES3_N6hipcub16HIPCUB_304000_NS22TransformInputIteratorIb7NonZeroIaEPalEEPllNS8_6detail34convert_binary_result_type_wrapperINS8_3SumESD_lEEEE10hipError_tPvRmT1_T2_T3_mT4_P12ihipStream_tbEUlT_E1_NS1_11comp_targetILNS1_3genE4ELNS1_11target_archE910ELNS1_3gpuE8ELNS1_3repE0EEENS1_30default_config_static_selectorELNS0_4arch9wavefront6targetE1EEEvSM_: ; @_ZN7rocprim17ROCPRIM_400000_NS6detail17trampoline_kernelINS0_14default_configENS1_22reduce_config_selectorIbEEZNS1_11reduce_implILb1ES3_N6hipcub16HIPCUB_304000_NS22TransformInputIteratorIb7NonZeroIaEPalEEPllNS8_6detail34convert_binary_result_type_wrapperINS8_3SumESD_lEEEE10hipError_tPvRmT1_T2_T3_mT4_P12ihipStream_tbEUlT_E1_NS1_11comp_targetILNS1_3genE4ELNS1_11target_archE910ELNS1_3gpuE8ELNS1_3repE0EEENS1_30default_config_static_selectorELNS0_4arch9wavefront6targetE1EEEvSM_
; %bb.0:
	.section	.rodata,"a",@progbits
	.p2align	6, 0x0
	.amdhsa_kernel _ZN7rocprim17ROCPRIM_400000_NS6detail17trampoline_kernelINS0_14default_configENS1_22reduce_config_selectorIbEEZNS1_11reduce_implILb1ES3_N6hipcub16HIPCUB_304000_NS22TransformInputIteratorIb7NonZeroIaEPalEEPllNS8_6detail34convert_binary_result_type_wrapperINS8_3SumESD_lEEEE10hipError_tPvRmT1_T2_T3_mT4_P12ihipStream_tbEUlT_E1_NS1_11comp_targetILNS1_3genE4ELNS1_11target_archE910ELNS1_3gpuE8ELNS1_3repE0EEENS1_30default_config_static_selectorELNS0_4arch9wavefront6targetE1EEEvSM_
		.amdhsa_group_segment_fixed_size 0
		.amdhsa_private_segment_fixed_size 0
		.amdhsa_kernarg_size 56
		.amdhsa_user_sgpr_count 6
		.amdhsa_user_sgpr_private_segment_buffer 1
		.amdhsa_user_sgpr_dispatch_ptr 0
		.amdhsa_user_sgpr_queue_ptr 0
		.amdhsa_user_sgpr_kernarg_segment_ptr 1
		.amdhsa_user_sgpr_dispatch_id 0
		.amdhsa_user_sgpr_flat_scratch_init 0
		.amdhsa_user_sgpr_private_segment_size 0
		.amdhsa_uses_dynamic_stack 0
		.amdhsa_system_sgpr_private_segment_wavefront_offset 0
		.amdhsa_system_sgpr_workgroup_id_x 1
		.amdhsa_system_sgpr_workgroup_id_y 0
		.amdhsa_system_sgpr_workgroup_id_z 0
		.amdhsa_system_sgpr_workgroup_info 0
		.amdhsa_system_vgpr_workitem_id 0
		.amdhsa_next_free_vgpr 1
		.amdhsa_next_free_sgpr 0
		.amdhsa_reserve_vcc 0
		.amdhsa_reserve_flat_scratch 0
		.amdhsa_float_round_mode_32 0
		.amdhsa_float_round_mode_16_64 0
		.amdhsa_float_denorm_mode_32 3
		.amdhsa_float_denorm_mode_16_64 3
		.amdhsa_dx10_clamp 1
		.amdhsa_ieee_mode 1
		.amdhsa_fp16_overflow 0
		.amdhsa_exception_fp_ieee_invalid_op 0
		.amdhsa_exception_fp_denorm_src 0
		.amdhsa_exception_fp_ieee_div_zero 0
		.amdhsa_exception_fp_ieee_overflow 0
		.amdhsa_exception_fp_ieee_underflow 0
		.amdhsa_exception_fp_ieee_inexact 0
		.amdhsa_exception_int_div_zero 0
	.end_amdhsa_kernel
	.section	.text._ZN7rocprim17ROCPRIM_400000_NS6detail17trampoline_kernelINS0_14default_configENS1_22reduce_config_selectorIbEEZNS1_11reduce_implILb1ES3_N6hipcub16HIPCUB_304000_NS22TransformInputIteratorIb7NonZeroIaEPalEEPllNS8_6detail34convert_binary_result_type_wrapperINS8_3SumESD_lEEEE10hipError_tPvRmT1_T2_T3_mT4_P12ihipStream_tbEUlT_E1_NS1_11comp_targetILNS1_3genE4ELNS1_11target_archE910ELNS1_3gpuE8ELNS1_3repE0EEENS1_30default_config_static_selectorELNS0_4arch9wavefront6targetE1EEEvSM_,"axG",@progbits,_ZN7rocprim17ROCPRIM_400000_NS6detail17trampoline_kernelINS0_14default_configENS1_22reduce_config_selectorIbEEZNS1_11reduce_implILb1ES3_N6hipcub16HIPCUB_304000_NS22TransformInputIteratorIb7NonZeroIaEPalEEPllNS8_6detail34convert_binary_result_type_wrapperINS8_3SumESD_lEEEE10hipError_tPvRmT1_T2_T3_mT4_P12ihipStream_tbEUlT_E1_NS1_11comp_targetILNS1_3genE4ELNS1_11target_archE910ELNS1_3gpuE8ELNS1_3repE0EEENS1_30default_config_static_selectorELNS0_4arch9wavefront6targetE1EEEvSM_,comdat
.Lfunc_end29:
	.size	_ZN7rocprim17ROCPRIM_400000_NS6detail17trampoline_kernelINS0_14default_configENS1_22reduce_config_selectorIbEEZNS1_11reduce_implILb1ES3_N6hipcub16HIPCUB_304000_NS22TransformInputIteratorIb7NonZeroIaEPalEEPllNS8_6detail34convert_binary_result_type_wrapperINS8_3SumESD_lEEEE10hipError_tPvRmT1_T2_T3_mT4_P12ihipStream_tbEUlT_E1_NS1_11comp_targetILNS1_3genE4ELNS1_11target_archE910ELNS1_3gpuE8ELNS1_3repE0EEENS1_30default_config_static_selectorELNS0_4arch9wavefront6targetE1EEEvSM_, .Lfunc_end29-_ZN7rocprim17ROCPRIM_400000_NS6detail17trampoline_kernelINS0_14default_configENS1_22reduce_config_selectorIbEEZNS1_11reduce_implILb1ES3_N6hipcub16HIPCUB_304000_NS22TransformInputIteratorIb7NonZeroIaEPalEEPllNS8_6detail34convert_binary_result_type_wrapperINS8_3SumESD_lEEEE10hipError_tPvRmT1_T2_T3_mT4_P12ihipStream_tbEUlT_E1_NS1_11comp_targetILNS1_3genE4ELNS1_11target_archE910ELNS1_3gpuE8ELNS1_3repE0EEENS1_30default_config_static_selectorELNS0_4arch9wavefront6targetE1EEEvSM_
                                        ; -- End function
	.set _ZN7rocprim17ROCPRIM_400000_NS6detail17trampoline_kernelINS0_14default_configENS1_22reduce_config_selectorIbEEZNS1_11reduce_implILb1ES3_N6hipcub16HIPCUB_304000_NS22TransformInputIteratorIb7NonZeroIaEPalEEPllNS8_6detail34convert_binary_result_type_wrapperINS8_3SumESD_lEEEE10hipError_tPvRmT1_T2_T3_mT4_P12ihipStream_tbEUlT_E1_NS1_11comp_targetILNS1_3genE4ELNS1_11target_archE910ELNS1_3gpuE8ELNS1_3repE0EEENS1_30default_config_static_selectorELNS0_4arch9wavefront6targetE1EEEvSM_.num_vgpr, 0
	.set _ZN7rocprim17ROCPRIM_400000_NS6detail17trampoline_kernelINS0_14default_configENS1_22reduce_config_selectorIbEEZNS1_11reduce_implILb1ES3_N6hipcub16HIPCUB_304000_NS22TransformInputIteratorIb7NonZeroIaEPalEEPllNS8_6detail34convert_binary_result_type_wrapperINS8_3SumESD_lEEEE10hipError_tPvRmT1_T2_T3_mT4_P12ihipStream_tbEUlT_E1_NS1_11comp_targetILNS1_3genE4ELNS1_11target_archE910ELNS1_3gpuE8ELNS1_3repE0EEENS1_30default_config_static_selectorELNS0_4arch9wavefront6targetE1EEEvSM_.num_agpr, 0
	.set _ZN7rocprim17ROCPRIM_400000_NS6detail17trampoline_kernelINS0_14default_configENS1_22reduce_config_selectorIbEEZNS1_11reduce_implILb1ES3_N6hipcub16HIPCUB_304000_NS22TransformInputIteratorIb7NonZeroIaEPalEEPllNS8_6detail34convert_binary_result_type_wrapperINS8_3SumESD_lEEEE10hipError_tPvRmT1_T2_T3_mT4_P12ihipStream_tbEUlT_E1_NS1_11comp_targetILNS1_3genE4ELNS1_11target_archE910ELNS1_3gpuE8ELNS1_3repE0EEENS1_30default_config_static_selectorELNS0_4arch9wavefront6targetE1EEEvSM_.numbered_sgpr, 0
	.set _ZN7rocprim17ROCPRIM_400000_NS6detail17trampoline_kernelINS0_14default_configENS1_22reduce_config_selectorIbEEZNS1_11reduce_implILb1ES3_N6hipcub16HIPCUB_304000_NS22TransformInputIteratorIb7NonZeroIaEPalEEPllNS8_6detail34convert_binary_result_type_wrapperINS8_3SumESD_lEEEE10hipError_tPvRmT1_T2_T3_mT4_P12ihipStream_tbEUlT_E1_NS1_11comp_targetILNS1_3genE4ELNS1_11target_archE910ELNS1_3gpuE8ELNS1_3repE0EEENS1_30default_config_static_selectorELNS0_4arch9wavefront6targetE1EEEvSM_.num_named_barrier, 0
	.set _ZN7rocprim17ROCPRIM_400000_NS6detail17trampoline_kernelINS0_14default_configENS1_22reduce_config_selectorIbEEZNS1_11reduce_implILb1ES3_N6hipcub16HIPCUB_304000_NS22TransformInputIteratorIb7NonZeroIaEPalEEPllNS8_6detail34convert_binary_result_type_wrapperINS8_3SumESD_lEEEE10hipError_tPvRmT1_T2_T3_mT4_P12ihipStream_tbEUlT_E1_NS1_11comp_targetILNS1_3genE4ELNS1_11target_archE910ELNS1_3gpuE8ELNS1_3repE0EEENS1_30default_config_static_selectorELNS0_4arch9wavefront6targetE1EEEvSM_.private_seg_size, 0
	.set _ZN7rocprim17ROCPRIM_400000_NS6detail17trampoline_kernelINS0_14default_configENS1_22reduce_config_selectorIbEEZNS1_11reduce_implILb1ES3_N6hipcub16HIPCUB_304000_NS22TransformInputIteratorIb7NonZeroIaEPalEEPllNS8_6detail34convert_binary_result_type_wrapperINS8_3SumESD_lEEEE10hipError_tPvRmT1_T2_T3_mT4_P12ihipStream_tbEUlT_E1_NS1_11comp_targetILNS1_3genE4ELNS1_11target_archE910ELNS1_3gpuE8ELNS1_3repE0EEENS1_30default_config_static_selectorELNS0_4arch9wavefront6targetE1EEEvSM_.uses_vcc, 0
	.set _ZN7rocprim17ROCPRIM_400000_NS6detail17trampoline_kernelINS0_14default_configENS1_22reduce_config_selectorIbEEZNS1_11reduce_implILb1ES3_N6hipcub16HIPCUB_304000_NS22TransformInputIteratorIb7NonZeroIaEPalEEPllNS8_6detail34convert_binary_result_type_wrapperINS8_3SumESD_lEEEE10hipError_tPvRmT1_T2_T3_mT4_P12ihipStream_tbEUlT_E1_NS1_11comp_targetILNS1_3genE4ELNS1_11target_archE910ELNS1_3gpuE8ELNS1_3repE0EEENS1_30default_config_static_selectorELNS0_4arch9wavefront6targetE1EEEvSM_.uses_flat_scratch, 0
	.set _ZN7rocprim17ROCPRIM_400000_NS6detail17trampoline_kernelINS0_14default_configENS1_22reduce_config_selectorIbEEZNS1_11reduce_implILb1ES3_N6hipcub16HIPCUB_304000_NS22TransformInputIteratorIb7NonZeroIaEPalEEPllNS8_6detail34convert_binary_result_type_wrapperINS8_3SumESD_lEEEE10hipError_tPvRmT1_T2_T3_mT4_P12ihipStream_tbEUlT_E1_NS1_11comp_targetILNS1_3genE4ELNS1_11target_archE910ELNS1_3gpuE8ELNS1_3repE0EEENS1_30default_config_static_selectorELNS0_4arch9wavefront6targetE1EEEvSM_.has_dyn_sized_stack, 0
	.set _ZN7rocprim17ROCPRIM_400000_NS6detail17trampoline_kernelINS0_14default_configENS1_22reduce_config_selectorIbEEZNS1_11reduce_implILb1ES3_N6hipcub16HIPCUB_304000_NS22TransformInputIteratorIb7NonZeroIaEPalEEPllNS8_6detail34convert_binary_result_type_wrapperINS8_3SumESD_lEEEE10hipError_tPvRmT1_T2_T3_mT4_P12ihipStream_tbEUlT_E1_NS1_11comp_targetILNS1_3genE4ELNS1_11target_archE910ELNS1_3gpuE8ELNS1_3repE0EEENS1_30default_config_static_selectorELNS0_4arch9wavefront6targetE1EEEvSM_.has_recursion, 0
	.set _ZN7rocprim17ROCPRIM_400000_NS6detail17trampoline_kernelINS0_14default_configENS1_22reduce_config_selectorIbEEZNS1_11reduce_implILb1ES3_N6hipcub16HIPCUB_304000_NS22TransformInputIteratorIb7NonZeroIaEPalEEPllNS8_6detail34convert_binary_result_type_wrapperINS8_3SumESD_lEEEE10hipError_tPvRmT1_T2_T3_mT4_P12ihipStream_tbEUlT_E1_NS1_11comp_targetILNS1_3genE4ELNS1_11target_archE910ELNS1_3gpuE8ELNS1_3repE0EEENS1_30default_config_static_selectorELNS0_4arch9wavefront6targetE1EEEvSM_.has_indirect_call, 0
	.section	.AMDGPU.csdata,"",@progbits
; Kernel info:
; codeLenInByte = 0
; TotalNumSgprs: 4
; NumVgprs: 0
; ScratchSize: 0
; MemoryBound: 0
; FloatMode: 240
; IeeeMode: 1
; LDSByteSize: 0 bytes/workgroup (compile time only)
; SGPRBlocks: 0
; VGPRBlocks: 0
; NumSGPRsForWavesPerEU: 4
; NumVGPRsForWavesPerEU: 1
; Occupancy: 10
; WaveLimiterHint : 0
; COMPUTE_PGM_RSRC2:SCRATCH_EN: 0
; COMPUTE_PGM_RSRC2:USER_SGPR: 6
; COMPUTE_PGM_RSRC2:TRAP_HANDLER: 0
; COMPUTE_PGM_RSRC2:TGID_X_EN: 1
; COMPUTE_PGM_RSRC2:TGID_Y_EN: 0
; COMPUTE_PGM_RSRC2:TGID_Z_EN: 0
; COMPUTE_PGM_RSRC2:TIDIG_COMP_CNT: 0
	.section	.text._ZN7rocprim17ROCPRIM_400000_NS6detail17trampoline_kernelINS0_14default_configENS1_22reduce_config_selectorIbEEZNS1_11reduce_implILb1ES3_N6hipcub16HIPCUB_304000_NS22TransformInputIteratorIb7NonZeroIaEPalEEPllNS8_6detail34convert_binary_result_type_wrapperINS8_3SumESD_lEEEE10hipError_tPvRmT1_T2_T3_mT4_P12ihipStream_tbEUlT_E1_NS1_11comp_targetILNS1_3genE3ELNS1_11target_archE908ELNS1_3gpuE7ELNS1_3repE0EEENS1_30default_config_static_selectorELNS0_4arch9wavefront6targetE1EEEvSM_,"axG",@progbits,_ZN7rocprim17ROCPRIM_400000_NS6detail17trampoline_kernelINS0_14default_configENS1_22reduce_config_selectorIbEEZNS1_11reduce_implILb1ES3_N6hipcub16HIPCUB_304000_NS22TransformInputIteratorIb7NonZeroIaEPalEEPllNS8_6detail34convert_binary_result_type_wrapperINS8_3SumESD_lEEEE10hipError_tPvRmT1_T2_T3_mT4_P12ihipStream_tbEUlT_E1_NS1_11comp_targetILNS1_3genE3ELNS1_11target_archE908ELNS1_3gpuE7ELNS1_3repE0EEENS1_30default_config_static_selectorELNS0_4arch9wavefront6targetE1EEEvSM_,comdat
	.protected	_ZN7rocprim17ROCPRIM_400000_NS6detail17trampoline_kernelINS0_14default_configENS1_22reduce_config_selectorIbEEZNS1_11reduce_implILb1ES3_N6hipcub16HIPCUB_304000_NS22TransformInputIteratorIb7NonZeroIaEPalEEPllNS8_6detail34convert_binary_result_type_wrapperINS8_3SumESD_lEEEE10hipError_tPvRmT1_T2_T3_mT4_P12ihipStream_tbEUlT_E1_NS1_11comp_targetILNS1_3genE3ELNS1_11target_archE908ELNS1_3gpuE7ELNS1_3repE0EEENS1_30default_config_static_selectorELNS0_4arch9wavefront6targetE1EEEvSM_ ; -- Begin function _ZN7rocprim17ROCPRIM_400000_NS6detail17trampoline_kernelINS0_14default_configENS1_22reduce_config_selectorIbEEZNS1_11reduce_implILb1ES3_N6hipcub16HIPCUB_304000_NS22TransformInputIteratorIb7NonZeroIaEPalEEPllNS8_6detail34convert_binary_result_type_wrapperINS8_3SumESD_lEEEE10hipError_tPvRmT1_T2_T3_mT4_P12ihipStream_tbEUlT_E1_NS1_11comp_targetILNS1_3genE3ELNS1_11target_archE908ELNS1_3gpuE7ELNS1_3repE0EEENS1_30default_config_static_selectorELNS0_4arch9wavefront6targetE1EEEvSM_
	.globl	_ZN7rocprim17ROCPRIM_400000_NS6detail17trampoline_kernelINS0_14default_configENS1_22reduce_config_selectorIbEEZNS1_11reduce_implILb1ES3_N6hipcub16HIPCUB_304000_NS22TransformInputIteratorIb7NonZeroIaEPalEEPllNS8_6detail34convert_binary_result_type_wrapperINS8_3SumESD_lEEEE10hipError_tPvRmT1_T2_T3_mT4_P12ihipStream_tbEUlT_E1_NS1_11comp_targetILNS1_3genE3ELNS1_11target_archE908ELNS1_3gpuE7ELNS1_3repE0EEENS1_30default_config_static_selectorELNS0_4arch9wavefront6targetE1EEEvSM_
	.p2align	8
	.type	_ZN7rocprim17ROCPRIM_400000_NS6detail17trampoline_kernelINS0_14default_configENS1_22reduce_config_selectorIbEEZNS1_11reduce_implILb1ES3_N6hipcub16HIPCUB_304000_NS22TransformInputIteratorIb7NonZeroIaEPalEEPllNS8_6detail34convert_binary_result_type_wrapperINS8_3SumESD_lEEEE10hipError_tPvRmT1_T2_T3_mT4_P12ihipStream_tbEUlT_E1_NS1_11comp_targetILNS1_3genE3ELNS1_11target_archE908ELNS1_3gpuE7ELNS1_3repE0EEENS1_30default_config_static_selectorELNS0_4arch9wavefront6targetE1EEEvSM_,@function
_ZN7rocprim17ROCPRIM_400000_NS6detail17trampoline_kernelINS0_14default_configENS1_22reduce_config_selectorIbEEZNS1_11reduce_implILb1ES3_N6hipcub16HIPCUB_304000_NS22TransformInputIteratorIb7NonZeroIaEPalEEPllNS8_6detail34convert_binary_result_type_wrapperINS8_3SumESD_lEEEE10hipError_tPvRmT1_T2_T3_mT4_P12ihipStream_tbEUlT_E1_NS1_11comp_targetILNS1_3genE3ELNS1_11target_archE908ELNS1_3gpuE7ELNS1_3repE0EEENS1_30default_config_static_selectorELNS0_4arch9wavefront6targetE1EEEvSM_: ; @_ZN7rocprim17ROCPRIM_400000_NS6detail17trampoline_kernelINS0_14default_configENS1_22reduce_config_selectorIbEEZNS1_11reduce_implILb1ES3_N6hipcub16HIPCUB_304000_NS22TransformInputIteratorIb7NonZeroIaEPalEEPllNS8_6detail34convert_binary_result_type_wrapperINS8_3SumESD_lEEEE10hipError_tPvRmT1_T2_T3_mT4_P12ihipStream_tbEUlT_E1_NS1_11comp_targetILNS1_3genE3ELNS1_11target_archE908ELNS1_3gpuE7ELNS1_3repE0EEENS1_30default_config_static_selectorELNS0_4arch9wavefront6targetE1EEEvSM_
; %bb.0:
	.section	.rodata,"a",@progbits
	.p2align	6, 0x0
	.amdhsa_kernel _ZN7rocprim17ROCPRIM_400000_NS6detail17trampoline_kernelINS0_14default_configENS1_22reduce_config_selectorIbEEZNS1_11reduce_implILb1ES3_N6hipcub16HIPCUB_304000_NS22TransformInputIteratorIb7NonZeroIaEPalEEPllNS8_6detail34convert_binary_result_type_wrapperINS8_3SumESD_lEEEE10hipError_tPvRmT1_T2_T3_mT4_P12ihipStream_tbEUlT_E1_NS1_11comp_targetILNS1_3genE3ELNS1_11target_archE908ELNS1_3gpuE7ELNS1_3repE0EEENS1_30default_config_static_selectorELNS0_4arch9wavefront6targetE1EEEvSM_
		.amdhsa_group_segment_fixed_size 0
		.amdhsa_private_segment_fixed_size 0
		.amdhsa_kernarg_size 56
		.amdhsa_user_sgpr_count 6
		.amdhsa_user_sgpr_private_segment_buffer 1
		.amdhsa_user_sgpr_dispatch_ptr 0
		.amdhsa_user_sgpr_queue_ptr 0
		.amdhsa_user_sgpr_kernarg_segment_ptr 1
		.amdhsa_user_sgpr_dispatch_id 0
		.amdhsa_user_sgpr_flat_scratch_init 0
		.amdhsa_user_sgpr_private_segment_size 0
		.amdhsa_uses_dynamic_stack 0
		.amdhsa_system_sgpr_private_segment_wavefront_offset 0
		.amdhsa_system_sgpr_workgroup_id_x 1
		.amdhsa_system_sgpr_workgroup_id_y 0
		.amdhsa_system_sgpr_workgroup_id_z 0
		.amdhsa_system_sgpr_workgroup_info 0
		.amdhsa_system_vgpr_workitem_id 0
		.amdhsa_next_free_vgpr 1
		.amdhsa_next_free_sgpr 0
		.amdhsa_reserve_vcc 0
		.amdhsa_reserve_flat_scratch 0
		.amdhsa_float_round_mode_32 0
		.amdhsa_float_round_mode_16_64 0
		.amdhsa_float_denorm_mode_32 3
		.amdhsa_float_denorm_mode_16_64 3
		.amdhsa_dx10_clamp 1
		.amdhsa_ieee_mode 1
		.amdhsa_fp16_overflow 0
		.amdhsa_exception_fp_ieee_invalid_op 0
		.amdhsa_exception_fp_denorm_src 0
		.amdhsa_exception_fp_ieee_div_zero 0
		.amdhsa_exception_fp_ieee_overflow 0
		.amdhsa_exception_fp_ieee_underflow 0
		.amdhsa_exception_fp_ieee_inexact 0
		.amdhsa_exception_int_div_zero 0
	.end_amdhsa_kernel
	.section	.text._ZN7rocprim17ROCPRIM_400000_NS6detail17trampoline_kernelINS0_14default_configENS1_22reduce_config_selectorIbEEZNS1_11reduce_implILb1ES3_N6hipcub16HIPCUB_304000_NS22TransformInputIteratorIb7NonZeroIaEPalEEPllNS8_6detail34convert_binary_result_type_wrapperINS8_3SumESD_lEEEE10hipError_tPvRmT1_T2_T3_mT4_P12ihipStream_tbEUlT_E1_NS1_11comp_targetILNS1_3genE3ELNS1_11target_archE908ELNS1_3gpuE7ELNS1_3repE0EEENS1_30default_config_static_selectorELNS0_4arch9wavefront6targetE1EEEvSM_,"axG",@progbits,_ZN7rocprim17ROCPRIM_400000_NS6detail17trampoline_kernelINS0_14default_configENS1_22reduce_config_selectorIbEEZNS1_11reduce_implILb1ES3_N6hipcub16HIPCUB_304000_NS22TransformInputIteratorIb7NonZeroIaEPalEEPllNS8_6detail34convert_binary_result_type_wrapperINS8_3SumESD_lEEEE10hipError_tPvRmT1_T2_T3_mT4_P12ihipStream_tbEUlT_E1_NS1_11comp_targetILNS1_3genE3ELNS1_11target_archE908ELNS1_3gpuE7ELNS1_3repE0EEENS1_30default_config_static_selectorELNS0_4arch9wavefront6targetE1EEEvSM_,comdat
.Lfunc_end30:
	.size	_ZN7rocprim17ROCPRIM_400000_NS6detail17trampoline_kernelINS0_14default_configENS1_22reduce_config_selectorIbEEZNS1_11reduce_implILb1ES3_N6hipcub16HIPCUB_304000_NS22TransformInputIteratorIb7NonZeroIaEPalEEPllNS8_6detail34convert_binary_result_type_wrapperINS8_3SumESD_lEEEE10hipError_tPvRmT1_T2_T3_mT4_P12ihipStream_tbEUlT_E1_NS1_11comp_targetILNS1_3genE3ELNS1_11target_archE908ELNS1_3gpuE7ELNS1_3repE0EEENS1_30default_config_static_selectorELNS0_4arch9wavefront6targetE1EEEvSM_, .Lfunc_end30-_ZN7rocprim17ROCPRIM_400000_NS6detail17trampoline_kernelINS0_14default_configENS1_22reduce_config_selectorIbEEZNS1_11reduce_implILb1ES3_N6hipcub16HIPCUB_304000_NS22TransformInputIteratorIb7NonZeroIaEPalEEPllNS8_6detail34convert_binary_result_type_wrapperINS8_3SumESD_lEEEE10hipError_tPvRmT1_T2_T3_mT4_P12ihipStream_tbEUlT_E1_NS1_11comp_targetILNS1_3genE3ELNS1_11target_archE908ELNS1_3gpuE7ELNS1_3repE0EEENS1_30default_config_static_selectorELNS0_4arch9wavefront6targetE1EEEvSM_
                                        ; -- End function
	.set _ZN7rocprim17ROCPRIM_400000_NS6detail17trampoline_kernelINS0_14default_configENS1_22reduce_config_selectorIbEEZNS1_11reduce_implILb1ES3_N6hipcub16HIPCUB_304000_NS22TransformInputIteratorIb7NonZeroIaEPalEEPllNS8_6detail34convert_binary_result_type_wrapperINS8_3SumESD_lEEEE10hipError_tPvRmT1_T2_T3_mT4_P12ihipStream_tbEUlT_E1_NS1_11comp_targetILNS1_3genE3ELNS1_11target_archE908ELNS1_3gpuE7ELNS1_3repE0EEENS1_30default_config_static_selectorELNS0_4arch9wavefront6targetE1EEEvSM_.num_vgpr, 0
	.set _ZN7rocprim17ROCPRIM_400000_NS6detail17trampoline_kernelINS0_14default_configENS1_22reduce_config_selectorIbEEZNS1_11reduce_implILb1ES3_N6hipcub16HIPCUB_304000_NS22TransformInputIteratorIb7NonZeroIaEPalEEPllNS8_6detail34convert_binary_result_type_wrapperINS8_3SumESD_lEEEE10hipError_tPvRmT1_T2_T3_mT4_P12ihipStream_tbEUlT_E1_NS1_11comp_targetILNS1_3genE3ELNS1_11target_archE908ELNS1_3gpuE7ELNS1_3repE0EEENS1_30default_config_static_selectorELNS0_4arch9wavefront6targetE1EEEvSM_.num_agpr, 0
	.set _ZN7rocprim17ROCPRIM_400000_NS6detail17trampoline_kernelINS0_14default_configENS1_22reduce_config_selectorIbEEZNS1_11reduce_implILb1ES3_N6hipcub16HIPCUB_304000_NS22TransformInputIteratorIb7NonZeroIaEPalEEPllNS8_6detail34convert_binary_result_type_wrapperINS8_3SumESD_lEEEE10hipError_tPvRmT1_T2_T3_mT4_P12ihipStream_tbEUlT_E1_NS1_11comp_targetILNS1_3genE3ELNS1_11target_archE908ELNS1_3gpuE7ELNS1_3repE0EEENS1_30default_config_static_selectorELNS0_4arch9wavefront6targetE1EEEvSM_.numbered_sgpr, 0
	.set _ZN7rocprim17ROCPRIM_400000_NS6detail17trampoline_kernelINS0_14default_configENS1_22reduce_config_selectorIbEEZNS1_11reduce_implILb1ES3_N6hipcub16HIPCUB_304000_NS22TransformInputIteratorIb7NonZeroIaEPalEEPllNS8_6detail34convert_binary_result_type_wrapperINS8_3SumESD_lEEEE10hipError_tPvRmT1_T2_T3_mT4_P12ihipStream_tbEUlT_E1_NS1_11comp_targetILNS1_3genE3ELNS1_11target_archE908ELNS1_3gpuE7ELNS1_3repE0EEENS1_30default_config_static_selectorELNS0_4arch9wavefront6targetE1EEEvSM_.num_named_barrier, 0
	.set _ZN7rocprim17ROCPRIM_400000_NS6detail17trampoline_kernelINS0_14default_configENS1_22reduce_config_selectorIbEEZNS1_11reduce_implILb1ES3_N6hipcub16HIPCUB_304000_NS22TransformInputIteratorIb7NonZeroIaEPalEEPllNS8_6detail34convert_binary_result_type_wrapperINS8_3SumESD_lEEEE10hipError_tPvRmT1_T2_T3_mT4_P12ihipStream_tbEUlT_E1_NS1_11comp_targetILNS1_3genE3ELNS1_11target_archE908ELNS1_3gpuE7ELNS1_3repE0EEENS1_30default_config_static_selectorELNS0_4arch9wavefront6targetE1EEEvSM_.private_seg_size, 0
	.set _ZN7rocprim17ROCPRIM_400000_NS6detail17trampoline_kernelINS0_14default_configENS1_22reduce_config_selectorIbEEZNS1_11reduce_implILb1ES3_N6hipcub16HIPCUB_304000_NS22TransformInputIteratorIb7NonZeroIaEPalEEPllNS8_6detail34convert_binary_result_type_wrapperINS8_3SumESD_lEEEE10hipError_tPvRmT1_T2_T3_mT4_P12ihipStream_tbEUlT_E1_NS1_11comp_targetILNS1_3genE3ELNS1_11target_archE908ELNS1_3gpuE7ELNS1_3repE0EEENS1_30default_config_static_selectorELNS0_4arch9wavefront6targetE1EEEvSM_.uses_vcc, 0
	.set _ZN7rocprim17ROCPRIM_400000_NS6detail17trampoline_kernelINS0_14default_configENS1_22reduce_config_selectorIbEEZNS1_11reduce_implILb1ES3_N6hipcub16HIPCUB_304000_NS22TransformInputIteratorIb7NonZeroIaEPalEEPllNS8_6detail34convert_binary_result_type_wrapperINS8_3SumESD_lEEEE10hipError_tPvRmT1_T2_T3_mT4_P12ihipStream_tbEUlT_E1_NS1_11comp_targetILNS1_3genE3ELNS1_11target_archE908ELNS1_3gpuE7ELNS1_3repE0EEENS1_30default_config_static_selectorELNS0_4arch9wavefront6targetE1EEEvSM_.uses_flat_scratch, 0
	.set _ZN7rocprim17ROCPRIM_400000_NS6detail17trampoline_kernelINS0_14default_configENS1_22reduce_config_selectorIbEEZNS1_11reduce_implILb1ES3_N6hipcub16HIPCUB_304000_NS22TransformInputIteratorIb7NonZeroIaEPalEEPllNS8_6detail34convert_binary_result_type_wrapperINS8_3SumESD_lEEEE10hipError_tPvRmT1_T2_T3_mT4_P12ihipStream_tbEUlT_E1_NS1_11comp_targetILNS1_3genE3ELNS1_11target_archE908ELNS1_3gpuE7ELNS1_3repE0EEENS1_30default_config_static_selectorELNS0_4arch9wavefront6targetE1EEEvSM_.has_dyn_sized_stack, 0
	.set _ZN7rocprim17ROCPRIM_400000_NS6detail17trampoline_kernelINS0_14default_configENS1_22reduce_config_selectorIbEEZNS1_11reduce_implILb1ES3_N6hipcub16HIPCUB_304000_NS22TransformInputIteratorIb7NonZeroIaEPalEEPllNS8_6detail34convert_binary_result_type_wrapperINS8_3SumESD_lEEEE10hipError_tPvRmT1_T2_T3_mT4_P12ihipStream_tbEUlT_E1_NS1_11comp_targetILNS1_3genE3ELNS1_11target_archE908ELNS1_3gpuE7ELNS1_3repE0EEENS1_30default_config_static_selectorELNS0_4arch9wavefront6targetE1EEEvSM_.has_recursion, 0
	.set _ZN7rocprim17ROCPRIM_400000_NS6detail17trampoline_kernelINS0_14default_configENS1_22reduce_config_selectorIbEEZNS1_11reduce_implILb1ES3_N6hipcub16HIPCUB_304000_NS22TransformInputIteratorIb7NonZeroIaEPalEEPllNS8_6detail34convert_binary_result_type_wrapperINS8_3SumESD_lEEEE10hipError_tPvRmT1_T2_T3_mT4_P12ihipStream_tbEUlT_E1_NS1_11comp_targetILNS1_3genE3ELNS1_11target_archE908ELNS1_3gpuE7ELNS1_3repE0EEENS1_30default_config_static_selectorELNS0_4arch9wavefront6targetE1EEEvSM_.has_indirect_call, 0
	.section	.AMDGPU.csdata,"",@progbits
; Kernel info:
; codeLenInByte = 0
; TotalNumSgprs: 4
; NumVgprs: 0
; ScratchSize: 0
; MemoryBound: 0
; FloatMode: 240
; IeeeMode: 1
; LDSByteSize: 0 bytes/workgroup (compile time only)
; SGPRBlocks: 0
; VGPRBlocks: 0
; NumSGPRsForWavesPerEU: 4
; NumVGPRsForWavesPerEU: 1
; Occupancy: 10
; WaveLimiterHint : 0
; COMPUTE_PGM_RSRC2:SCRATCH_EN: 0
; COMPUTE_PGM_RSRC2:USER_SGPR: 6
; COMPUTE_PGM_RSRC2:TRAP_HANDLER: 0
; COMPUTE_PGM_RSRC2:TGID_X_EN: 1
; COMPUTE_PGM_RSRC2:TGID_Y_EN: 0
; COMPUTE_PGM_RSRC2:TGID_Z_EN: 0
; COMPUTE_PGM_RSRC2:TIDIG_COMP_CNT: 0
	.section	.text._ZN7rocprim17ROCPRIM_400000_NS6detail17trampoline_kernelINS0_14default_configENS1_22reduce_config_selectorIbEEZNS1_11reduce_implILb1ES3_N6hipcub16HIPCUB_304000_NS22TransformInputIteratorIb7NonZeroIaEPalEEPllNS8_6detail34convert_binary_result_type_wrapperINS8_3SumESD_lEEEE10hipError_tPvRmT1_T2_T3_mT4_P12ihipStream_tbEUlT_E1_NS1_11comp_targetILNS1_3genE2ELNS1_11target_archE906ELNS1_3gpuE6ELNS1_3repE0EEENS1_30default_config_static_selectorELNS0_4arch9wavefront6targetE1EEEvSM_,"axG",@progbits,_ZN7rocprim17ROCPRIM_400000_NS6detail17trampoline_kernelINS0_14default_configENS1_22reduce_config_selectorIbEEZNS1_11reduce_implILb1ES3_N6hipcub16HIPCUB_304000_NS22TransformInputIteratorIb7NonZeroIaEPalEEPllNS8_6detail34convert_binary_result_type_wrapperINS8_3SumESD_lEEEE10hipError_tPvRmT1_T2_T3_mT4_P12ihipStream_tbEUlT_E1_NS1_11comp_targetILNS1_3genE2ELNS1_11target_archE906ELNS1_3gpuE6ELNS1_3repE0EEENS1_30default_config_static_selectorELNS0_4arch9wavefront6targetE1EEEvSM_,comdat
	.protected	_ZN7rocprim17ROCPRIM_400000_NS6detail17trampoline_kernelINS0_14default_configENS1_22reduce_config_selectorIbEEZNS1_11reduce_implILb1ES3_N6hipcub16HIPCUB_304000_NS22TransformInputIteratorIb7NonZeroIaEPalEEPllNS8_6detail34convert_binary_result_type_wrapperINS8_3SumESD_lEEEE10hipError_tPvRmT1_T2_T3_mT4_P12ihipStream_tbEUlT_E1_NS1_11comp_targetILNS1_3genE2ELNS1_11target_archE906ELNS1_3gpuE6ELNS1_3repE0EEENS1_30default_config_static_selectorELNS0_4arch9wavefront6targetE1EEEvSM_ ; -- Begin function _ZN7rocprim17ROCPRIM_400000_NS6detail17trampoline_kernelINS0_14default_configENS1_22reduce_config_selectorIbEEZNS1_11reduce_implILb1ES3_N6hipcub16HIPCUB_304000_NS22TransformInputIteratorIb7NonZeroIaEPalEEPllNS8_6detail34convert_binary_result_type_wrapperINS8_3SumESD_lEEEE10hipError_tPvRmT1_T2_T3_mT4_P12ihipStream_tbEUlT_E1_NS1_11comp_targetILNS1_3genE2ELNS1_11target_archE906ELNS1_3gpuE6ELNS1_3repE0EEENS1_30default_config_static_selectorELNS0_4arch9wavefront6targetE1EEEvSM_
	.globl	_ZN7rocprim17ROCPRIM_400000_NS6detail17trampoline_kernelINS0_14default_configENS1_22reduce_config_selectorIbEEZNS1_11reduce_implILb1ES3_N6hipcub16HIPCUB_304000_NS22TransformInputIteratorIb7NonZeroIaEPalEEPllNS8_6detail34convert_binary_result_type_wrapperINS8_3SumESD_lEEEE10hipError_tPvRmT1_T2_T3_mT4_P12ihipStream_tbEUlT_E1_NS1_11comp_targetILNS1_3genE2ELNS1_11target_archE906ELNS1_3gpuE6ELNS1_3repE0EEENS1_30default_config_static_selectorELNS0_4arch9wavefront6targetE1EEEvSM_
	.p2align	8
	.type	_ZN7rocprim17ROCPRIM_400000_NS6detail17trampoline_kernelINS0_14default_configENS1_22reduce_config_selectorIbEEZNS1_11reduce_implILb1ES3_N6hipcub16HIPCUB_304000_NS22TransformInputIteratorIb7NonZeroIaEPalEEPllNS8_6detail34convert_binary_result_type_wrapperINS8_3SumESD_lEEEE10hipError_tPvRmT1_T2_T3_mT4_P12ihipStream_tbEUlT_E1_NS1_11comp_targetILNS1_3genE2ELNS1_11target_archE906ELNS1_3gpuE6ELNS1_3repE0EEENS1_30default_config_static_selectorELNS0_4arch9wavefront6targetE1EEEvSM_,@function
_ZN7rocprim17ROCPRIM_400000_NS6detail17trampoline_kernelINS0_14default_configENS1_22reduce_config_selectorIbEEZNS1_11reduce_implILb1ES3_N6hipcub16HIPCUB_304000_NS22TransformInputIteratorIb7NonZeroIaEPalEEPllNS8_6detail34convert_binary_result_type_wrapperINS8_3SumESD_lEEEE10hipError_tPvRmT1_T2_T3_mT4_P12ihipStream_tbEUlT_E1_NS1_11comp_targetILNS1_3genE2ELNS1_11target_archE906ELNS1_3gpuE6ELNS1_3repE0EEENS1_30default_config_static_selectorELNS0_4arch9wavefront6targetE1EEEvSM_: ; @_ZN7rocprim17ROCPRIM_400000_NS6detail17trampoline_kernelINS0_14default_configENS1_22reduce_config_selectorIbEEZNS1_11reduce_implILb1ES3_N6hipcub16HIPCUB_304000_NS22TransformInputIteratorIb7NonZeroIaEPalEEPllNS8_6detail34convert_binary_result_type_wrapperINS8_3SumESD_lEEEE10hipError_tPvRmT1_T2_T3_mT4_P12ihipStream_tbEUlT_E1_NS1_11comp_targetILNS1_3genE2ELNS1_11target_archE906ELNS1_3gpuE6ELNS1_3repE0EEENS1_30default_config_static_selectorELNS0_4arch9wavefront6targetE1EEEvSM_
; %bb.0:
	s_mov_b64 s[38:39], s[2:3]
	s_mov_b64 s[36:37], s[0:1]
	s_load_dword s26, s[4:5], 0x4
	s_load_dwordx2 s[18:19], s[4:5], 0x8
	s_load_dwordx4 s[20:23], s[4:5], 0x18
	s_add_u32 s36, s36, s7
	s_addc_u32 s37, s37, 0
	s_waitcnt lgkmcnt(0)
	s_cmp_lt_i32 s26, 16
	s_cbranch_scc1 .LBB31_10
; %bb.1:
	s_cmp_gt_i32 s26, 63
	s_cbranch_scc0 .LBB31_11
; %bb.2:
	s_cmpk_gt_i32 s26, 0x7f
	s_cbranch_scc0 .LBB31_12
; %bb.3:
	s_mov_b64 s[0:1], 0
	s_cmpk_eq_i32 s26, 0x80
	s_mov_b64 s[2:3], 0
                                        ; implicit-def: $vgpr1_vgpr2
                                        ; implicit-def: $vgpr3_vgpr4
	s_cbranch_scc0 .LBB31_13
; %bb.4:
	s_lshl_b32 s10, s6, 14
	s_lshr_b64 s[8:9], s[20:21], 14
	s_add_u32 s2, s18, s10
	s_mov_b32 s7, 0
	s_addc_u32 s3, s19, 0
	s_cmp_lg_u64 s[8:9], s[6:7]
	s_cbranch_scc0 .LBB31_21
; %bb.5:
	global_load_ubyte v5, v0, s[2:3] offset:384
	global_load_ubyte v6, v0, s[2:3] offset:512
	;; [unrolled: 1-line block ×21, first 2 shown]
	global_load_ubyte v2, v0, s[2:3]
	global_load_ubyte v4, v0, s[2:3] offset:128
	global_load_ubyte v3, v0, s[2:3] offset:256
	;; [unrolled: 1-line block ×10, first 2 shown]
	v_mov_b32_e32 v27, s3
	v_add_co_u32_e32 v39, vcc, s2, v0
	s_movk_i32 s8, 0x1000
	v_addc_co_u32_e32 v40, vcc, 0, v27, vcc
	v_add_co_u32_e32 v34, vcc, s8, v39
	s_movk_i32 s9, 0x2000
	v_addc_co_u32_e32 v35, vcc, 0, v40, vcc
	v_add_co_u32_e32 v36, vcc, s9, v39
	v_addc_co_u32_e32 v37, vcc, 0, v40, vcc
	global_load_ubyte v41, v[36:37], off offset:-4096
	global_load_ubyte v42, v[34:35], off offset:128
	global_load_ubyte v43, v[34:35], off offset:256
	;; [unrolled: 1-line block ×22, first 2 shown]
	s_movk_i32 s8, 0x3000
	global_load_ubyte v64, v[34:35], off offset:2944
	global_load_ubyte v65, v[34:35], off offset:3072
	;; [unrolled: 1-line block ×6, first 2 shown]
	v_mov_b32_e32 v1, 0
	s_waitcnt vmcnt(60)
	v_cmp_ne_u16_e32 vcc, 0, v5
	v_cndmask_b32_e64 v5, 0, 1, vcc
	s_waitcnt vmcnt(59)
	v_cmp_ne_u16_e32 vcc, 0, v6
	v_cndmask_b32_e64 v6, 0, 1, vcc
	;; [unrolled: 3-line block ×29, first 2 shown]
	v_add_co_u32_e32 v38, vcc, s8, v39
	v_addc_co_u32_e32 v39, vcc, 0, v40, vcc
	s_waitcnt vmcnt(28)
	v_cmp_ne_u16_e32 vcc, 0, v41
	v_cndmask_b32_e64 v41, 0, 1, vcc
	s_waitcnt vmcnt(27)
	v_cmp_ne_u16_e32 vcc, 0, v42
	global_load_ubyte v40, v[38:39], off offset:3200
	global_load_ubyte v70, v[38:39], off offset:3328
	;; [unrolled: 1-line block ×10, first 2 shown]
	v_cndmask_b32_e64 v42, 0, 1, vcc
	s_waitcnt vmcnt(36)
	v_cmp_ne_u16_e32 vcc, 0, v43
	v_cndmask_b32_e64 v43, 0, 1, vcc
	s_waitcnt vmcnt(35)
	v_cmp_ne_u16_e32 vcc, 0, v44
	;; [unrolled: 3-line block ×3, first 2 shown]
	global_load_ubyte v45, v[36:37], off
	global_load_ubyte v78, v[36:37], off offset:128
	v_mov_b32_dpp v1, v1 quad_perm:[1,0,3,2] row_mask:0xf bank_mask:0xf bound_ctrl:1
	global_load_ubyte v34, v[34:35], off offset:3968
	s_nop 0
	global_load_ubyte v80, v[36:37], off offset:384
	global_load_ubyte v81, v[36:37], off offset:512
	v_cndmask_b32_e64 v35, 0, 1, vcc
	s_waitcnt vmcnt(38)
	v_cmp_ne_u16_e32 vcc, 0, v46
	v_cndmask_b32_e64 v46, 0, 1, vcc
	s_waitcnt vmcnt(37)
	v_cmp_ne_u16_e32 vcc, 0, v47
	;; [unrolled: 3-line block ×3, first 2 shown]
	global_load_ubyte v82, v[36:37], off offset:640
	global_load_ubyte v83, v[36:37], off offset:768
	;; [unrolled: 1-line block ×8, first 2 shown]
	v_cndmask_b32_e64 v48, 0, 1, vcc
	s_waitcnt vmcnt(43)
	v_cmp_ne_u16_e32 vcc, 0, v49
	v_cndmask_b32_e64 v49, 0, 1, vcc
	s_waitcnt vmcnt(42)
	v_cmp_ne_u16_e32 vcc, 0, v50
	;; [unrolled: 3-line block ×8, first 2 shown]
	global_load_ubyte v90, v[36:37], off offset:1664
	v_cndmask_b32_e64 v56, 0, 1, vcc
	s_waitcnt vmcnt(36)
	v_cmp_ne_u16_e32 vcc, 0, v57
	v_cndmask_b32_e64 v57, 0, 1, vcc
	s_waitcnt vmcnt(35)
	v_cmp_ne_u16_e32 vcc, 0, v58
	global_load_ubyte v91, v[36:37], off offset:1792
	global_load_ubyte v92, v[38:39], off
	global_load_ubyte v93, v[36:37], off offset:1920
	v_cndmask_b32_e64 v58, 0, 1, vcc
	s_waitcnt vmcnt(37)
	v_cmp_ne_u16_e32 vcc, 0, v59
	v_cndmask_b32_e64 v59, 0, 1, vcc
	s_waitcnt vmcnt(36)
	v_cmp_ne_u16_e32 vcc, 0, v60
	global_load_ubyte v94, v[36:37], off offset:2048
	global_load_ubyte v95, v[36:37], off offset:2176
	v_cndmask_b32_e64 v60, 0, 1, vcc
	s_waitcnt vmcnt(37)
	v_cmp_ne_u16_e32 vcc, 0, v61
	v_cndmask_b32_e64 v61, 0, 1, vcc
	s_waitcnt vmcnt(36)
	v_cmp_ne_u16_e32 vcc, 0, v62
	global_load_ubyte v96, v[36:37], off offset:2304
	;; [unrolled: 8-line block ×5, first 2 shown]
	global_load_ubyte v103, v[36:37], off offset:3200
	v_cndmask_b32_e64 v68, 0, 1, vcc
	s_waitcnt vmcnt(37)
	v_cmp_ne_u16_e32 vcc, 0, v69
	v_cndmask_b32_e64 v69, 0, 1, vcc
	global_load_ubyte v104, v[36:37], off offset:3328
	global_load_ubyte v105, v[36:37], off offset:3456
	s_waitcnt vmcnt(31)
	v_cmp_ne_u16_e32 vcc, 0, v76
	v_cndmask_b32_e64 v76, 0, 1, vcc
	s_waitcnt vmcnt(30)
	v_cmp_ne_u16_e32 vcc, 0, v77
	v_cndmask_b32_e64 v77, 0, 1, vcc
	global_load_ubyte v106, v[36:37], off offset:3584
	global_load_ubyte v107, v[36:37], off offset:3712
	;; [unrolled: 1-line block ×4, first 2 shown]
	s_waitcnt vmcnt(30)
	v_cmp_ne_u16_e32 vcc, 0, v34
	v_cndmask_b32_e64 v34, 0, 1, vcc
	v_cmp_ne_u16_e32 vcc, 0, v45
	v_cndmask_b32_e64 v45, 0, 1, vcc
	v_cmp_ne_u16_e32 vcc, 0, v78
	v_cndmask_b32_e64 v78, 0, 1, vcc
	v_cmp_ne_u16_e32 vcc, 0, v79
	v_cndmask_b32_e64 v79, 0, 1, vcc
	s_waitcnt vmcnt(29)
	v_cmp_ne_u16_e32 vcc, 0, v80
	v_cndmask_b32_e64 v36, 0, 1, vcc
	s_waitcnt vmcnt(28)
	v_cmp_ne_u16_e32 vcc, 0, v81
	global_load_ubyte v80, v[38:39], off offset:128
	global_load_ubyte v81, v[38:39], off offset:256
	;; [unrolled: 1-line block ×23, first 2 shown]
	s_nop 0
	global_load_ubyte v38, v[38:39], off offset:3072
	v_cndmask_b32_e64 v37, 0, 1, vcc
	s_waitcnt vmcnt(51)
	v_cmp_ne_u16_e32 vcc, 0, v82
	v_cndmask_b32_e64 v82, 0, 1, vcc
	s_waitcnt vmcnt(50)
	v_cmp_ne_u16_e32 vcc, 0, v83
	;; [unrolled: 3-line block ×27, first 2 shown]
	v_cndmask_b32_e64 v108, 0, 1, vcc
	v_cmp_ne_u16_e32 vcc, 0, v92
	v_cndmask_b32_e64 v92, 0, 1, vcc
	s_waitcnt vmcnt(23)
	v_cmp_ne_u16_e32 vcc, 0, v80
	v_cndmask_b32_e64 v80, 0, 1, vcc
	s_waitcnt vmcnt(22)
	;; [unrolled: 3-line block ×24, first 2 shown]
	v_cmp_ne_u16_e32 vcc, 0, v38
	v_cndmask_b32_e64 v38, 0, 1, vcc
	v_cmp_ne_u16_e32 vcc, 0, v40
	v_cndmask_b32_e64 v40, 0, 1, vcc
	;; [unrolled: 2-line block ×10, first 2 shown]
	v_cmp_ne_u16_e32 vcc, 0, v3
	v_addc_co_u32_e32 v2, vcc, v4, v2, vcc
	v_add_co_u32_e32 v2, vcc, v2, v5
	v_addc_co_u32_e64 v3, s[8:9], 0, 0, vcc
	v_add_co_u32_e32 v2, vcc, v2, v6
	v_addc_co_u32_e32 v3, vcc, 0, v3, vcc
	v_add_co_u32_e32 v2, vcc, v2, v7
	v_addc_co_u32_e32 v3, vcc, 0, v3, vcc
	;; [unrolled: 2-line block ×124, first 2 shown]
	s_nop 0
	v_mov_b32_dpp v5, v2 quad_perm:[1,0,3,2] row_mask:0xf bank_mask:0xf bound_ctrl:1
	v_add_co_u32_e32 v2, vcc, v2, v5
	v_addc_co_u32_e32 v4, vcc, 0, v4, vcc
	v_add_co_u32_e32 v5, vcc, 0, v2
	v_addc_co_u32_e32 v1, vcc, v1, v4, vcc
	v_mov_b32_dpp v2, v2 quad_perm:[2,3,0,1] row_mask:0xf bank_mask:0xf bound_ctrl:1
	v_add_co_u32_e32 v2, vcc, v5, v2
	v_mov_b32_dpp v4, v1 quad_perm:[2,3,0,1] row_mask:0xf bank_mask:0xf bound_ctrl:1
	v_addc_co_u32_e32 v1, vcc, 0, v1, vcc
	v_add_co_u32_e32 v5, vcc, 0, v2
	v_addc_co_u32_e32 v1, vcc, v1, v4, vcc
	v_mov_b32_dpp v2, v2 row_ror:4 row_mask:0xf bank_mask:0xf bound_ctrl:1
	v_add_co_u32_e32 v2, vcc, v5, v2
	v_mov_b32_dpp v4, v1 row_ror:4 row_mask:0xf bank_mask:0xf bound_ctrl:1
	v_addc_co_u32_e32 v1, vcc, 0, v1, vcc
	v_add_co_u32_e32 v5, vcc, 0, v2
	v_addc_co_u32_e32 v1, vcc, v1, v4, vcc
	v_mov_b32_dpp v2, v2 row_ror:8 row_mask:0xf bank_mask:0xf bound_ctrl:1
	v_add_co_u32_e32 v2, vcc, v5, v2
	v_mov_b32_dpp v4, v1 row_ror:8 row_mask:0xf bank_mask:0xf bound_ctrl:1
	v_addc_co_u32_e32 v1, vcc, 0, v1, vcc
	v_add_co_u32_e32 v5, vcc, 0, v2
	v_addc_co_u32_e32 v1, vcc, v1, v4, vcc
	v_mov_b32_dpp v2, v2 row_bcast:15 row_mask:0xf bank_mask:0xf bound_ctrl:1
	v_add_co_u32_e32 v2, vcc, v5, v2
	v_mov_b32_dpp v4, v1 row_bcast:15 row_mask:0xf bank_mask:0xf bound_ctrl:1
	v_addc_co_u32_e32 v1, vcc, 0, v1, vcc
	v_add_co_u32_e32 v5, vcc, 0, v2
	v_addc_co_u32_e32 v1, vcc, v1, v4, vcc
	v_mov_b32_dpp v2, v2 row_bcast:31 row_mask:0xf bank_mask:0xf bound_ctrl:1
	v_mbcnt_lo_u32_b32 v3, -1, 0
	v_add_co_u32_e32 v2, vcc, v5, v2
	v_mbcnt_hi_u32_b32 v3, -1, v3
	v_addc_co_u32_e32 v4, vcc, 0, v1, vcc
	v_cmp_eq_u32_e32 vcc, 0, v3
	s_nop 0
	v_add_u32_dpp v5, v1, v4 row_bcast:31 row_mask:0xf bank_mask:0xf bound_ctrl:1
	v_lshlrev_b32_e32 v4, 2, v3
	v_or_b32_e32 v6, 0xfc, v4
	ds_bpermute_b32 v1, v6, v2
	ds_bpermute_b32 v2, v6, v5
	s_and_saveexec_b64 s[8:9], vcc
	s_cbranch_execz .LBB31_7
; %bb.6:
	v_lshrrev_b32_e32 v5, 3, v0
	v_and_b32_e32 v5, 8, v5
	s_waitcnt lgkmcnt(0)
	ds_write_b64 v5, v[1:2]
.LBB31_7:
	s_or_b64 exec, exec, s[8:9]
	v_cmp_gt_u32_e32 vcc, 64, v0
	s_waitcnt lgkmcnt(0)
	s_barrier
	s_and_saveexec_b64 s[8:9], vcc
	s_cbranch_execz .LBB31_9
; %bb.8:
	v_and_b32_e32 v1, 1, v3
	v_lshlrev_b32_e32 v1, 3, v1
	ds_read_b64 v[1:2], v1
	v_or_b32_e32 v3, 4, v4
	s_waitcnt lgkmcnt(0)
	ds_bpermute_b32 v4, v3, v1
	ds_bpermute_b32 v3, v3, v2
	s_waitcnt lgkmcnt(1)
	v_add_co_u32_e32 v1, vcc, v1, v4
	v_addc_co_u32_e32 v2, vcc, 0, v2, vcc
	v_add_co_u32_e32 v1, vcc, 0, v1
	s_waitcnt lgkmcnt(0)
	v_addc_co_u32_e32 v2, vcc, v2, v3, vcc
.LBB31_9:
	s_or_b64 exec, exec, s[8:9]
	s_mov_b64 s[8:9], 0
	s_branch .LBB31_22
.LBB31_10:
	s_mov_b64 s[2:3], 0
                                        ; implicit-def: $vgpr1_vgpr2
                                        ; implicit-def: $vgpr3_vgpr4
	s_cbranch_execnz .LBB31_592
	s_branch .LBB31_731
.LBB31_11:
	s_mov_b64 s[2:3], 0
                                        ; implicit-def: $vgpr1_vgpr2
                                        ; implicit-def: $vgpr3_vgpr4
	s_cbranch_execnz .LBB31_442
	s_branch .LBB31_591
.LBB31_12:
	s_mov_b64 s[0:1], -1
	s_mov_b64 s[2:3], 0
                                        ; implicit-def: $vgpr1_vgpr2
                                        ; implicit-def: $vgpr3_vgpr4
.LBB31_13:
	s_and_b64 vcc, exec, s[0:1]
	s_cbranch_vccz .LBB31_441
.LBB31_14:
	s_cmp_eq_u32 s26, 64
                                        ; implicit-def: $vgpr1_vgpr2
                                        ; implicit-def: $vgpr3_vgpr4
	s_cbranch_scc0 .LBB31_441
; %bb.15:
	s_lshl_b32 s8, s6, 13
	s_lshr_b64 s[2:3], s[20:21], 13
	s_add_u32 s0, s18, s8
	s_mov_b32 s7, 0
	s_addc_u32 s1, s19, 0
	s_cmp_lg_u64 s[2:3], s[6:7]
	s_cbranch_scc0 .LBB31_295
; %bb.16:
	global_load_ubyte v3, v0, s[0:1] offset:384
	global_load_ubyte v4, v0, s[0:1] offset:512
	;; [unrolled: 1-line block ×16, first 2 shown]
	global_load_ubyte v19, v0, s[0:1]
	global_load_ubyte v20, v0, s[0:1] offset:128
	global_load_ubyte v21, v0, s[0:1] offset:256
	global_load_ubyte v22, v0, s[0:1] offset:2432
	global_load_ubyte v24, v0, s[0:1] offset:2560
	global_load_ubyte v25, v0, s[0:1] offset:2688
	global_load_ubyte v26, v0, s[0:1] offset:2816
	global_load_ubyte v27, v0, s[0:1] offset:2944
	global_load_ubyte v28, v0, s[0:1] offset:3072
	global_load_ubyte v29, v0, s[0:1] offset:3200
	global_load_ubyte v30, v0, s[0:1] offset:3328
	global_load_ubyte v31, v0, s[0:1] offset:3456
	global_load_ubyte v32, v0, s[0:1] offset:3584
	global_load_ubyte v33, v0, s[0:1] offset:3712
	global_load_ubyte v34, v0, s[0:1] offset:3840
	global_load_ubyte v35, v0, s[0:1] offset:3968
	v_mov_b32_e32 v1, s1
	v_add_co_u32_e32 v2, vcc, s0, v0
	s_movk_i32 s2, 0x1000
	v_addc_co_u32_e32 v36, vcc, 0, v1, vcc
	v_add_co_u32_e32 v1, vcc, s2, v2
	v_addc_co_u32_e32 v2, vcc, 0, v36, vcc
	global_load_ubyte v36, v[1:2], off
	global_load_ubyte v37, v[1:2], off offset:128
	global_load_ubyte v38, v[1:2], off offset:256
	;; [unrolled: 1-line block ×31, first 2 shown]
	v_mov_b32_e32 v23, 0
	s_waitcnt vmcnt(62)
	v_cmp_ne_u16_e32 vcc, 0, v3
	v_cndmask_b32_e64 v3, 0, 1, vcc
	v_cmp_ne_u16_e32 vcc, 0, v4
	v_cndmask_b32_e64 v4, 0, 1, vcc
	s_waitcnt vmcnt(61)
	v_cmp_ne_u16_e32 vcc, 0, v5
	v_cndmask_b32_e64 v5, 0, 1, vcc
	s_waitcnt vmcnt(60)
	;; [unrolled: 3-line block ×59, first 2 shown]
	v_cmp_ne_u16_e32 vcc, 0, v67
	v_cndmask_b32_e64 v65, 0, 1, vcc
	v_cmp_ne_u16_e32 vcc, 0, v20
	v_cndmask_b32_e64 v20, 0, 1, vcc
	;; [unrolled: 2-line block ×3, first 2 shown]
	v_cmp_ne_u16_e32 vcc, 0, v21
	v_addc_co_u32_e32 v19, vcc, v20, v19, vcc
	v_add_co_u32_e32 v3, vcc, v19, v3
	v_addc_co_u32_e64 v19, s[2:3], 0, 0, vcc
	v_add_co_u32_e32 v3, vcc, v3, v4
	v_addc_co_u32_e32 v4, vcc, 0, v19, vcc
	v_add_co_u32_e32 v3, vcc, v3, v5
	v_addc_co_u32_e32 v4, vcc, 0, v4, vcc
	;; [unrolled: 2-line block ×60, first 2 shown]
	s_nop 0
	v_mov_b32_dpp v4, v1 quad_perm:[1,0,3,2] row_mask:0xf bank_mask:0xf bound_ctrl:1
	v_add_co_u32_e32 v1, vcc, v1, v4
	v_addc_co_u32_e32 v2, vcc, 0, v2, vcc
	v_mov_b32_dpp v5, v23 quad_perm:[1,0,3,2] row_mask:0xf bank_mask:0xf bound_ctrl:1
	v_add_co_u32_e32 v4, vcc, 0, v1
	v_addc_co_u32_e32 v2, vcc, v5, v2, vcc
	v_mov_b32_dpp v1, v1 quad_perm:[2,3,0,1] row_mask:0xf bank_mask:0xf bound_ctrl:1
	v_add_co_u32_e32 v1, vcc, v4, v1
	v_mov_b32_dpp v5, v2 quad_perm:[2,3,0,1] row_mask:0xf bank_mask:0xf bound_ctrl:1
	v_addc_co_u32_e32 v2, vcc, 0, v2, vcc
	v_add_co_u32_e32 v4, vcc, 0, v1
	v_addc_co_u32_e32 v2, vcc, v2, v5, vcc
	v_mov_b32_dpp v1, v1 row_ror:4 row_mask:0xf bank_mask:0xf bound_ctrl:1
	v_add_co_u32_e32 v1, vcc, v4, v1
	v_mov_b32_dpp v5, v2 row_ror:4 row_mask:0xf bank_mask:0xf bound_ctrl:1
	v_addc_co_u32_e32 v2, vcc, 0, v2, vcc
	v_add_co_u32_e32 v4, vcc, 0, v1
	v_addc_co_u32_e32 v2, vcc, v2, v5, vcc
	v_mov_b32_dpp v1, v1 row_ror:8 row_mask:0xf bank_mask:0xf bound_ctrl:1
	v_add_co_u32_e32 v1, vcc, v4, v1
	v_mov_b32_dpp v5, v2 row_ror:8 row_mask:0xf bank_mask:0xf bound_ctrl:1
	v_addc_co_u32_e32 v2, vcc, 0, v2, vcc
	v_add_co_u32_e32 v4, vcc, 0, v1
	v_addc_co_u32_e32 v2, vcc, v2, v5, vcc
	v_mov_b32_dpp v1, v1 row_bcast:15 row_mask:0xf bank_mask:0xf bound_ctrl:1
	v_add_co_u32_e32 v1, vcc, v4, v1
	v_mov_b32_dpp v5, v2 row_bcast:15 row_mask:0xf bank_mask:0xf bound_ctrl:1
	v_addc_co_u32_e32 v2, vcc, 0, v2, vcc
	v_add_co_u32_e32 v4, vcc, 0, v1
	v_addc_co_u32_e32 v2, vcc, v2, v5, vcc
	v_mov_b32_dpp v1, v1 row_bcast:31 row_mask:0xf bank_mask:0xf bound_ctrl:1
	v_mbcnt_lo_u32_b32 v3, -1, 0
	v_add_co_u32_e32 v1, vcc, v4, v1
	v_mbcnt_hi_u32_b32 v3, -1, v3
	v_addc_co_u32_e32 v4, vcc, 0, v2, vcc
	v_cmp_eq_u32_e32 vcc, 0, v3
	s_nop 0
	v_add_u32_dpp v2, v2, v4 row_bcast:31 row_mask:0xf bank_mask:0xf bound_ctrl:1
	v_lshlrev_b32_e32 v4, 2, v3
	v_or_b32_e32 v5, 0xfc, v4
	ds_bpermute_b32 v1, v5, v1
	ds_bpermute_b32 v2, v5, v2
	s_and_saveexec_b64 s[2:3], vcc
	s_cbranch_execz .LBB31_18
; %bb.17:
	v_lshrrev_b32_e32 v5, 3, v0
	v_and_b32_e32 v5, 8, v5
	s_waitcnt lgkmcnt(0)
	ds_write_b64 v5, v[1:2] offset:96
.LBB31_18:
	s_or_b64 exec, exec, s[2:3]
	v_cmp_gt_u32_e32 vcc, 64, v0
	s_waitcnt lgkmcnt(0)
	s_barrier
	s_and_saveexec_b64 s[2:3], vcc
	s_cbranch_execz .LBB31_20
; %bb.19:
	v_and_b32_e32 v1, 1, v3
	v_lshlrev_b32_e32 v1, 3, v1
	ds_read_b64 v[1:2], v1 offset:96
	v_or_b32_e32 v3, 4, v4
	s_waitcnt lgkmcnt(0)
	ds_bpermute_b32 v4, v3, v1
	ds_bpermute_b32 v3, v3, v2
	s_waitcnt lgkmcnt(1)
	v_add_co_u32_e32 v1, vcc, v1, v4
	v_addc_co_u32_e32 v2, vcc, 0, v2, vcc
	v_add_co_u32_e32 v1, vcc, 0, v1
	s_waitcnt lgkmcnt(0)
	v_addc_co_u32_e32 v2, vcc, v2, v3, vcc
.LBB31_20:
	s_or_b64 exec, exec, s[2:3]
	s_mov_b64 s[2:3], 0
	s_branch .LBB31_296
.LBB31_21:
	s_mov_b64 s[8:9], -1
                                        ; implicit-def: $vgpr1_vgpr2
.LBB31_22:
	s_and_b64 vcc, exec, s[8:9]
	s_cbranch_vccz .LBB31_294
; %bb.23:
	s_sub_i32 s10, s20, s10
	v_cmp_gt_u32_e32 vcc, s10, v0
                                        ; implicit-def: $vgpr1_vgpr2
                                        ; kill: killed $vgpr1_vgpr2
	s_and_saveexec_b64 s[8:9], vcc
	s_cbranch_execz .LBB31_25
; %bb.24:
	global_load_ubyte v1, v0, s[2:3]
	s_mov_b32 s11, 0
	v_mov_b32_e32 v2, s11
	s_waitcnt vmcnt(0)
	v_cmp_ne_u16_e32 vcc, 0, v1
	v_cndmask_b32_e64 v1, 0, 1, vcc
	buffer_store_dword v1, off, s[36:39], 0 offset:8 ; 4-byte Folded Spill
	s_nop 0
	buffer_store_dword v2, off, s[36:39], 0 offset:12 ; 4-byte Folded Spill
.LBB31_25:
	s_or_b64 exec, exec, s[8:9]
	v_or_b32_e32 v1, 0x80, v0
	v_mov_b32_e32 v2, 0
	v_mov_b32_e32 v5, 0
	;; [unrolled: 1-line block ×4, first 2 shown]
	v_cmp_gt_u32_e32 vcc, s10, v1
	s_and_saveexec_b64 s[8:9], vcc
	s_cbranch_execz .LBB31_27
; %bb.26:
	global_load_ubyte v1, v0, s[2:3] offset:128
	s_mov_b32 s11, 0
	v_mov_b32_e32 v6, s11
	s_waitcnt vmcnt(0)
	v_cmp_ne_u16_e32 vcc, 0, v1
	v_cndmask_b32_e64 v5, 0, 1, vcc
.LBB31_27:
	s_or_b64 exec, exec, s[8:9]
	v_or_b32_e32 v1, 0x100, v0
	v_cmp_gt_u32_e32 vcc, s10, v1
	s_and_saveexec_b64 s[8:9], vcc
	s_cbranch_execz .LBB31_29
; %bb.28:
	global_load_ubyte v1, v0, s[2:3] offset:256
	s_mov_b32 s11, 0
	v_mov_b32_e32 v3, s11
	s_waitcnt vmcnt(0)
	v_cmp_ne_u16_e32 vcc, 0, v1
	v_cndmask_b32_e64 v2, 0, 1, vcc
.LBB31_29:
	s_or_b64 exec, exec, s[8:9]
	v_or_b32_e32 v1, 0x180, v0
	v_mov_b32_e32 v7, 0
	v_mov_b32_e32 v9, 0
	;; [unrolled: 1-line block ×4, first 2 shown]
	v_cmp_gt_u32_e32 vcc, s10, v1
	buffer_store_dword v7, off, s[36:39], 0 ; 4-byte Folded Spill
	s_nop 0
	buffer_store_dword v8, off, s[36:39], 0 offset:4 ; 4-byte Folded Spill
	s_and_saveexec_b64 s[8:9], vcc
	s_cbranch_execz .LBB31_31
; %bb.30:
	global_load_ubyte v1, v0, s[2:3] offset:384
	s_mov_b32 s11, 0
	v_mov_b32_e32 v10, s11
	s_waitcnt vmcnt(0)
	v_cmp_ne_u16_e32 vcc, 0, v1
	v_cndmask_b32_e64 v9, 0, 1, vcc
.LBB31_31:
	s_or_b64 exec, exec, s[8:9]
	v_or_b32_e32 v1, 0x200, v0
	v_cmp_gt_u32_e32 vcc, s10, v1
	s_and_saveexec_b64 s[8:9], vcc
	s_cbranch_execz .LBB31_33
; %bb.32:
	global_load_ubyte v1, v0, s[2:3] offset:512
	s_mov_b32 s11, 0
	v_mov_b32_e32 v8, s11
	s_waitcnt vmcnt(0)
	v_cmp_ne_u16_e32 vcc, 0, v1
	v_cndmask_b32_e64 v7, 0, 1, vcc
	buffer_store_dword v7, off, s[36:39], 0 ; 4-byte Folded Spill
	s_nop 0
	buffer_store_dword v8, off, s[36:39], 0 offset:4 ; 4-byte Folded Spill
.LBB31_33:
	s_or_b64 exec, exec, s[8:9]
	v_or_b32_e32 v1, 0x280, v0
	v_mov_b32_e32 v11, 0
	v_mov_b32_e32 v13, 0
	v_mov_b32_e32 v12, 0
	v_mov_b32_e32 v14, 0
	v_cmp_gt_u32_e32 vcc, s10, v1
	s_and_saveexec_b64 s[8:9], vcc
	s_cbranch_execz .LBB31_35
; %bb.34:
	global_load_ubyte v1, v0, s[2:3] offset:640
	s_mov_b32 s11, 0
	v_mov_b32_e32 v14, s11
	s_waitcnt vmcnt(0)
	v_cmp_ne_u16_e32 vcc, 0, v1
	v_cndmask_b32_e64 v13, 0, 1, vcc
.LBB31_35:
	s_or_b64 exec, exec, s[8:9]
	v_or_b32_e32 v1, 0x300, v0
	v_cmp_gt_u32_e32 vcc, s10, v1
	s_and_saveexec_b64 s[8:9], vcc
	s_cbranch_execz .LBB31_37
; %bb.36:
	global_load_ubyte v1, v0, s[2:3] offset:768
	s_mov_b32 s11, 0
	v_mov_b32_e32 v12, s11
	s_waitcnt vmcnt(0)
	v_cmp_ne_u16_e32 vcc, 0, v1
	v_cndmask_b32_e64 v11, 0, 1, vcc
.LBB31_37:
	s_or_b64 exec, exec, s[8:9]
	v_or_b32_e32 v1, 0x380, v0
	v_mov_b32_e32 v15, 0
	v_mov_b32_e32 v17, 0
	v_mov_b32_e32 v16, 0
	v_mov_b32_e32 v18, 0
	v_cmp_gt_u32_e32 vcc, s10, v1
	s_and_saveexec_b64 s[8:9], vcc
	s_cbranch_execz .LBB31_39
; %bb.38:
	global_load_ubyte v1, v0, s[2:3] offset:896
	s_mov_b32 s11, 0
	v_mov_b32_e32 v18, s11
	s_waitcnt vmcnt(0)
	v_cmp_ne_u16_e32 vcc, 0, v1
	v_cndmask_b32_e64 v17, 0, 1, vcc
.LBB31_39:
	s_or_b64 exec, exec, s[8:9]
	v_or_b32_e32 v1, 0x400, v0
	v_cmp_gt_u32_e32 vcc, s10, v1
	s_and_saveexec_b64 s[8:9], vcc
	s_cbranch_execz .LBB31_41
; %bb.40:
	global_load_ubyte v1, v0, s[2:3] offset:1024
	s_mov_b32 s11, 0
	v_mov_b32_e32 v16, s11
	s_waitcnt vmcnt(0)
	v_cmp_ne_u16_e32 vcc, 0, v1
	v_cndmask_b32_e64 v15, 0, 1, vcc
.LBB31_41:
	s_or_b64 exec, exec, s[8:9]
	v_or_b32_e32 v1, 0x480, v0
	v_mov_b32_e32 v19, 0
	v_mov_b32_e32 v21, 0
	v_mov_b32_e32 v20, 0
	v_mov_b32_e32 v22, 0
	v_cmp_gt_u32_e32 vcc, s10, v1
	s_and_saveexec_b64 s[8:9], vcc
	s_cbranch_execz .LBB31_43
; %bb.42:
	global_load_ubyte v1, v0, s[2:3] offset:1152
	s_mov_b32 s11, 0
	v_mov_b32_e32 v22, s11
	s_waitcnt vmcnt(0)
	v_cmp_ne_u16_e32 vcc, 0, v1
	v_cndmask_b32_e64 v21, 0, 1, vcc
.LBB31_43:
	s_or_b64 exec, exec, s[8:9]
	v_or_b32_e32 v1, 0x500, v0
	v_cmp_gt_u32_e32 vcc, s10, v1
	s_and_saveexec_b64 s[8:9], vcc
	s_cbranch_execz .LBB31_45
; %bb.44:
	global_load_ubyte v1, v0, s[2:3] offset:1280
	s_mov_b32 s11, 0
	v_mov_b32_e32 v20, s11
	s_waitcnt vmcnt(0)
	v_cmp_ne_u16_e32 vcc, 0, v1
	v_cndmask_b32_e64 v19, 0, 1, vcc
.LBB31_45:
	s_or_b64 exec, exec, s[8:9]
	v_or_b32_e32 v1, 0x580, v0
	v_mov_b32_e32 v23, 0
	v_mov_b32_e32 v25, 0
	v_mov_b32_e32 v24, 0
	v_mov_b32_e32 v26, 0
	v_cmp_gt_u32_e32 vcc, s10, v1
	s_and_saveexec_b64 s[8:9], vcc
	s_cbranch_execz .LBB31_47
; %bb.46:
	global_load_ubyte v1, v0, s[2:3] offset:1408
	s_mov_b32 s11, 0
	v_mov_b32_e32 v26, s11
	s_waitcnt vmcnt(0)
	v_cmp_ne_u16_e32 vcc, 0, v1
	v_cndmask_b32_e64 v25, 0, 1, vcc
.LBB31_47:
	s_or_b64 exec, exec, s[8:9]
	v_or_b32_e32 v1, 0x600, v0
	v_cmp_gt_u32_e32 vcc, s10, v1
	s_and_saveexec_b64 s[8:9], vcc
	s_cbranch_execz .LBB31_49
; %bb.48:
	global_load_ubyte v1, v0, s[2:3] offset:1536
	s_mov_b32 s11, 0
	v_mov_b32_e32 v24, s11
	s_waitcnt vmcnt(0)
	v_cmp_ne_u16_e32 vcc, 0, v1
	v_cndmask_b32_e64 v23, 0, 1, vcc
.LBB31_49:
	s_or_b64 exec, exec, s[8:9]
	v_or_b32_e32 v1, 0x680, v0
	v_mov_b32_e32 v27, 0
	v_mov_b32_e32 v29, 0
	v_mov_b32_e32 v28, 0
	v_mov_b32_e32 v30, 0
	v_cmp_gt_u32_e32 vcc, s10, v1
	s_and_saveexec_b64 s[8:9], vcc
	s_cbranch_execz .LBB31_51
; %bb.50:
	global_load_ubyte v1, v0, s[2:3] offset:1664
	s_mov_b32 s11, 0
	v_mov_b32_e32 v30, s11
	s_waitcnt vmcnt(0)
	v_cmp_ne_u16_e32 vcc, 0, v1
	v_cndmask_b32_e64 v29, 0, 1, vcc
.LBB31_51:
	s_or_b64 exec, exec, s[8:9]
	v_or_b32_e32 v1, 0x700, v0
	v_cmp_gt_u32_e32 vcc, s10, v1
	s_and_saveexec_b64 s[8:9], vcc
	s_cbranch_execz .LBB31_53
; %bb.52:
	global_load_ubyte v1, v0, s[2:3] offset:1792
	s_mov_b32 s11, 0
	v_mov_b32_e32 v28, s11
	s_waitcnt vmcnt(0)
	v_cmp_ne_u16_e32 vcc, 0, v1
	v_cndmask_b32_e64 v27, 0, 1, vcc
.LBB31_53:
	s_or_b64 exec, exec, s[8:9]
	v_or_b32_e32 v1, 0x780, v0
	v_mov_b32_e32 v31, 0
	v_mov_b32_e32 v33, 0
	v_mov_b32_e32 v32, 0
	v_mov_b32_e32 v34, 0
	v_cmp_gt_u32_e32 vcc, s10, v1
	s_and_saveexec_b64 s[8:9], vcc
	s_cbranch_execz .LBB31_55
; %bb.54:
	global_load_ubyte v1, v0, s[2:3] offset:1920
	s_mov_b32 s11, 0
	v_mov_b32_e32 v34, s11
	s_waitcnt vmcnt(0)
	v_cmp_ne_u16_e32 vcc, 0, v1
	v_cndmask_b32_e64 v33, 0, 1, vcc
.LBB31_55:
	s_or_b64 exec, exec, s[8:9]
	v_or_b32_e32 v1, 0x800, v0
	v_cmp_gt_u32_e32 vcc, s10, v1
	s_and_saveexec_b64 s[8:9], vcc
	s_cbranch_execz .LBB31_57
; %bb.56:
	global_load_ubyte v1, v0, s[2:3] offset:2048
	s_mov_b32 s11, 0
	v_mov_b32_e32 v32, s11
	s_waitcnt vmcnt(0)
	v_cmp_ne_u16_e32 vcc, 0, v1
	v_cndmask_b32_e64 v31, 0, 1, vcc
.LBB31_57:
	s_or_b64 exec, exec, s[8:9]
	v_or_b32_e32 v1, 0x880, v0
	v_mov_b32_e32 v35, 0
	v_mov_b32_e32 v37, 0
	v_mov_b32_e32 v36, 0
	v_mov_b32_e32 v38, 0
	v_cmp_gt_u32_e32 vcc, s10, v1
	s_and_saveexec_b64 s[8:9], vcc
	s_cbranch_execz .LBB31_59
; %bb.58:
	global_load_ubyte v1, v0, s[2:3] offset:2176
	s_mov_b32 s11, 0
	v_mov_b32_e32 v38, s11
	s_waitcnt vmcnt(0)
	v_cmp_ne_u16_e32 vcc, 0, v1
	v_cndmask_b32_e64 v37, 0, 1, vcc
.LBB31_59:
	s_or_b64 exec, exec, s[8:9]
	v_or_b32_e32 v1, 0x900, v0
	v_cmp_gt_u32_e32 vcc, s10, v1
	s_and_saveexec_b64 s[8:9], vcc
	s_cbranch_execz .LBB31_61
; %bb.60:
	global_load_ubyte v1, v0, s[2:3] offset:2304
	s_mov_b32 s11, 0
	v_mov_b32_e32 v36, s11
	s_waitcnt vmcnt(0)
	v_cmp_ne_u16_e32 vcc, 0, v1
	v_cndmask_b32_e64 v35, 0, 1, vcc
.LBB31_61:
	s_or_b64 exec, exec, s[8:9]
	v_or_b32_e32 v1, 0x980, v0
	v_mov_b32_e32 v39, 0
	v_mov_b32_e32 v41, 0
	v_mov_b32_e32 v40, 0
	v_mov_b32_e32 v42, 0
	v_cmp_gt_u32_e32 vcc, s10, v1
	s_and_saveexec_b64 s[8:9], vcc
	s_cbranch_execz .LBB31_63
; %bb.62:
	global_load_ubyte v1, v0, s[2:3] offset:2432
	s_mov_b32 s11, 0
	v_mov_b32_e32 v42, s11
	s_waitcnt vmcnt(0)
	v_cmp_ne_u16_e32 vcc, 0, v1
	v_cndmask_b32_e64 v41, 0, 1, vcc
.LBB31_63:
	s_or_b64 exec, exec, s[8:9]
	v_or_b32_e32 v1, 0xa00, v0
	v_cmp_gt_u32_e32 vcc, s10, v1
	s_and_saveexec_b64 s[8:9], vcc
	s_cbranch_execz .LBB31_65
; %bb.64:
	global_load_ubyte v1, v0, s[2:3] offset:2560
	s_mov_b32 s11, 0
	v_mov_b32_e32 v40, s11
	s_waitcnt vmcnt(0)
	v_cmp_ne_u16_e32 vcc, 0, v1
	v_cndmask_b32_e64 v39, 0, 1, vcc
.LBB31_65:
	s_or_b64 exec, exec, s[8:9]
	v_or_b32_e32 v1, 0xa80, v0
	v_mov_b32_e32 v43, 0
	v_mov_b32_e32 v45, 0
	v_mov_b32_e32 v44, 0
	v_mov_b32_e32 v46, 0
	v_cmp_gt_u32_e32 vcc, s10, v1
	s_and_saveexec_b64 s[8:9], vcc
	s_cbranch_execz .LBB31_67
; %bb.66:
	global_load_ubyte v1, v0, s[2:3] offset:2688
	s_mov_b32 s11, 0
	v_mov_b32_e32 v46, s11
	s_waitcnt vmcnt(0)
	v_cmp_ne_u16_e32 vcc, 0, v1
	v_cndmask_b32_e64 v45, 0, 1, vcc
.LBB31_67:
	s_or_b64 exec, exec, s[8:9]
	v_or_b32_e32 v1, 0xb00, v0
	v_cmp_gt_u32_e32 vcc, s10, v1
	s_and_saveexec_b64 s[8:9], vcc
	s_cbranch_execz .LBB31_69
; %bb.68:
	global_load_ubyte v1, v0, s[2:3] offset:2816
	s_mov_b32 s11, 0
	v_mov_b32_e32 v44, s11
	s_waitcnt vmcnt(0)
	v_cmp_ne_u16_e32 vcc, 0, v1
	v_cndmask_b32_e64 v43, 0, 1, vcc
.LBB31_69:
	s_or_b64 exec, exec, s[8:9]
	v_or_b32_e32 v1, 0xb80, v0
	v_mov_b32_e32 v47, 0
	v_mov_b32_e32 v49, 0
	v_mov_b32_e32 v48, 0
	v_mov_b32_e32 v50, 0
	v_cmp_gt_u32_e32 vcc, s10, v1
	s_and_saveexec_b64 s[8:9], vcc
	s_cbranch_execz .LBB31_71
; %bb.70:
	global_load_ubyte v1, v0, s[2:3] offset:2944
	s_mov_b32 s11, 0
	v_mov_b32_e32 v50, s11
	s_waitcnt vmcnt(0)
	v_cmp_ne_u16_e32 vcc, 0, v1
	v_cndmask_b32_e64 v49, 0, 1, vcc
.LBB31_71:
	s_or_b64 exec, exec, s[8:9]
	v_or_b32_e32 v1, 0xc00, v0
	v_cmp_gt_u32_e32 vcc, s10, v1
	s_and_saveexec_b64 s[8:9], vcc
	s_cbranch_execz .LBB31_73
; %bb.72:
	global_load_ubyte v1, v0, s[2:3] offset:3072
	s_mov_b32 s11, 0
	v_mov_b32_e32 v48, s11
	s_waitcnt vmcnt(0)
	v_cmp_ne_u16_e32 vcc, 0, v1
	v_cndmask_b32_e64 v47, 0, 1, vcc
.LBB31_73:
	s_or_b64 exec, exec, s[8:9]
	v_or_b32_e32 v1, 0xc80, v0
	v_mov_b32_e32 v51, 0
	v_mov_b32_e32 v53, 0
	v_mov_b32_e32 v52, 0
	v_mov_b32_e32 v54, 0
	v_cmp_gt_u32_e32 vcc, s10, v1
	s_and_saveexec_b64 s[8:9], vcc
	s_cbranch_execz .LBB31_75
; %bb.74:
	global_load_ubyte v1, v0, s[2:3] offset:3200
	s_mov_b32 s11, 0
	v_mov_b32_e32 v54, s11
	s_waitcnt vmcnt(0)
	v_cmp_ne_u16_e32 vcc, 0, v1
	v_cndmask_b32_e64 v53, 0, 1, vcc
.LBB31_75:
	s_or_b64 exec, exec, s[8:9]
	v_or_b32_e32 v1, 0xd00, v0
	v_cmp_gt_u32_e32 vcc, s10, v1
	s_and_saveexec_b64 s[8:9], vcc
	s_cbranch_execz .LBB31_77
; %bb.76:
	global_load_ubyte v1, v0, s[2:3] offset:3328
	s_mov_b32 s11, 0
	v_mov_b32_e32 v52, s11
	s_waitcnt vmcnt(0)
	v_cmp_ne_u16_e32 vcc, 0, v1
	v_cndmask_b32_e64 v51, 0, 1, vcc
.LBB31_77:
	s_or_b64 exec, exec, s[8:9]
	v_or_b32_e32 v1, 0xd80, v0
	v_mov_b32_e32 v55, 0
	v_mov_b32_e32 v57, 0
	v_mov_b32_e32 v56, 0
	v_mov_b32_e32 v58, 0
	v_cmp_gt_u32_e32 vcc, s10, v1
	s_and_saveexec_b64 s[8:9], vcc
	s_cbranch_execz .LBB31_79
; %bb.78:
	global_load_ubyte v1, v0, s[2:3] offset:3456
	s_mov_b32 s11, 0
	v_mov_b32_e32 v58, s11
	s_waitcnt vmcnt(0)
	v_cmp_ne_u16_e32 vcc, 0, v1
	v_cndmask_b32_e64 v57, 0, 1, vcc
.LBB31_79:
	s_or_b64 exec, exec, s[8:9]
	v_or_b32_e32 v1, 0xe00, v0
	v_cmp_gt_u32_e32 vcc, s10, v1
	s_and_saveexec_b64 s[8:9], vcc
	s_cbranch_execz .LBB31_81
; %bb.80:
	global_load_ubyte v1, v0, s[2:3] offset:3584
	s_mov_b32 s11, 0
	v_mov_b32_e32 v56, s11
	s_waitcnt vmcnt(0)
	v_cmp_ne_u16_e32 vcc, 0, v1
	v_cndmask_b32_e64 v55, 0, 1, vcc
.LBB31_81:
	s_or_b64 exec, exec, s[8:9]
	v_or_b32_e32 v1, 0xe80, v0
	v_mov_b32_e32 v59, 0
	v_mov_b32_e32 v61, 0
	v_mov_b32_e32 v60, 0
	v_mov_b32_e32 v62, 0
	v_cmp_gt_u32_e32 vcc, s10, v1
	s_and_saveexec_b64 s[8:9], vcc
	s_cbranch_execz .LBB31_83
; %bb.82:
	global_load_ubyte v1, v0, s[2:3] offset:3712
	s_mov_b32 s11, 0
	v_mov_b32_e32 v62, s11
	s_waitcnt vmcnt(0)
	v_cmp_ne_u16_e32 vcc, 0, v1
	v_cndmask_b32_e64 v61, 0, 1, vcc
.LBB31_83:
	s_or_b64 exec, exec, s[8:9]
	v_or_b32_e32 v1, 0xf00, v0
	v_cmp_gt_u32_e32 vcc, s10, v1
	s_and_saveexec_b64 s[8:9], vcc
	s_cbranch_execz .LBB31_85
; %bb.84:
	global_load_ubyte v1, v0, s[2:3] offset:3840
	s_mov_b32 s11, 0
	v_mov_b32_e32 v60, s11
	s_waitcnt vmcnt(0)
	v_cmp_ne_u16_e32 vcc, 0, v1
	v_cndmask_b32_e64 v59, 0, 1, vcc
.LBB31_85:
	s_or_b64 exec, exec, s[8:9]
	v_or_b32_e32 v1, 0xf80, v0
	v_mov_b32_e32 v63, 0
	v_mov_b32_e32 v65, 0
	;; [unrolled: 1-line block ×4, first 2 shown]
	v_cmp_gt_u32_e32 vcc, s10, v1
	s_and_saveexec_b64 s[8:9], vcc
	s_cbranch_execz .LBB31_87
; %bb.86:
	global_load_ubyte v1, v0, s[2:3] offset:3968
	s_mov_b32 s11, 0
	v_mov_b32_e32 v66, s11
	s_waitcnt vmcnt(0)
	v_cmp_ne_u16_e32 vcc, 0, v1
	v_cndmask_b32_e64 v65, 0, 1, vcc
.LBB31_87:
	s_or_b64 exec, exec, s[8:9]
	v_or_b32_e32 v1, 0x1000, v0
	v_cmp_gt_u32_e32 vcc, s10, v1
	s_and_saveexec_b64 s[8:9], vcc
	s_cbranch_execz .LBB31_89
; %bb.88:
	global_load_ubyte v1, v1, s[2:3]
	s_mov_b32 s11, 0
	v_mov_b32_e32 v64, s11
	s_waitcnt vmcnt(0)
	v_cmp_ne_u16_e32 vcc, 0, v1
	v_cndmask_b32_e64 v63, 0, 1, vcc
.LBB31_89:
	s_or_b64 exec, exec, s[8:9]
	v_or_b32_e32 v1, 0x1080, v0
	v_mov_b32_e32 v67, 0
	v_mov_b32_e32 v69, 0
	v_mov_b32_e32 v68, 0
	v_mov_b32_e32 v70, 0
	v_cmp_gt_u32_e32 vcc, s10, v1
	s_and_saveexec_b64 s[8:9], vcc
	s_cbranch_execz .LBB31_91
; %bb.90:
	global_load_ubyte v1, v1, s[2:3]
	s_mov_b32 s11, 0
	v_mov_b32_e32 v70, s11
	s_waitcnt vmcnt(0)
	v_cmp_ne_u16_e32 vcc, 0, v1
	v_cndmask_b32_e64 v69, 0, 1, vcc
.LBB31_91:
	s_or_b64 exec, exec, s[8:9]
	v_or_b32_e32 v1, 0x1100, v0
	v_cmp_gt_u32_e32 vcc, s10, v1
	s_and_saveexec_b64 s[8:9], vcc
	s_cbranch_execz .LBB31_93
; %bb.92:
	global_load_ubyte v1, v1, s[2:3]
	s_mov_b32 s11, 0
	v_mov_b32_e32 v68, s11
	s_waitcnt vmcnt(0)
	v_cmp_ne_u16_e32 vcc, 0, v1
	v_cndmask_b32_e64 v67, 0, 1, vcc
.LBB31_93:
	s_or_b64 exec, exec, s[8:9]
	v_or_b32_e32 v1, 0x1180, v0
	v_mov_b32_e32 v71, 0
	v_mov_b32_e32 v73, 0
	v_mov_b32_e32 v72, 0
	v_mov_b32_e32 v74, 0
	v_cmp_gt_u32_e32 vcc, s10, v1
	s_and_saveexec_b64 s[8:9], vcc
	s_cbranch_execz .LBB31_95
; %bb.94:
	global_load_ubyte v1, v1, s[2:3]
	s_mov_b32 s11, 0
	v_mov_b32_e32 v74, s11
	s_waitcnt vmcnt(0)
	v_cmp_ne_u16_e32 vcc, 0, v1
	v_cndmask_b32_e64 v73, 0, 1, vcc
.LBB31_95:
	;; [unrolled: 30-line block ×47, first 2 shown]
	s_or_b64 exec, exec, s[8:9]
	v_or_b32_e32 v1, 0x3f00, v0
	v_cmp_gt_u32_e32 vcc, s10, v1
	s_and_saveexec_b64 s[8:9], vcc
	s_cbranch_execz .LBB31_277
; %bb.276:
	global_load_ubyte v1, v1, s[2:3]
	s_mov_b32 s11, 0
	v_mov_b32_e32 v252, s11
	s_waitcnt vmcnt(0)
	v_cmp_ne_u16_e32 vcc, 0, v1
	v_cndmask_b32_e64 v251, 0, 1, vcc
.LBB31_277:
	s_or_b64 exec, exec, s[8:9]
	v_mov_b32_e32 v8, v3
	v_mov_b32_e32 v7, v2
	v_or_b32_e32 v255, 0x3f80, v0
	v_mov_b32_e32 v1, 0
	v_mov_b32_e32 v2, 0
	v_cmp_gt_u32_e32 vcc, s10, v255
	s_and_saveexec_b64 s[8:9], vcc
	s_cbranch_execz .LBB31_279
; %bb.278:
	global_load_ubyte v1, v255, s[2:3]
	s_mov_b32 s2, 0
	v_mov_b32_e32 v2, s2
	s_waitcnt vmcnt(0)
	v_cmp_ne_u16_e32 vcc, 0, v1
	v_cndmask_b32_e64 v1, 0, 1, vcc
.LBB31_279:
	s_or_b64 exec, exec, s[8:9]
	buffer_load_dword v3, off, s[36:39], 0 offset:8 ; 4-byte Folded Reload
	buffer_load_dword v4, off, s[36:39], 0 offset:12 ; 4-byte Folded Reload
	s_min_u32 s8, s10, 0x80
	s_waitcnt vmcnt(1)
	v_add_co_u32_e32 v5, vcc, v5, v3
	s_waitcnt vmcnt(0)
	v_addc_co_u32_e32 v6, vcc, v6, v4, vcc
	v_add_co_u32_e32 v3, vcc, v5, v7
	v_addc_co_u32_e32 v4, vcc, v6, v8, vcc
	buffer_load_dword v5, off, s[36:39], 0  ; 4-byte Folded Reload
	buffer_load_dword v6, off, s[36:39], 0 offset:4 ; 4-byte Folded Reload
	v_add_co_u32_e32 v3, vcc, v3, v9
	v_addc_co_u32_e32 v4, vcc, v4, v10, vcc
	s_waitcnt vmcnt(1)
	v_add_co_u32_e32 v3, vcc, v3, v5
	s_waitcnt vmcnt(0)
	v_addc_co_u32_e32 v4, vcc, v4, v6, vcc
	v_add_co_u32_e32 v3, vcc, v3, v13
	v_addc_co_u32_e32 v4, vcc, v4, v14, vcc
	v_add_co_u32_e32 v3, vcc, v3, v11
	;; [unrolled: 2-line block ×123, first 2 shown]
	v_mbcnt_lo_u32_b32 v3, -1, 0
	v_mbcnt_hi_u32_b32 v3, -1, v3
	v_addc_co_u32_e32 v2, vcc, v4, v2, vcc
	v_and_b32_e32 v4, 63, v3
	v_cmp_ne_u32_e32 vcc, 63, v4
	v_addc_co_u32_e32 v6, vcc, 0, v3, vcc
	v_lshlrev_b32_e32 v6, 2, v6
	ds_bpermute_b32 v8, v6, v1
	ds_bpermute_b32 v7, v6, v2
	v_and_b32_e32 v5, 64, v0
	v_sub_u32_e64 v5, s8, v5 clamp
	v_add_u32_e32 v6, 1, v4
	v_cmp_lt_u32_e32 vcc, v6, v5
	v_mov_b32_e32 v6, v1
	s_and_saveexec_b64 s[2:3], vcc
	s_cbranch_execz .LBB31_281
; %bb.280:
	s_waitcnt lgkmcnt(1)
	v_add_co_u32_e32 v6, vcc, v1, v8
	v_addc_co_u32_e32 v2, vcc, 0, v2, vcc
	v_add_co_u32_e32 v1, vcc, 0, v6
	s_waitcnt lgkmcnt(0)
	v_addc_co_u32_e32 v2, vcc, v7, v2, vcc
.LBB31_281:
	s_or_b64 exec, exec, s[2:3]
	v_cmp_gt_u32_e32 vcc, 62, v4
	s_waitcnt lgkmcnt(0)
	v_cndmask_b32_e64 v7, 0, 2, vcc
	v_add_lshl_u32 v7, v7, v3, 2
	ds_bpermute_b32 v8, v7, v6
	ds_bpermute_b32 v7, v7, v2
	v_add_u32_e32 v9, 2, v4
	v_cmp_lt_u32_e32 vcc, v9, v5
	s_and_saveexec_b64 s[2:3], vcc
	s_cbranch_execz .LBB31_283
; %bb.282:
	s_waitcnt lgkmcnt(1)
	v_add_co_u32_e32 v6, vcc, v1, v8
	v_addc_co_u32_e32 v2, vcc, 0, v2, vcc
	v_add_co_u32_e32 v1, vcc, 0, v6
	s_waitcnt lgkmcnt(0)
	v_addc_co_u32_e32 v2, vcc, v7, v2, vcc
.LBB31_283:
	s_or_b64 exec, exec, s[2:3]
	v_cmp_gt_u32_e32 vcc, 60, v4
	s_waitcnt lgkmcnt(0)
	v_cndmask_b32_e64 v7, 0, 4, vcc
	v_add_lshl_u32 v7, v7, v3, 2
	ds_bpermute_b32 v8, v7, v6
	ds_bpermute_b32 v7, v7, v2
	v_add_u32_e32 v9, 4, v4
	v_cmp_lt_u32_e32 vcc, v9, v5
	;; [unrolled: 19-line block ×4, first 2 shown]
	s_and_saveexec_b64 s[2:3], vcc
	s_cbranch_execz .LBB31_289
; %bb.288:
	s_waitcnt lgkmcnt(1)
	v_add_co_u32_e32 v6, vcc, v1, v8
	v_addc_co_u32_e32 v2, vcc, 0, v2, vcc
	v_add_co_u32_e32 v1, vcc, 0, v6
	s_waitcnt lgkmcnt(0)
	v_addc_co_u32_e32 v2, vcc, v7, v2, vcc
.LBB31_289:
	s_or_b64 exec, exec, s[2:3]
	s_waitcnt lgkmcnt(0)
	v_lshlrev_b32_e32 v7, 2, v3
	v_or_b32_e32 v8, 0x80, v7
	ds_bpermute_b32 v6, v8, v6
	ds_bpermute_b32 v8, v8, v2
	v_add_u32_e32 v4, 32, v4
	s_waitcnt lgkmcnt(1)
	v_add_co_u32_e32 v6, vcc, v1, v6
	v_addc_co_u32_e32 v9, vcc, 0, v2, vcc
	v_add_co_u32_e32 v6, vcc, 0, v6
	s_waitcnt lgkmcnt(0)
	v_addc_co_u32_e32 v8, vcc, v9, v8, vcc
	v_cmp_lt_u32_e32 vcc, v4, v5
	v_cndmask_b32_e32 v2, v2, v8, vcc
	v_cndmask_b32_e32 v1, v1, v6, vcc
	v_cmp_eq_u32_e32 vcc, 0, v3
	s_and_saveexec_b64 s[2:3], vcc
; %bb.290:
	v_lshrrev_b32_e32 v4, 3, v0
	v_and_b32_e32 v4, 8, v4
	ds_write_b64 v4, v[1:2] offset:128
; %bb.291:
	s_or_b64 exec, exec, s[2:3]
	v_cmp_gt_u32_e32 vcc, 2, v0
	s_waitcnt lgkmcnt(0)
	s_barrier
	s_and_saveexec_b64 s[2:3], vcc
	s_cbranch_execz .LBB31_293
; %bb.292:
	v_lshlrev_b32_e32 v1, 3, v3
	ds_read_b64 v[1:2], v1 offset:128
	v_or_b32_e32 v4, 4, v7
	s_add_i32 s8, s8, 63
	v_and_b32_e32 v3, 1, v3
	s_lshr_b32 s8, s8, 6
	s_waitcnt lgkmcnt(0)
	ds_bpermute_b32 v5, v4, v2
	ds_bpermute_b32 v4, v4, v1
	v_add_u32_e32 v3, 1, v3
	v_cmp_gt_u32_e32 vcc, s8, v3
	s_waitcnt lgkmcnt(1)
	v_cndmask_b32_e32 v3, 0, v5, vcc
	s_waitcnt lgkmcnt(0)
	v_cndmask_b32_e32 v4, 0, v4, vcc
	v_add_co_u32_e32 v1, vcc, v4, v1
	v_addc_co_u32_e32 v2, vcc, v3, v2, vcc
.LBB31_293:
	s_or_b64 exec, exec, s[2:3]
.LBB31_294:
	v_mov_b32_e32 v3, s6
	v_cmp_eq_u32_e64 s[2:3], 0, v0
	v_mov_b32_e32 v4, s7
	s_and_b64 vcc, exec, s[0:1]
	s_cbranch_vccnz .LBB31_14
	s_branch .LBB31_441
.LBB31_295:
	s_mov_b64 s[2:3], -1
                                        ; implicit-def: $vgpr1_vgpr2
.LBB31_296:
	s_and_b64 vcc, exec, s[2:3]
	s_cbranch_vccz .LBB31_440
; %bb.297:
	s_sub_i32 s8, s20, s8
	v_cmp_gt_u32_e32 vcc, s8, v0
                                        ; implicit-def: $vgpr1_vgpr2
	s_and_saveexec_b64 s[2:3], vcc
	s_cbranch_execz .LBB31_299
; %bb.298:
	global_load_ubyte v1, v0, s[0:1]
	s_mov_b32 s9, 0
	v_mov_b32_e32 v2, s9
	s_waitcnt vmcnt(0)
	v_cmp_ne_u16_e32 vcc, 0, v1
	v_cndmask_b32_e64 v1, 0, 1, vcc
.LBB31_299:
	s_or_b64 exec, exec, s[2:3]
	v_or_b32_e32 v7, 0x80, v0
	v_mov_b32_e32 v3, 0
	v_mov_b32_e32 v5, 0
	v_mov_b32_e32 v4, 0
	v_mov_b32_e32 v6, 0
	v_cmp_gt_u32_e32 vcc, s8, v7
	s_and_saveexec_b64 s[2:3], vcc
	s_cbranch_execz .LBB31_301
; %bb.300:
	global_load_ubyte v5, v0, s[0:1] offset:128
	s_mov_b32 s9, 0
	v_mov_b32_e32 v6, s9
	s_waitcnt vmcnt(0)
	v_cmp_ne_u16_e32 vcc, 0, v5
	v_cndmask_b32_e64 v5, 0, 1, vcc
.LBB31_301:
	s_or_b64 exec, exec, s[2:3]
	v_or_b32_e32 v7, 0x100, v0
	v_cmp_gt_u32_e32 vcc, s8, v7
	s_and_saveexec_b64 s[2:3], vcc
	s_cbranch_execz .LBB31_303
; %bb.302:
	global_load_ubyte v3, v0, s[0:1] offset:256
	s_mov_b32 s9, 0
	v_mov_b32_e32 v4, s9
	s_waitcnt vmcnt(0)
	v_cmp_ne_u16_e32 vcc, 0, v3
	v_cndmask_b32_e64 v3, 0, 1, vcc
.LBB31_303:
	s_or_b64 exec, exec, s[2:3]
	v_or_b32_e32 v11, 0x180, v0
	v_mov_b32_e32 v7, 0
	v_mov_b32_e32 v9, 0
	v_mov_b32_e32 v8, 0
	v_mov_b32_e32 v10, 0
	v_cmp_gt_u32_e32 vcc, s8, v11
	s_and_saveexec_b64 s[2:3], vcc
	s_cbranch_execz .LBB31_305
; %bb.304:
	global_load_ubyte v9, v0, s[0:1] offset:384
	s_mov_b32 s9, 0
	v_mov_b32_e32 v10, s9
	s_waitcnt vmcnt(0)
	v_cmp_ne_u16_e32 vcc, 0, v9
	v_cndmask_b32_e64 v9, 0, 1, vcc
.LBB31_305:
	s_or_b64 exec, exec, s[2:3]
	v_or_b32_e32 v11, 0x200, v0
	v_cmp_gt_u32_e32 vcc, s8, v11
	s_and_saveexec_b64 s[2:3], vcc
	s_cbranch_execz .LBB31_307
; %bb.306:
	global_load_ubyte v7, v0, s[0:1] offset:512
	s_mov_b32 s9, 0
	v_mov_b32_e32 v8, s9
	s_waitcnt vmcnt(0)
	v_cmp_ne_u16_e32 vcc, 0, v7
	v_cndmask_b32_e64 v7, 0, 1, vcc
.LBB31_307:
	;; [unrolled: 30-line block ×15, first 2 shown]
	s_or_b64 exec, exec, s[2:3]
	v_or_b32_e32 v67, 0xf80, v0
	v_mov_b32_e32 v63, 0
	v_mov_b32_e32 v65, 0
	;; [unrolled: 1-line block ×4, first 2 shown]
	v_cmp_gt_u32_e32 vcc, s8, v67
	s_and_saveexec_b64 s[2:3], vcc
	s_cbranch_execz .LBB31_361
; %bb.360:
	global_load_ubyte v65, v0, s[0:1] offset:3968
	s_mov_b32 s9, 0
	v_mov_b32_e32 v66, s9
	s_waitcnt vmcnt(0)
	v_cmp_ne_u16_e32 vcc, 0, v65
	v_cndmask_b32_e64 v65, 0, 1, vcc
.LBB31_361:
	s_or_b64 exec, exec, s[2:3]
	v_or_b32_e32 v67, 0x1000, v0
	v_cmp_gt_u32_e32 vcc, s8, v67
	s_and_saveexec_b64 s[2:3], vcc
	s_cbranch_execz .LBB31_363
; %bb.362:
	global_load_ubyte v63, v67, s[0:1]
	s_mov_b32 s9, 0
	v_mov_b32_e32 v64, s9
	s_waitcnt vmcnt(0)
	v_cmp_ne_u16_e32 vcc, 0, v63
	v_cndmask_b32_e64 v63, 0, 1, vcc
.LBB31_363:
	s_or_b64 exec, exec, s[2:3]
	v_or_b32_e32 v71, 0x1080, v0
	v_mov_b32_e32 v67, 0
	v_mov_b32_e32 v69, 0
	v_mov_b32_e32 v68, 0
	v_mov_b32_e32 v70, 0
	v_cmp_gt_u32_e32 vcc, s8, v71
	s_and_saveexec_b64 s[2:3], vcc
	s_cbranch_execz .LBB31_365
; %bb.364:
	global_load_ubyte v69, v71, s[0:1]
	s_mov_b32 s9, 0
	v_mov_b32_e32 v70, s9
	s_waitcnt vmcnt(0)
	v_cmp_ne_u16_e32 vcc, 0, v69
	v_cndmask_b32_e64 v69, 0, 1, vcc
.LBB31_365:
	s_or_b64 exec, exec, s[2:3]
	v_or_b32_e32 v71, 0x1100, v0
	v_cmp_gt_u32_e32 vcc, s8, v71
	s_and_saveexec_b64 s[2:3], vcc
	s_cbranch_execz .LBB31_367
; %bb.366:
	global_load_ubyte v67, v71, s[0:1]
	s_mov_b32 s9, 0
	v_mov_b32_e32 v68, s9
	s_waitcnt vmcnt(0)
	v_cmp_ne_u16_e32 vcc, 0, v67
	v_cndmask_b32_e64 v67, 0, 1, vcc
.LBB31_367:
	s_or_b64 exec, exec, s[2:3]
	v_or_b32_e32 v75, 0x1180, v0
	v_mov_b32_e32 v71, 0
	v_mov_b32_e32 v73, 0
	v_mov_b32_e32 v72, 0
	v_mov_b32_e32 v74, 0
	v_cmp_gt_u32_e32 vcc, s8, v75
	s_and_saveexec_b64 s[2:3], vcc
	s_cbranch_execz .LBB31_369
; %bb.368:
	global_load_ubyte v73, v75, s[0:1]
	s_mov_b32 s9, 0
	v_mov_b32_e32 v74, s9
	s_waitcnt vmcnt(0)
	v_cmp_ne_u16_e32 vcc, 0, v73
	v_cndmask_b32_e64 v73, 0, 1, vcc
.LBB31_369:
	;; [unrolled: 30-line block ×15, first 2 shown]
	s_or_b64 exec, exec, s[2:3]
	v_or_b32_e32 v127, 0x1f00, v0
	v_cmp_gt_u32_e32 vcc, s8, v127
	s_and_saveexec_b64 s[2:3], vcc
	s_cbranch_execz .LBB31_423
; %bb.422:
	global_load_ubyte v123, v127, s[0:1]
	s_mov_b32 s9, 0
	v_mov_b32_e32 v124, s9
	s_waitcnt vmcnt(0)
	v_cmp_ne_u16_e32 vcc, 0, v123
	v_cndmask_b32_e64 v123, 0, 1, vcc
.LBB31_423:
	s_or_b64 exec, exec, s[2:3]
	v_or_b32_e32 v129, 0x1f80, v0
	v_mov_b32_e32 v127, 0
	v_mov_b32_e32 v128, 0
	v_cmp_gt_u32_e32 vcc, s8, v129
	s_and_saveexec_b64 s[2:3], vcc
	s_cbranch_execz .LBB31_425
; %bb.424:
	global_load_ubyte v127, v129, s[0:1]
	s_mov_b32 s0, 0
	v_mov_b32_e32 v128, s0
	s_waitcnt vmcnt(0)
	v_cmp_ne_u16_e32 vcc, 0, v127
	v_cndmask_b32_e64 v127, 0, 1, vcc
.LBB31_425:
	s_or_b64 exec, exec, s[2:3]
	v_add_co_u32_e32 v1, vcc, v5, v1
	v_addc_co_u32_e32 v2, vcc, v6, v2, vcc
	v_add_co_u32_e32 v1, vcc, v1, v3
	v_addc_co_u32_e32 v2, vcc, v2, v4, vcc
	;; [unrolled: 2-line block ×62, first 2 shown]
	v_mbcnt_lo_u32_b32 v3, -1, 0
	v_add_co_u32_e32 v1, vcc, v1, v127
	v_mbcnt_hi_u32_b32 v3, -1, v3
	v_addc_co_u32_e32 v2, vcc, v2, v128, vcc
	v_and_b32_e32 v4, 63, v3
	v_cmp_ne_u32_e32 vcc, 63, v4
	v_addc_co_u32_e32 v6, vcc, 0, v3, vcc
	v_lshlrev_b32_e32 v6, 2, v6
	ds_bpermute_b32 v8, v6, v1
	ds_bpermute_b32 v7, v6, v2
	s_min_u32 s2, s8, 0x80
	v_and_b32_e32 v5, 64, v0
	v_sub_u32_e64 v5, s2, v5 clamp
	v_add_u32_e32 v6, 1, v4
	v_cmp_lt_u32_e32 vcc, v6, v5
	v_mov_b32_e32 v6, v1
	s_and_saveexec_b64 s[0:1], vcc
	s_cbranch_execz .LBB31_427
; %bb.426:
	s_waitcnt lgkmcnt(1)
	v_add_co_u32_e32 v6, vcc, v1, v8
	v_addc_co_u32_e32 v2, vcc, 0, v2, vcc
	v_add_co_u32_e32 v1, vcc, 0, v6
	s_waitcnt lgkmcnt(0)
	v_addc_co_u32_e32 v2, vcc, v7, v2, vcc
.LBB31_427:
	s_or_b64 exec, exec, s[0:1]
	v_cmp_gt_u32_e32 vcc, 62, v4
	s_waitcnt lgkmcnt(0)
	v_cndmask_b32_e64 v7, 0, 2, vcc
	v_add_lshl_u32 v7, v7, v3, 2
	ds_bpermute_b32 v8, v7, v6
	ds_bpermute_b32 v7, v7, v2
	v_add_u32_e32 v9, 2, v4
	v_cmp_lt_u32_e32 vcc, v9, v5
	s_and_saveexec_b64 s[0:1], vcc
	s_cbranch_execz .LBB31_429
; %bb.428:
	s_waitcnt lgkmcnt(1)
	v_add_co_u32_e32 v6, vcc, v1, v8
	v_addc_co_u32_e32 v2, vcc, 0, v2, vcc
	v_add_co_u32_e32 v1, vcc, 0, v6
	s_waitcnt lgkmcnt(0)
	v_addc_co_u32_e32 v2, vcc, v7, v2, vcc
.LBB31_429:
	s_or_b64 exec, exec, s[0:1]
	v_cmp_gt_u32_e32 vcc, 60, v4
	s_waitcnt lgkmcnt(0)
	v_cndmask_b32_e64 v7, 0, 4, vcc
	v_add_lshl_u32 v7, v7, v3, 2
	ds_bpermute_b32 v8, v7, v6
	ds_bpermute_b32 v7, v7, v2
	v_add_u32_e32 v9, 4, v4
	v_cmp_lt_u32_e32 vcc, v9, v5
	s_and_saveexec_b64 s[0:1], vcc
	s_cbranch_execz .LBB31_431
; %bb.430:
	s_waitcnt lgkmcnt(1)
	v_add_co_u32_e32 v6, vcc, v1, v8
	v_addc_co_u32_e32 v2, vcc, 0, v2, vcc
	v_add_co_u32_e32 v1, vcc, 0, v6
	s_waitcnt lgkmcnt(0)
	v_addc_co_u32_e32 v2, vcc, v7, v2, vcc
.LBB31_431:
	s_or_b64 exec, exec, s[0:1]
	v_cmp_gt_u32_e32 vcc, 56, v4
	s_waitcnt lgkmcnt(0)
	v_cndmask_b32_e64 v7, 0, 8, vcc
	v_add_lshl_u32 v7, v7, v3, 2
	ds_bpermute_b32 v8, v7, v6
	ds_bpermute_b32 v7, v7, v2
	v_add_u32_e32 v9, 8, v4
	v_cmp_lt_u32_e32 vcc, v9, v5
	s_and_saveexec_b64 s[0:1], vcc
	s_cbranch_execz .LBB31_433
; %bb.432:
	s_waitcnt lgkmcnt(1)
	v_add_co_u32_e32 v6, vcc, v1, v8
	v_addc_co_u32_e32 v2, vcc, 0, v2, vcc
	v_add_co_u32_e32 v1, vcc, 0, v6
	s_waitcnt lgkmcnt(0)
	v_addc_co_u32_e32 v2, vcc, v7, v2, vcc
.LBB31_433:
	s_or_b64 exec, exec, s[0:1]
	v_cmp_gt_u32_e32 vcc, 48, v4
	s_waitcnt lgkmcnt(0)
	v_cndmask_b32_e64 v7, 0, 16, vcc
	v_add_lshl_u32 v7, v7, v3, 2
	ds_bpermute_b32 v8, v7, v6
	ds_bpermute_b32 v7, v7, v2
	v_add_u32_e32 v9, 16, v4
	v_cmp_lt_u32_e32 vcc, v9, v5
	s_and_saveexec_b64 s[0:1], vcc
	s_cbranch_execz .LBB31_435
; %bb.434:
	s_waitcnt lgkmcnt(1)
	v_add_co_u32_e32 v6, vcc, v1, v8
	v_addc_co_u32_e32 v2, vcc, 0, v2, vcc
	v_add_co_u32_e32 v1, vcc, 0, v6
	s_waitcnt lgkmcnt(0)
	v_addc_co_u32_e32 v2, vcc, v7, v2, vcc
.LBB31_435:
	s_or_b64 exec, exec, s[0:1]
	s_waitcnt lgkmcnt(0)
	v_lshlrev_b32_e32 v7, 2, v3
	v_or_b32_e32 v8, 0x80, v7
	ds_bpermute_b32 v6, v8, v6
	ds_bpermute_b32 v8, v8, v2
	v_add_u32_e32 v4, 32, v4
	s_waitcnt lgkmcnt(1)
	v_add_co_u32_e32 v6, vcc, v1, v6
	v_addc_co_u32_e32 v9, vcc, 0, v2, vcc
	v_add_co_u32_e32 v6, vcc, 0, v6
	s_waitcnt lgkmcnt(0)
	v_addc_co_u32_e32 v8, vcc, v9, v8, vcc
	v_cmp_lt_u32_e32 vcc, v4, v5
	v_cndmask_b32_e32 v2, v2, v8, vcc
	v_cndmask_b32_e32 v1, v1, v6, vcc
	v_cmp_eq_u32_e32 vcc, 0, v3
	s_and_saveexec_b64 s[0:1], vcc
; %bb.436:
	v_lshrrev_b32_e32 v4, 3, v0
	v_and_b32_e32 v4, 8, v4
	ds_write_b64 v4, v[1:2] offset:128
; %bb.437:
	s_or_b64 exec, exec, s[0:1]
	v_cmp_gt_u32_e32 vcc, 2, v0
	s_waitcnt lgkmcnt(0)
	s_barrier
	s_and_saveexec_b64 s[0:1], vcc
	s_cbranch_execz .LBB31_439
; %bb.438:
	v_lshlrev_b32_e32 v1, 3, v3
	ds_read_b64 v[1:2], v1 offset:128
	v_or_b32_e32 v4, 4, v7
	s_add_i32 s2, s2, 63
	v_and_b32_e32 v3, 1, v3
	s_lshr_b32 s2, s2, 6
	s_waitcnt lgkmcnt(0)
	ds_bpermute_b32 v5, v4, v2
	ds_bpermute_b32 v4, v4, v1
	v_add_u32_e32 v3, 1, v3
	v_cmp_gt_u32_e32 vcc, s2, v3
	s_waitcnt lgkmcnt(1)
	v_cndmask_b32_e32 v3, 0, v5, vcc
	s_waitcnt lgkmcnt(0)
	v_cndmask_b32_e32 v4, 0, v4, vcc
	v_add_co_u32_e32 v1, vcc, v4, v1
	v_addc_co_u32_e32 v2, vcc, v3, v2, vcc
.LBB31_439:
	s_or_b64 exec, exec, s[0:1]
.LBB31_440:
	v_mov_b32_e32 v3, s6
	v_cmp_eq_u32_e64 s[2:3], 0, v0
	v_mov_b32_e32 v4, s7
.LBB31_441:
	s_branch .LBB31_591
.LBB31_442:
	s_cmp_gt_i32 s26, 31
	s_cbranch_scc0 .LBB31_450
; %bb.443:
	s_cmp_eq_u32 s26, 32
                                        ; implicit-def: $vgpr1_vgpr2
                                        ; implicit-def: $vgpr3_vgpr4
	s_cbranch_scc0 .LBB31_451
; %bb.444:
	s_lshl_b32 s8, s6, 12
	s_lshr_b64 s[2:3], s[20:21], 12
	s_add_u32 s0, s18, s8
	s_mov_b32 s7, 0
	s_addc_u32 s1, s19, 0
	s_cmp_lg_u64 s[2:3], s[6:7]
	s_cbranch_scc0 .LBB31_452
; %bb.445:
	global_load_ubyte v1, v0, s[0:1] offset:384
	global_load_ubyte v2, v0, s[0:1] offset:512
	;; [unrolled: 1-line block ×30, first 2 shown]
	global_load_ubyte v31, v0, s[0:1]
	global_load_ubyte v32, v0, s[0:1] offset:256
	s_waitcnt vmcnt(31)
	v_cmp_ne_u16_e32 vcc, 0, v1
	v_cndmask_b32_e64 v1, 0, 1, vcc
	s_waitcnt vmcnt(30)
	v_cmp_ne_u16_e32 vcc, 0, v2
	v_cndmask_b32_e64 v2, 0, 1, vcc
	;; [unrolled: 3-line block ×31, first 2 shown]
	s_waitcnt vmcnt(0)
	v_cmp_ne_u16_e32 vcc, 0, v32
	v_addc_co_u32_e32 v30, vcc, v30, v31, vcc
	v_add_co_u32_e32 v1, vcc, v30, v1
	v_addc_co_u32_e64 v30, s[2:3], 0, 0, vcc
	v_add_co_u32_e32 v1, vcc, v1, v2
	v_addc_co_u32_e32 v2, vcc, 0, v30, vcc
	v_add_co_u32_e32 v1, vcc, v1, v3
	v_addc_co_u32_e32 v2, vcc, 0, v2, vcc
	;; [unrolled: 2-line block ×28, first 2 shown]
	s_nop 0
	v_mov_b32_dpp v4, v1 quad_perm:[1,0,3,2] row_mask:0xf bank_mask:0xf bound_ctrl:1
	v_add_co_u32_e32 v1, vcc, v1, v4
	v_mov_b32_e32 v31, 0
	v_addc_co_u32_e32 v2, vcc, 0, v2, vcc
	s_nop 0
	v_mov_b32_dpp v5, v31 quad_perm:[1,0,3,2] row_mask:0xf bank_mask:0xf bound_ctrl:1
	v_add_co_u32_e32 v4, vcc, 0, v1
	v_addc_co_u32_e32 v2, vcc, v5, v2, vcc
	v_mov_b32_dpp v1, v1 quad_perm:[2,3,0,1] row_mask:0xf bank_mask:0xf bound_ctrl:1
	v_add_co_u32_e32 v1, vcc, v4, v1
	v_mov_b32_dpp v5, v2 quad_perm:[2,3,0,1] row_mask:0xf bank_mask:0xf bound_ctrl:1
	v_addc_co_u32_e32 v2, vcc, 0, v2, vcc
	v_add_co_u32_e32 v4, vcc, 0, v1
	v_addc_co_u32_e32 v2, vcc, v2, v5, vcc
	v_mov_b32_dpp v1, v1 row_ror:4 row_mask:0xf bank_mask:0xf bound_ctrl:1
	v_add_co_u32_e32 v1, vcc, v4, v1
	v_mov_b32_dpp v5, v2 row_ror:4 row_mask:0xf bank_mask:0xf bound_ctrl:1
	v_addc_co_u32_e32 v2, vcc, 0, v2, vcc
	v_add_co_u32_e32 v4, vcc, 0, v1
	v_addc_co_u32_e32 v2, vcc, v2, v5, vcc
	v_mov_b32_dpp v1, v1 row_ror:8 row_mask:0xf bank_mask:0xf bound_ctrl:1
	v_add_co_u32_e32 v1, vcc, v4, v1
	v_mov_b32_dpp v5, v2 row_ror:8 row_mask:0xf bank_mask:0xf bound_ctrl:1
	v_addc_co_u32_e32 v2, vcc, 0, v2, vcc
	v_add_co_u32_e32 v4, vcc, 0, v1
	v_addc_co_u32_e32 v2, vcc, v2, v5, vcc
	v_mov_b32_dpp v1, v1 row_bcast:15 row_mask:0xf bank_mask:0xf bound_ctrl:1
	v_add_co_u32_e32 v1, vcc, v4, v1
	v_mov_b32_dpp v5, v2 row_bcast:15 row_mask:0xf bank_mask:0xf bound_ctrl:1
	v_addc_co_u32_e32 v2, vcc, 0, v2, vcc
	v_add_co_u32_e32 v4, vcc, 0, v1
	v_addc_co_u32_e32 v2, vcc, v2, v5, vcc
	v_mov_b32_dpp v1, v1 row_bcast:31 row_mask:0xf bank_mask:0xf bound_ctrl:1
	v_mbcnt_lo_u32_b32 v3, -1, 0
	v_add_co_u32_e32 v1, vcc, v4, v1
	v_mbcnt_hi_u32_b32 v3, -1, v3
	v_addc_co_u32_e32 v4, vcc, 0, v2, vcc
	v_cmp_eq_u32_e32 vcc, 0, v3
	s_nop 0
	v_add_u32_dpp v2, v2, v4 row_bcast:31 row_mask:0xf bank_mask:0xf bound_ctrl:1
	v_lshlrev_b32_e32 v4, 2, v3
	v_or_b32_e32 v5, 0xfc, v4
	ds_bpermute_b32 v1, v5, v1
	ds_bpermute_b32 v2, v5, v2
	s_and_saveexec_b64 s[2:3], vcc
	s_cbranch_execz .LBB31_447
; %bb.446:
	v_lshrrev_b32_e32 v5, 3, v0
	v_and_b32_e32 v5, 8, v5
	s_waitcnt lgkmcnt(0)
	ds_write_b64 v5, v[1:2] offset:64
.LBB31_447:
	s_or_b64 exec, exec, s[2:3]
	v_cmp_gt_u32_e32 vcc, 64, v0
	s_waitcnt lgkmcnt(0)
	s_barrier
	s_and_saveexec_b64 s[2:3], vcc
	s_cbranch_execz .LBB31_449
; %bb.448:
	v_and_b32_e32 v1, 1, v3
	v_lshlrev_b32_e32 v1, 3, v1
	ds_read_b64 v[1:2], v1 offset:64
	v_or_b32_e32 v3, 4, v4
	s_waitcnt lgkmcnt(0)
	ds_bpermute_b32 v4, v3, v1
	ds_bpermute_b32 v3, v3, v2
	s_waitcnt lgkmcnt(1)
	v_add_co_u32_e32 v1, vcc, v1, v4
	v_addc_co_u32_e32 v2, vcc, 0, v2, vcc
	v_add_co_u32_e32 v1, vcc, 0, v1
	s_waitcnt lgkmcnt(0)
	v_addc_co_u32_e32 v2, vcc, v2, v3, vcc
.LBB31_449:
	s_or_b64 exec, exec, s[2:3]
	s_mov_b64 s[2:3], 0
	s_branch .LBB31_453
.LBB31_450:
                                        ; implicit-def: $vgpr1_vgpr2
                                        ; implicit-def: $vgpr3_vgpr4
	s_cbranch_execnz .LBB31_534
	s_branch .LBB31_591
.LBB31_451:
	s_branch .LBB31_591
.LBB31_452:
	s_mov_b64 s[2:3], -1
                                        ; implicit-def: $vgpr1_vgpr2
.LBB31_453:
	s_and_b64 vcc, exec, s[2:3]
	s_cbranch_vccz .LBB31_533
; %bb.454:
	s_sub_i32 s8, s20, s8
	v_cmp_gt_u32_e32 vcc, s8, v0
                                        ; implicit-def: $vgpr1_vgpr2
	s_and_saveexec_b64 s[2:3], vcc
	s_cbranch_execz .LBB31_456
; %bb.455:
	global_load_ubyte v1, v0, s[0:1]
	s_mov_b32 s9, 0
	v_mov_b32_e32 v2, s9
	s_waitcnt vmcnt(0)
	v_cmp_ne_u16_e32 vcc, 0, v1
	v_cndmask_b32_e64 v1, 0, 1, vcc
.LBB31_456:
	s_or_b64 exec, exec, s[2:3]
	v_or_b32_e32 v7, 0x80, v0
	v_mov_b32_e32 v3, 0
	v_mov_b32_e32 v5, 0
	v_mov_b32_e32 v4, 0
	v_mov_b32_e32 v6, 0
	v_cmp_gt_u32_e32 vcc, s8, v7
	s_and_saveexec_b64 s[2:3], vcc
	s_cbranch_execz .LBB31_458
; %bb.457:
	global_load_ubyte v5, v0, s[0:1] offset:128
	s_mov_b32 s9, 0
	v_mov_b32_e32 v6, s9
	s_waitcnt vmcnt(0)
	v_cmp_ne_u16_e32 vcc, 0, v5
	v_cndmask_b32_e64 v5, 0, 1, vcc
.LBB31_458:
	s_or_b64 exec, exec, s[2:3]
	v_or_b32_e32 v7, 0x100, v0
	v_cmp_gt_u32_e32 vcc, s8, v7
	s_and_saveexec_b64 s[2:3], vcc
	s_cbranch_execz .LBB31_460
; %bb.459:
	global_load_ubyte v3, v0, s[0:1] offset:256
	s_mov_b32 s9, 0
	v_mov_b32_e32 v4, s9
	s_waitcnt vmcnt(0)
	v_cmp_ne_u16_e32 vcc, 0, v3
	v_cndmask_b32_e64 v3, 0, 1, vcc
.LBB31_460:
	s_or_b64 exec, exec, s[2:3]
	v_or_b32_e32 v11, 0x180, v0
	v_mov_b32_e32 v7, 0
	v_mov_b32_e32 v9, 0
	v_mov_b32_e32 v8, 0
	v_mov_b32_e32 v10, 0
	v_cmp_gt_u32_e32 vcc, s8, v11
	s_and_saveexec_b64 s[2:3], vcc
	s_cbranch_execz .LBB31_462
; %bb.461:
	global_load_ubyte v9, v0, s[0:1] offset:384
	s_mov_b32 s9, 0
	v_mov_b32_e32 v10, s9
	s_waitcnt vmcnt(0)
	v_cmp_ne_u16_e32 vcc, 0, v9
	v_cndmask_b32_e64 v9, 0, 1, vcc
.LBB31_462:
	s_or_b64 exec, exec, s[2:3]
	v_or_b32_e32 v11, 0x200, v0
	v_cmp_gt_u32_e32 vcc, s8, v11
	s_and_saveexec_b64 s[2:3], vcc
	s_cbranch_execz .LBB31_464
; %bb.463:
	global_load_ubyte v7, v0, s[0:1] offset:512
	s_mov_b32 s9, 0
	v_mov_b32_e32 v8, s9
	s_waitcnt vmcnt(0)
	v_cmp_ne_u16_e32 vcc, 0, v7
	v_cndmask_b32_e64 v7, 0, 1, vcc
.LBB31_464:
	;; [unrolled: 30-line block ×15, first 2 shown]
	s_or_b64 exec, exec, s[2:3]
	v_or_b32_e32 v65, 0xf80, v0
	v_mov_b32_e32 v63, 0
	v_mov_b32_e32 v64, 0
	v_cmp_gt_u32_e32 vcc, s8, v65
	s_and_saveexec_b64 s[2:3], vcc
	s_cbranch_execz .LBB31_518
; %bb.517:
	global_load_ubyte v63, v0, s[0:1] offset:3968
	s_mov_b32 s0, 0
	v_mov_b32_e32 v64, s0
	s_waitcnt vmcnt(0)
	v_cmp_ne_u16_e32 vcc, 0, v63
	v_cndmask_b32_e64 v63, 0, 1, vcc
.LBB31_518:
	s_or_b64 exec, exec, s[2:3]
	v_add_co_u32_e32 v1, vcc, v5, v1
	v_addc_co_u32_e32 v2, vcc, v6, v2, vcc
	v_add_co_u32_e32 v1, vcc, v1, v3
	v_addc_co_u32_e32 v2, vcc, v2, v4, vcc
	v_add_co_u32_e32 v1, vcc, v1, v9
	v_addc_co_u32_e32 v2, vcc, v2, v10, vcc
	v_add_co_u32_e32 v1, vcc, v1, v7
	v_addc_co_u32_e32 v2, vcc, v2, v8, vcc
	v_add_co_u32_e32 v1, vcc, v1, v13
	v_addc_co_u32_e32 v2, vcc, v2, v14, vcc
	v_add_co_u32_e32 v1, vcc, v1, v11
	v_addc_co_u32_e32 v2, vcc, v2, v12, vcc
	v_add_co_u32_e32 v1, vcc, v1, v17
	v_addc_co_u32_e32 v2, vcc, v2, v18, vcc
	v_add_co_u32_e32 v1, vcc, v1, v15
	v_addc_co_u32_e32 v2, vcc, v2, v16, vcc
	v_add_co_u32_e32 v1, vcc, v1, v21
	v_addc_co_u32_e32 v2, vcc, v2, v22, vcc
	v_add_co_u32_e32 v1, vcc, v1, v19
	v_addc_co_u32_e32 v2, vcc, v2, v20, vcc
	v_add_co_u32_e32 v1, vcc, v1, v25
	v_addc_co_u32_e32 v2, vcc, v2, v26, vcc
	v_add_co_u32_e32 v1, vcc, v1, v23
	v_addc_co_u32_e32 v2, vcc, v2, v24, vcc
	v_add_co_u32_e32 v1, vcc, v1, v29
	v_addc_co_u32_e32 v2, vcc, v2, v30, vcc
	v_add_co_u32_e32 v1, vcc, v1, v27
	v_addc_co_u32_e32 v2, vcc, v2, v28, vcc
	v_add_co_u32_e32 v1, vcc, v1, v33
	v_addc_co_u32_e32 v2, vcc, v2, v34, vcc
	v_add_co_u32_e32 v1, vcc, v1, v31
	v_addc_co_u32_e32 v2, vcc, v2, v32, vcc
	v_add_co_u32_e32 v1, vcc, v1, v37
	v_addc_co_u32_e32 v2, vcc, v2, v38, vcc
	v_add_co_u32_e32 v1, vcc, v1, v35
	v_addc_co_u32_e32 v2, vcc, v2, v36, vcc
	v_add_co_u32_e32 v1, vcc, v1, v41
	v_addc_co_u32_e32 v2, vcc, v2, v42, vcc
	v_add_co_u32_e32 v1, vcc, v1, v39
	v_addc_co_u32_e32 v2, vcc, v2, v40, vcc
	v_add_co_u32_e32 v1, vcc, v1, v45
	v_addc_co_u32_e32 v2, vcc, v2, v46, vcc
	v_add_co_u32_e32 v1, vcc, v1, v43
	v_addc_co_u32_e32 v2, vcc, v2, v44, vcc
	v_add_co_u32_e32 v1, vcc, v1, v49
	v_addc_co_u32_e32 v2, vcc, v2, v50, vcc
	v_add_co_u32_e32 v1, vcc, v1, v47
	v_addc_co_u32_e32 v2, vcc, v2, v48, vcc
	v_add_co_u32_e32 v1, vcc, v1, v53
	v_addc_co_u32_e32 v2, vcc, v2, v54, vcc
	v_add_co_u32_e32 v1, vcc, v1, v51
	v_addc_co_u32_e32 v2, vcc, v2, v52, vcc
	v_add_co_u32_e32 v1, vcc, v1, v57
	v_addc_co_u32_e32 v2, vcc, v2, v58, vcc
	v_add_co_u32_e32 v1, vcc, v1, v55
	v_addc_co_u32_e32 v2, vcc, v2, v56, vcc
	v_add_co_u32_e32 v1, vcc, v1, v61
	v_addc_co_u32_e32 v2, vcc, v2, v62, vcc
	v_add_co_u32_e32 v1, vcc, v1, v59
	v_addc_co_u32_e32 v2, vcc, v2, v60, vcc
	v_mbcnt_lo_u32_b32 v3, -1, 0
	v_add_co_u32_e32 v1, vcc, v1, v63
	v_mbcnt_hi_u32_b32 v3, -1, v3
	v_addc_co_u32_e32 v2, vcc, v2, v64, vcc
	v_and_b32_e32 v4, 63, v3
	v_cmp_ne_u32_e32 vcc, 63, v4
	v_addc_co_u32_e32 v6, vcc, 0, v3, vcc
	v_lshlrev_b32_e32 v6, 2, v6
	ds_bpermute_b32 v8, v6, v1
	ds_bpermute_b32 v7, v6, v2
	s_min_u32 s2, s8, 0x80
	v_and_b32_e32 v5, 64, v0
	v_sub_u32_e64 v5, s2, v5 clamp
	v_add_u32_e32 v6, 1, v4
	v_cmp_lt_u32_e32 vcc, v6, v5
	v_mov_b32_e32 v6, v1
	s_and_saveexec_b64 s[0:1], vcc
	s_cbranch_execz .LBB31_520
; %bb.519:
	s_waitcnt lgkmcnt(1)
	v_add_co_u32_e32 v6, vcc, v1, v8
	v_addc_co_u32_e32 v2, vcc, 0, v2, vcc
	v_add_co_u32_e32 v1, vcc, 0, v6
	s_waitcnt lgkmcnt(0)
	v_addc_co_u32_e32 v2, vcc, v7, v2, vcc
.LBB31_520:
	s_or_b64 exec, exec, s[0:1]
	v_cmp_gt_u32_e32 vcc, 62, v4
	s_waitcnt lgkmcnt(0)
	v_cndmask_b32_e64 v7, 0, 2, vcc
	v_add_lshl_u32 v7, v7, v3, 2
	ds_bpermute_b32 v8, v7, v6
	ds_bpermute_b32 v7, v7, v2
	v_add_u32_e32 v9, 2, v4
	v_cmp_lt_u32_e32 vcc, v9, v5
	s_and_saveexec_b64 s[0:1], vcc
	s_cbranch_execz .LBB31_522
; %bb.521:
	s_waitcnt lgkmcnt(1)
	v_add_co_u32_e32 v6, vcc, v1, v8
	v_addc_co_u32_e32 v2, vcc, 0, v2, vcc
	v_add_co_u32_e32 v1, vcc, 0, v6
	s_waitcnt lgkmcnt(0)
	v_addc_co_u32_e32 v2, vcc, v7, v2, vcc
.LBB31_522:
	s_or_b64 exec, exec, s[0:1]
	v_cmp_gt_u32_e32 vcc, 60, v4
	s_waitcnt lgkmcnt(0)
	v_cndmask_b32_e64 v7, 0, 4, vcc
	v_add_lshl_u32 v7, v7, v3, 2
	ds_bpermute_b32 v8, v7, v6
	ds_bpermute_b32 v7, v7, v2
	v_add_u32_e32 v9, 4, v4
	v_cmp_lt_u32_e32 vcc, v9, v5
	;; [unrolled: 19-line block ×4, first 2 shown]
	s_and_saveexec_b64 s[0:1], vcc
	s_cbranch_execz .LBB31_528
; %bb.527:
	s_waitcnt lgkmcnt(1)
	v_add_co_u32_e32 v6, vcc, v1, v8
	v_addc_co_u32_e32 v2, vcc, 0, v2, vcc
	v_add_co_u32_e32 v1, vcc, 0, v6
	s_waitcnt lgkmcnt(0)
	v_addc_co_u32_e32 v2, vcc, v7, v2, vcc
.LBB31_528:
	s_or_b64 exec, exec, s[0:1]
	s_waitcnt lgkmcnt(0)
	v_lshlrev_b32_e32 v7, 2, v3
	v_or_b32_e32 v8, 0x80, v7
	ds_bpermute_b32 v6, v8, v6
	ds_bpermute_b32 v8, v8, v2
	v_add_u32_e32 v4, 32, v4
	s_waitcnt lgkmcnt(1)
	v_add_co_u32_e32 v6, vcc, v1, v6
	v_addc_co_u32_e32 v9, vcc, 0, v2, vcc
	v_add_co_u32_e32 v6, vcc, 0, v6
	s_waitcnt lgkmcnt(0)
	v_addc_co_u32_e32 v8, vcc, v9, v8, vcc
	v_cmp_lt_u32_e32 vcc, v4, v5
	v_cndmask_b32_e32 v2, v2, v8, vcc
	v_cndmask_b32_e32 v1, v1, v6, vcc
	v_cmp_eq_u32_e32 vcc, 0, v3
	s_and_saveexec_b64 s[0:1], vcc
; %bb.529:
	v_lshrrev_b32_e32 v4, 3, v0
	v_and_b32_e32 v4, 8, v4
	ds_write_b64 v4, v[1:2] offset:128
; %bb.530:
	s_or_b64 exec, exec, s[0:1]
	v_cmp_gt_u32_e32 vcc, 2, v0
	s_waitcnt lgkmcnt(0)
	s_barrier
	s_and_saveexec_b64 s[0:1], vcc
	s_cbranch_execz .LBB31_532
; %bb.531:
	v_lshlrev_b32_e32 v1, 3, v3
	ds_read_b64 v[1:2], v1 offset:128
	v_or_b32_e32 v4, 4, v7
	s_add_i32 s2, s2, 63
	v_and_b32_e32 v3, 1, v3
	s_lshr_b32 s2, s2, 6
	s_waitcnt lgkmcnt(0)
	ds_bpermute_b32 v5, v4, v2
	ds_bpermute_b32 v4, v4, v1
	v_add_u32_e32 v3, 1, v3
	v_cmp_gt_u32_e32 vcc, s2, v3
	s_waitcnt lgkmcnt(1)
	v_cndmask_b32_e32 v3, 0, v5, vcc
	s_waitcnt lgkmcnt(0)
	v_cndmask_b32_e32 v4, 0, v4, vcc
	v_add_co_u32_e32 v1, vcc, v4, v1
	v_addc_co_u32_e32 v2, vcc, v3, v2, vcc
.LBB31_532:
	s_or_b64 exec, exec, s[0:1]
.LBB31_533:
	v_mov_b32_e32 v3, s6
	v_cmp_eq_u32_e64 s[2:3], 0, v0
	v_mov_b32_e32 v4, s7
	s_branch .LBB31_591
.LBB31_534:
	s_cmp_eq_u32 s26, 16
                                        ; implicit-def: $vgpr1_vgpr2
                                        ; implicit-def: $vgpr3_vgpr4
	s_cbranch_scc0 .LBB31_591
; %bb.535:
	s_lshl_b32 s8, s6, 11
	s_lshr_b64 s[2:3], s[20:21], 11
	s_add_u32 s0, s18, s8
	s_mov_b32 s7, 0
	s_addc_u32 s1, s19, 0
	s_cmp_lg_u64 s[2:3], s[6:7]
	s_cbranch_scc0 .LBB31_541
; %bb.536:
	global_load_ubyte v1, v0, s[0:1] offset:384
	global_load_ubyte v2, v0, s[0:1] offset:512
	;; [unrolled: 1-line block ×14, first 2 shown]
	global_load_ubyte v15, v0, s[0:1]
	global_load_ubyte v16, v0, s[0:1] offset:256
	v_mov_b32_e32 v17, 0
	s_waitcnt vmcnt(15)
	v_cmp_ne_u16_e32 vcc, 0, v1
	v_cndmask_b32_e64 v1, 0, 1, vcc
	s_waitcnt vmcnt(14)
	v_cmp_ne_u16_e32 vcc, 0, v2
	v_cndmask_b32_e64 v2, 0, 1, vcc
	;; [unrolled: 3-line block ×15, first 2 shown]
	s_waitcnt vmcnt(0)
	v_cmp_ne_u16_e32 vcc, 0, v16
	v_addc_co_u32_e32 v14, vcc, v14, v15, vcc
	v_add_co_u32_e32 v1, vcc, v14, v1
	v_addc_co_u32_e64 v14, s[2:3], 0, 0, vcc
	v_add_co_u32_e32 v1, vcc, v1, v2
	v_addc_co_u32_e32 v2, vcc, 0, v14, vcc
	v_add_co_u32_e32 v1, vcc, v1, v3
	v_addc_co_u32_e32 v2, vcc, 0, v2, vcc
	;; [unrolled: 2-line block ×12, first 2 shown]
	s_nop 0
	v_mov_b32_dpp v4, v1 quad_perm:[1,0,3,2] row_mask:0xf bank_mask:0xf bound_ctrl:1
	v_add_co_u32_e32 v1, vcc, v1, v4
	v_addc_co_u32_e32 v2, vcc, 0, v2, vcc
	v_mov_b32_dpp v5, v17 quad_perm:[1,0,3,2] row_mask:0xf bank_mask:0xf bound_ctrl:1
	v_add_co_u32_e32 v4, vcc, 0, v1
	v_addc_co_u32_e32 v2, vcc, v5, v2, vcc
	v_mov_b32_dpp v1, v1 quad_perm:[2,3,0,1] row_mask:0xf bank_mask:0xf bound_ctrl:1
	v_add_co_u32_e32 v1, vcc, v4, v1
	v_mov_b32_dpp v5, v2 quad_perm:[2,3,0,1] row_mask:0xf bank_mask:0xf bound_ctrl:1
	v_addc_co_u32_e32 v2, vcc, 0, v2, vcc
	v_add_co_u32_e32 v4, vcc, 0, v1
	v_addc_co_u32_e32 v2, vcc, v2, v5, vcc
	v_mov_b32_dpp v1, v1 row_ror:4 row_mask:0xf bank_mask:0xf bound_ctrl:1
	v_add_co_u32_e32 v1, vcc, v4, v1
	v_mov_b32_dpp v5, v2 row_ror:4 row_mask:0xf bank_mask:0xf bound_ctrl:1
	v_addc_co_u32_e32 v2, vcc, 0, v2, vcc
	v_add_co_u32_e32 v4, vcc, 0, v1
	v_addc_co_u32_e32 v2, vcc, v2, v5, vcc
	v_mov_b32_dpp v1, v1 row_ror:8 row_mask:0xf bank_mask:0xf bound_ctrl:1
	v_add_co_u32_e32 v1, vcc, v4, v1
	v_mov_b32_dpp v5, v2 row_ror:8 row_mask:0xf bank_mask:0xf bound_ctrl:1
	v_addc_co_u32_e32 v2, vcc, 0, v2, vcc
	v_add_co_u32_e32 v4, vcc, 0, v1
	v_addc_co_u32_e32 v2, vcc, v2, v5, vcc
	v_mov_b32_dpp v1, v1 row_bcast:15 row_mask:0xf bank_mask:0xf bound_ctrl:1
	v_add_co_u32_e32 v1, vcc, v4, v1
	v_mov_b32_dpp v5, v2 row_bcast:15 row_mask:0xf bank_mask:0xf bound_ctrl:1
	v_addc_co_u32_e32 v2, vcc, 0, v2, vcc
	v_add_co_u32_e32 v4, vcc, 0, v1
	v_addc_co_u32_e32 v2, vcc, v2, v5, vcc
	v_mov_b32_dpp v1, v1 row_bcast:31 row_mask:0xf bank_mask:0xf bound_ctrl:1
	v_mbcnt_lo_u32_b32 v3, -1, 0
	v_add_co_u32_e32 v1, vcc, v4, v1
	v_mbcnt_hi_u32_b32 v3, -1, v3
	v_addc_co_u32_e32 v4, vcc, 0, v2, vcc
	v_cmp_eq_u32_e32 vcc, 0, v3
	s_nop 0
	v_add_u32_dpp v2, v2, v4 row_bcast:31 row_mask:0xf bank_mask:0xf bound_ctrl:1
	v_lshlrev_b32_e32 v4, 2, v3
	v_or_b32_e32 v5, 0xfc, v4
	ds_bpermute_b32 v1, v5, v1
	ds_bpermute_b32 v2, v5, v2
	s_and_saveexec_b64 s[2:3], vcc
	s_cbranch_execz .LBB31_538
; %bb.537:
	v_lshrrev_b32_e32 v5, 3, v0
	v_and_b32_e32 v5, 8, v5
	s_waitcnt lgkmcnt(0)
	ds_write_b64 v5, v[1:2] offset:16
.LBB31_538:
	s_or_b64 exec, exec, s[2:3]
	v_cmp_gt_u32_e32 vcc, 64, v0
	s_waitcnt lgkmcnt(0)
	s_barrier
	s_and_saveexec_b64 s[2:3], vcc
	s_cbranch_execz .LBB31_540
; %bb.539:
	v_and_b32_e32 v1, 1, v3
	v_lshlrev_b32_e32 v1, 3, v1
	ds_read_b64 v[1:2], v1 offset:16
	v_or_b32_e32 v3, 4, v4
	s_waitcnt lgkmcnt(0)
	ds_bpermute_b32 v4, v3, v1
	ds_bpermute_b32 v3, v3, v2
	s_waitcnt lgkmcnt(1)
	v_add_co_u32_e32 v1, vcc, v1, v4
	v_addc_co_u32_e32 v2, vcc, 0, v2, vcc
	v_add_co_u32_e32 v1, vcc, 0, v1
	s_waitcnt lgkmcnt(0)
	v_addc_co_u32_e32 v2, vcc, v2, v3, vcc
.LBB31_540:
	s_or_b64 exec, exec, s[2:3]
	s_mov_b64 s[2:3], 0
	s_branch .LBB31_542
.LBB31_541:
	s_mov_b64 s[2:3], -1
                                        ; implicit-def: $vgpr1_vgpr2
.LBB31_542:
	s_and_b64 vcc, exec, s[2:3]
	s_cbranch_vccz .LBB31_590
; %bb.543:
	s_sub_i32 s8, s20, s8
	v_cmp_gt_u32_e32 vcc, s8, v0
                                        ; implicit-def: $vgpr1_vgpr2
	s_and_saveexec_b64 s[2:3], vcc
	s_cbranch_execz .LBB31_545
; %bb.544:
	global_load_ubyte v1, v0, s[0:1]
	s_mov_b32 s9, 0
	v_mov_b32_e32 v2, s9
	s_waitcnt vmcnt(0)
	v_cmp_ne_u16_e32 vcc, 0, v1
	v_cndmask_b32_e64 v1, 0, 1, vcc
.LBB31_545:
	s_or_b64 exec, exec, s[2:3]
	v_or_b32_e32 v7, 0x80, v0
	v_mov_b32_e32 v3, 0
	v_mov_b32_e32 v5, 0
	v_mov_b32_e32 v4, 0
	v_mov_b32_e32 v6, 0
	v_cmp_gt_u32_e32 vcc, s8, v7
	s_and_saveexec_b64 s[2:3], vcc
	s_cbranch_execz .LBB31_547
; %bb.546:
	global_load_ubyte v5, v0, s[0:1] offset:128
	s_mov_b32 s9, 0
	v_mov_b32_e32 v6, s9
	s_waitcnt vmcnt(0)
	v_cmp_ne_u16_e32 vcc, 0, v5
	v_cndmask_b32_e64 v5, 0, 1, vcc
.LBB31_547:
	s_or_b64 exec, exec, s[2:3]
	v_or_b32_e32 v7, 0x100, v0
	v_cmp_gt_u32_e32 vcc, s8, v7
	s_and_saveexec_b64 s[2:3], vcc
	s_cbranch_execz .LBB31_549
; %bb.548:
	global_load_ubyte v3, v0, s[0:1] offset:256
	s_mov_b32 s9, 0
	v_mov_b32_e32 v4, s9
	s_waitcnt vmcnt(0)
	v_cmp_ne_u16_e32 vcc, 0, v3
	v_cndmask_b32_e64 v3, 0, 1, vcc
.LBB31_549:
	s_or_b64 exec, exec, s[2:3]
	v_or_b32_e32 v11, 0x180, v0
	v_mov_b32_e32 v7, 0
	v_mov_b32_e32 v9, 0
	v_mov_b32_e32 v8, 0
	v_mov_b32_e32 v10, 0
	v_cmp_gt_u32_e32 vcc, s8, v11
	s_and_saveexec_b64 s[2:3], vcc
	s_cbranch_execz .LBB31_551
; %bb.550:
	global_load_ubyte v9, v0, s[0:1] offset:384
	s_mov_b32 s9, 0
	v_mov_b32_e32 v10, s9
	s_waitcnt vmcnt(0)
	v_cmp_ne_u16_e32 vcc, 0, v9
	v_cndmask_b32_e64 v9, 0, 1, vcc
.LBB31_551:
	s_or_b64 exec, exec, s[2:3]
	v_or_b32_e32 v11, 0x200, v0
	v_cmp_gt_u32_e32 vcc, s8, v11
	s_and_saveexec_b64 s[2:3], vcc
	s_cbranch_execz .LBB31_553
; %bb.552:
	global_load_ubyte v7, v0, s[0:1] offset:512
	s_mov_b32 s9, 0
	v_mov_b32_e32 v8, s9
	s_waitcnt vmcnt(0)
	v_cmp_ne_u16_e32 vcc, 0, v7
	v_cndmask_b32_e64 v7, 0, 1, vcc
.LBB31_553:
	;; [unrolled: 30-line block ×7, first 2 shown]
	s_or_b64 exec, exec, s[2:3]
	v_or_b32_e32 v33, 0x780, v0
	v_mov_b32_e32 v31, 0
	v_mov_b32_e32 v32, 0
	v_cmp_gt_u32_e32 vcc, s8, v33
	s_and_saveexec_b64 s[2:3], vcc
	s_cbranch_execz .LBB31_575
; %bb.574:
	global_load_ubyte v31, v0, s[0:1] offset:1920
	s_mov_b32 s0, 0
	v_mov_b32_e32 v32, s0
	s_waitcnt vmcnt(0)
	v_cmp_ne_u16_e32 vcc, 0, v31
	v_cndmask_b32_e64 v31, 0, 1, vcc
.LBB31_575:
	s_or_b64 exec, exec, s[2:3]
	v_add_co_u32_e32 v1, vcc, v5, v1
	v_addc_co_u32_e32 v2, vcc, v6, v2, vcc
	v_add_co_u32_e32 v1, vcc, v1, v3
	v_addc_co_u32_e32 v2, vcc, v2, v4, vcc
	;; [unrolled: 2-line block ×14, first 2 shown]
	v_mbcnt_lo_u32_b32 v3, -1, 0
	v_add_co_u32_e32 v1, vcc, v1, v31
	v_mbcnt_hi_u32_b32 v3, -1, v3
	v_addc_co_u32_e32 v2, vcc, v2, v32, vcc
	v_and_b32_e32 v4, 63, v3
	v_cmp_ne_u32_e32 vcc, 63, v4
	v_addc_co_u32_e32 v6, vcc, 0, v3, vcc
	v_lshlrev_b32_e32 v6, 2, v6
	ds_bpermute_b32 v8, v6, v1
	ds_bpermute_b32 v7, v6, v2
	s_min_u32 s2, s8, 0x80
	v_and_b32_e32 v5, 64, v0
	v_sub_u32_e64 v5, s2, v5 clamp
	v_add_u32_e32 v6, 1, v4
	v_cmp_lt_u32_e32 vcc, v6, v5
	v_mov_b32_e32 v6, v1
	s_and_saveexec_b64 s[0:1], vcc
	s_cbranch_execz .LBB31_577
; %bb.576:
	s_waitcnt lgkmcnt(1)
	v_add_co_u32_e32 v6, vcc, v1, v8
	v_addc_co_u32_e32 v2, vcc, 0, v2, vcc
	v_add_co_u32_e32 v1, vcc, 0, v6
	s_waitcnt lgkmcnt(0)
	v_addc_co_u32_e32 v2, vcc, v7, v2, vcc
.LBB31_577:
	s_or_b64 exec, exec, s[0:1]
	v_cmp_gt_u32_e32 vcc, 62, v4
	s_waitcnt lgkmcnt(0)
	v_cndmask_b32_e64 v7, 0, 2, vcc
	v_add_lshl_u32 v7, v7, v3, 2
	ds_bpermute_b32 v8, v7, v6
	ds_bpermute_b32 v7, v7, v2
	v_add_u32_e32 v9, 2, v4
	v_cmp_lt_u32_e32 vcc, v9, v5
	s_and_saveexec_b64 s[0:1], vcc
	s_cbranch_execz .LBB31_579
; %bb.578:
	s_waitcnt lgkmcnt(1)
	v_add_co_u32_e32 v6, vcc, v1, v8
	v_addc_co_u32_e32 v2, vcc, 0, v2, vcc
	v_add_co_u32_e32 v1, vcc, 0, v6
	s_waitcnt lgkmcnt(0)
	v_addc_co_u32_e32 v2, vcc, v7, v2, vcc
.LBB31_579:
	s_or_b64 exec, exec, s[0:1]
	v_cmp_gt_u32_e32 vcc, 60, v4
	s_waitcnt lgkmcnt(0)
	v_cndmask_b32_e64 v7, 0, 4, vcc
	v_add_lshl_u32 v7, v7, v3, 2
	ds_bpermute_b32 v8, v7, v6
	ds_bpermute_b32 v7, v7, v2
	v_add_u32_e32 v9, 4, v4
	v_cmp_lt_u32_e32 vcc, v9, v5
	;; [unrolled: 19-line block ×4, first 2 shown]
	s_and_saveexec_b64 s[0:1], vcc
	s_cbranch_execz .LBB31_585
; %bb.584:
	s_waitcnt lgkmcnt(1)
	v_add_co_u32_e32 v6, vcc, v1, v8
	v_addc_co_u32_e32 v2, vcc, 0, v2, vcc
	v_add_co_u32_e32 v1, vcc, 0, v6
	s_waitcnt lgkmcnt(0)
	v_addc_co_u32_e32 v2, vcc, v7, v2, vcc
.LBB31_585:
	s_or_b64 exec, exec, s[0:1]
	s_waitcnt lgkmcnt(0)
	v_lshlrev_b32_e32 v7, 2, v3
	v_or_b32_e32 v8, 0x80, v7
	ds_bpermute_b32 v6, v8, v6
	ds_bpermute_b32 v8, v8, v2
	v_add_u32_e32 v4, 32, v4
	s_waitcnt lgkmcnt(1)
	v_add_co_u32_e32 v6, vcc, v1, v6
	v_addc_co_u32_e32 v9, vcc, 0, v2, vcc
	v_add_co_u32_e32 v6, vcc, 0, v6
	s_waitcnt lgkmcnt(0)
	v_addc_co_u32_e32 v8, vcc, v9, v8, vcc
	v_cmp_lt_u32_e32 vcc, v4, v5
	v_cndmask_b32_e32 v2, v2, v8, vcc
	v_cndmask_b32_e32 v1, v1, v6, vcc
	v_cmp_eq_u32_e32 vcc, 0, v3
	s_and_saveexec_b64 s[0:1], vcc
; %bb.586:
	v_lshrrev_b32_e32 v4, 3, v0
	v_and_b32_e32 v4, 8, v4
	ds_write_b64 v4, v[1:2] offset:128
; %bb.587:
	s_or_b64 exec, exec, s[0:1]
	v_cmp_gt_u32_e32 vcc, 2, v0
	s_waitcnt lgkmcnt(0)
	s_barrier
	s_and_saveexec_b64 s[0:1], vcc
	s_cbranch_execz .LBB31_589
; %bb.588:
	v_lshlrev_b32_e32 v1, 3, v3
	ds_read_b64 v[1:2], v1 offset:128
	v_or_b32_e32 v4, 4, v7
	s_add_i32 s2, s2, 63
	v_and_b32_e32 v3, 1, v3
	s_lshr_b32 s2, s2, 6
	s_waitcnt lgkmcnt(0)
	ds_bpermute_b32 v5, v4, v2
	ds_bpermute_b32 v4, v4, v1
	v_add_u32_e32 v3, 1, v3
	v_cmp_gt_u32_e32 vcc, s2, v3
	s_waitcnt lgkmcnt(1)
	v_cndmask_b32_e32 v3, 0, v5, vcc
	s_waitcnt lgkmcnt(0)
	v_cndmask_b32_e32 v4, 0, v4, vcc
	v_add_co_u32_e32 v1, vcc, v4, v1
	v_addc_co_u32_e32 v2, vcc, v3, v2, vcc
.LBB31_589:
	s_or_b64 exec, exec, s[0:1]
.LBB31_590:
	v_mov_b32_e32 v3, s6
	v_cmp_eq_u32_e64 s[2:3], 0, v0
	v_mov_b32_e32 v4, s7
.LBB31_591:
	s_branch .LBB31_731
.LBB31_592:
	s_cmp_gt_i32 s26, 3
	s_cbranch_scc0 .LBB31_601
; %bb.593:
	s_cmp_gt_i32 s26, 7
	s_cbranch_scc0 .LBB31_602
; %bb.594:
	s_cmp_eq_u32 s26, 8
                                        ; implicit-def: $vgpr1_vgpr2
                                        ; implicit-def: $vgpr3_vgpr4
	s_cbranch_scc0 .LBB31_603
; %bb.595:
	s_lshl_b32 s2, s6, 10
	s_lshr_b64 s[0:1], s[20:21], 10
	s_add_u32 s16, s18, s2
	s_mov_b32 s7, 0
	s_addc_u32 s17, s19, 0
	s_cmp_lg_u64 s[0:1], s[6:7]
	s_cbranch_scc0 .LBB31_604
; %bb.596:
	global_load_ubyte v1, v0, s[16:17] offset:384
	global_load_ubyte v2, v0, s[16:17] offset:512
	;; [unrolled: 1-line block ×6, first 2 shown]
	global_load_ubyte v8, v0, s[16:17]
	global_load_ubyte v9, v0, s[16:17] offset:256
	v_mov_b32_e32 v10, 0
	v_mbcnt_lo_u32_b32 v3, -1, 0
	v_mbcnt_hi_u32_b32 v3, -1, v3
	v_mov_b32_dpp v10, v10 quad_perm:[1,0,3,2] row_mask:0xf bank_mask:0xf bound_ctrl:1
	s_waitcnt vmcnt(7)
	v_cmp_ne_u16_e32 vcc, 0, v1
	v_cndmask_b32_e64 v1, 0, 1, vcc
	s_waitcnt vmcnt(6)
	v_cmp_ne_u16_e32 vcc, 0, v2
	v_cndmask_b32_e64 v2, 0, 1, vcc
	;; [unrolled: 3-line block ×7, first 2 shown]
	s_waitcnt vmcnt(0)
	v_cmp_ne_u16_e32 vcc, 0, v9
	v_addc_co_u32_e32 v7, vcc, v7, v8, vcc
	v_add_co_u32_e32 v1, vcc, v7, v1
	v_addc_co_u32_e64 v7, s[0:1], 0, 0, vcc
	v_add_co_u32_e32 v1, vcc, v1, v2
	v_addc_co_u32_e32 v2, vcc, 0, v7, vcc
	v_add_co_u32_e32 v1, vcc, v1, v4
	v_addc_co_u32_e32 v2, vcc, 0, v2, vcc
	;; [unrolled: 2-line block ×4, first 2 shown]
	s_nop 0
	v_mov_b32_dpp v4, v1 quad_perm:[1,0,3,2] row_mask:0xf bank_mask:0xf bound_ctrl:1
	v_add_co_u32_e32 v1, vcc, v1, v4
	v_addc_co_u32_e32 v2, vcc, 0, v2, vcc
	v_add_co_u32_e32 v4, vcc, 0, v1
	v_addc_co_u32_e32 v2, vcc, v10, v2, vcc
	v_mov_b32_dpp v1, v1 quad_perm:[2,3,0,1] row_mask:0xf bank_mask:0xf bound_ctrl:1
	v_add_co_u32_e32 v1, vcc, v4, v1
	v_mov_b32_dpp v5, v2 quad_perm:[2,3,0,1] row_mask:0xf bank_mask:0xf bound_ctrl:1
	v_addc_co_u32_e32 v2, vcc, 0, v2, vcc
	v_add_co_u32_e32 v4, vcc, 0, v1
	v_addc_co_u32_e32 v2, vcc, v2, v5, vcc
	v_mov_b32_dpp v1, v1 row_ror:4 row_mask:0xf bank_mask:0xf bound_ctrl:1
	v_add_co_u32_e32 v1, vcc, v4, v1
	v_mov_b32_dpp v5, v2 row_ror:4 row_mask:0xf bank_mask:0xf bound_ctrl:1
	v_addc_co_u32_e32 v2, vcc, 0, v2, vcc
	v_add_co_u32_e32 v4, vcc, 0, v1
	v_addc_co_u32_e32 v2, vcc, v2, v5, vcc
	v_mov_b32_dpp v1, v1 row_ror:8 row_mask:0xf bank_mask:0xf bound_ctrl:1
	v_add_co_u32_e32 v1, vcc, v4, v1
	v_mov_b32_dpp v5, v2 row_ror:8 row_mask:0xf bank_mask:0xf bound_ctrl:1
	v_addc_co_u32_e32 v2, vcc, 0, v2, vcc
	v_add_co_u32_e32 v4, vcc, 0, v1
	v_addc_co_u32_e32 v2, vcc, v2, v5, vcc
	v_mov_b32_dpp v1, v1 row_bcast:15 row_mask:0xf bank_mask:0xf bound_ctrl:1
	v_add_co_u32_e32 v1, vcc, v4, v1
	v_mov_b32_dpp v5, v2 row_bcast:15 row_mask:0xf bank_mask:0xf bound_ctrl:1
	v_addc_co_u32_e32 v2, vcc, 0, v2, vcc
	v_add_co_u32_e32 v4, vcc, 0, v1
	v_addc_co_u32_e32 v2, vcc, v2, v5, vcc
	v_mov_b32_dpp v1, v1 row_bcast:31 row_mask:0xf bank_mask:0xf bound_ctrl:1
	v_add_co_u32_e32 v1, vcc, v4, v1
	v_addc_co_u32_e32 v4, vcc, 0, v2, vcc
	v_cmp_eq_u32_e32 vcc, 0, v3
	s_nop 0
	v_add_u32_dpp v2, v2, v4 row_bcast:31 row_mask:0xf bank_mask:0xf bound_ctrl:1
	v_lshlrev_b32_e32 v4, 2, v3
	v_or_b32_e32 v5, 0xfc, v4
	ds_bpermute_b32 v1, v5, v1
	ds_bpermute_b32 v2, v5, v2
	s_and_saveexec_b64 s[0:1], vcc
	s_cbranch_execz .LBB31_598
; %bb.597:
	v_lshrrev_b32_e32 v5, 3, v0
	v_and_b32_e32 v5, 8, v5
	s_waitcnt lgkmcnt(0)
	ds_write_b64 v5, v[1:2] offset:112
.LBB31_598:
	s_or_b64 exec, exec, s[0:1]
	v_cmp_gt_u32_e32 vcc, 64, v0
	s_waitcnt lgkmcnt(0)
	s_barrier
	s_and_saveexec_b64 s[0:1], vcc
	s_cbranch_execz .LBB31_600
; %bb.599:
	v_and_b32_e32 v1, 1, v3
	v_lshlrev_b32_e32 v1, 3, v1
	ds_read_b64 v[1:2], v1 offset:112
	v_or_b32_e32 v3, 4, v4
	s_waitcnt lgkmcnt(0)
	ds_bpermute_b32 v4, v3, v1
	ds_bpermute_b32 v3, v3, v2
	s_waitcnt lgkmcnt(1)
	v_add_co_u32_e32 v1, vcc, v1, v4
	v_addc_co_u32_e32 v2, vcc, 0, v2, vcc
	v_add_co_u32_e32 v1, vcc, 0, v1
	s_waitcnt lgkmcnt(0)
	v_addc_co_u32_e32 v2, vcc, v2, v3, vcc
.LBB31_600:
	s_or_b64 exec, exec, s[0:1]
	s_mov_b64 s[0:1], 0
	s_branch .LBB31_605
.LBB31_601:
                                        ; implicit-def: $vgpr1_vgpr2
                                        ; implicit-def: $vgpr3_vgpr4
	s_cbranch_execnz .LBB31_672
	s_branch .LBB31_731
.LBB31_602:
                                        ; implicit-def: $vgpr1_vgpr2
                                        ; implicit-def: $vgpr3_vgpr4
	s_cbranch_execnz .LBB31_638
	s_branch .LBB31_671
.LBB31_603:
	s_branch .LBB31_671
.LBB31_604:
	s_mov_b64 s[0:1], -1
                                        ; implicit-def: $vgpr1_vgpr2
.LBB31_605:
	s_and_b64 vcc, exec, s[0:1]
	s_cbranch_vccz .LBB31_637
; %bb.606:
	s_sub_i32 s27, s20, s2
	v_mov_b32_e32 v1, 0
	v_cmp_gt_u32_e32 vcc, s27, v0
	v_mov_b32_e32 v2, v1
	v_mov_b32_e32 v3, v1
	;; [unrolled: 1-line block ×15, first 2 shown]
	s_and_saveexec_b64 s[0:1], vcc
	s_cbranch_execz .LBB31_608
; %bb.607:
	global_load_ubyte v17, v0, s[16:17]
	v_mov_b32_e32 v2, v1
	v_mov_b32_e32 v3, v1
	;; [unrolled: 1-line block ×15, first 2 shown]
	s_waitcnt vmcnt(0)
	v_cmp_ne_u16_e32 vcc, 0, v17
	v_cndmask_b32_e64 v1, 0, 1, vcc
	v_and_b32_e32 v1, 0xffff, v1
.LBB31_608:
	s_or_b64 exec, exec, s[0:1]
	v_or_b32_e32 v17, 0x80, v0
	v_cmp_gt_u32_e32 vcc, s27, v17
	s_and_saveexec_b64 s[2:3], vcc
	s_cbranch_execz .LBB31_610
; %bb.609:
	global_load_ubyte v3, v0, s[16:17] offset:128
	s_mov_b32 s8, 0
	v_mov_b32_e32 v4, s8
	s_waitcnt vmcnt(0)
	v_cmp_ne_u16_e64 s[0:1], 0, v3
	v_cndmask_b32_e64 v3, 0, 1, s[0:1]
.LBB31_610:
	s_or_b64 exec, exec, s[2:3]
	v_or_b32_e32 v17, 0x100, v0
	v_cmp_gt_u32_e64 s[0:1], s27, v17
	s_and_saveexec_b64 s[8:9], s[0:1]
	s_cbranch_execz .LBB31_612
; %bb.611:
	global_load_ubyte v5, v0, s[16:17] offset:256
	s_mov_b32 s10, 0
	v_mov_b32_e32 v6, s10
	s_waitcnt vmcnt(0)
	v_cmp_ne_u16_e64 s[2:3], 0, v5
	v_cndmask_b32_e64 v5, 0, 1, s[2:3]
.LBB31_612:
	s_or_b64 exec, exec, s[8:9]
	v_or_b32_e32 v17, 0x180, v0
	v_cmp_gt_u32_e64 s[2:3], s27, v17
	s_and_saveexec_b64 s[10:11], s[2:3]
	;; [unrolled: 13-line block ×6, first 2 shown]
	s_cbranch_execz .LBB31_622
; %bb.621:
	global_load_ubyte v15, v0, s[16:17] offset:896
	s_mov_b32 s28, 0
	v_mov_b32_e32 v16, s28
	s_waitcnt vmcnt(0)
	v_cmp_ne_u16_e64 s[16:17], 0, v15
	v_cndmask_b32_e64 v15, 0, 1, s[16:17]
.LBB31_622:
	s_or_b64 exec, exec, s[24:25]
	v_cndmask_b32_e32 v3, 0, v3, vcc
	v_cndmask_b32_e32 v4, 0, v4, vcc
	v_add_co_u32_e32 v1, vcc, v3, v1
	v_addc_co_u32_e32 v2, vcc, v4, v2, vcc
	v_cndmask_b32_e64 v4, 0, v5, s[0:1]
	v_cndmask_b32_e64 v3, 0, v6, s[0:1]
	v_add_co_u32_e32 v1, vcc, v1, v4
	v_addc_co_u32_e32 v2, vcc, v2, v3, vcc
	v_cndmask_b32_e64 v4, 0, v7, s[2:3]
	v_cndmask_b32_e64 v3, 0, v8, s[2:3]
	;; [unrolled: 4-line block ×6, first 2 shown]
	v_add_co_u32_e32 v1, vcc, v1, v4
	v_addc_co_u32_e32 v2, vcc, v2, v3, vcc
	v_mbcnt_lo_u32_b32 v3, -1, 0
	v_mbcnt_hi_u32_b32 v3, -1, v3
	v_and_b32_e32 v4, 63, v3
	v_cmp_ne_u32_e32 vcc, 63, v4
	v_addc_co_u32_e32 v6, vcc, 0, v3, vcc
	v_lshlrev_b32_e32 v6, 2, v6
	ds_bpermute_b32 v8, v6, v1
	ds_bpermute_b32 v7, v6, v2
	s_min_u32 s2, s27, 0x80
	v_and_b32_e32 v5, 64, v0
	v_sub_u32_e64 v5, s2, v5 clamp
	v_add_u32_e32 v6, 1, v4
	v_cmp_lt_u32_e32 vcc, v6, v5
	v_mov_b32_e32 v6, v1
	s_and_saveexec_b64 s[0:1], vcc
	s_cbranch_execz .LBB31_624
; %bb.623:
	s_waitcnt lgkmcnt(1)
	v_add_co_u32_e32 v6, vcc, v1, v8
	v_addc_co_u32_e32 v2, vcc, 0, v2, vcc
	v_add_co_u32_e32 v1, vcc, 0, v6
	s_waitcnt lgkmcnt(0)
	v_addc_co_u32_e32 v2, vcc, v2, v7, vcc
.LBB31_624:
	s_or_b64 exec, exec, s[0:1]
	v_cmp_gt_u32_e32 vcc, 62, v4
	s_waitcnt lgkmcnt(0)
	v_cndmask_b32_e64 v7, 0, 2, vcc
	v_add_lshl_u32 v7, v7, v3, 2
	ds_bpermute_b32 v8, v7, v6
	ds_bpermute_b32 v7, v7, v2
	v_add_u32_e32 v9, 2, v4
	v_cmp_lt_u32_e32 vcc, v9, v5
	s_and_saveexec_b64 s[0:1], vcc
	s_cbranch_execz .LBB31_626
; %bb.625:
	s_waitcnt lgkmcnt(1)
	v_add_co_u32_e32 v6, vcc, v1, v8
	v_addc_co_u32_e32 v2, vcc, 0, v2, vcc
	v_add_co_u32_e32 v1, vcc, 0, v6
	s_waitcnt lgkmcnt(0)
	v_addc_co_u32_e32 v2, vcc, v7, v2, vcc
.LBB31_626:
	s_or_b64 exec, exec, s[0:1]
	v_cmp_gt_u32_e32 vcc, 60, v4
	s_waitcnt lgkmcnt(0)
	v_cndmask_b32_e64 v7, 0, 4, vcc
	v_add_lshl_u32 v7, v7, v3, 2
	ds_bpermute_b32 v8, v7, v6
	ds_bpermute_b32 v7, v7, v2
	v_add_u32_e32 v9, 4, v4
	v_cmp_lt_u32_e32 vcc, v9, v5
	;; [unrolled: 19-line block ×4, first 2 shown]
	s_and_saveexec_b64 s[0:1], vcc
	s_cbranch_execz .LBB31_632
; %bb.631:
	s_waitcnt lgkmcnt(1)
	v_add_co_u32_e32 v6, vcc, v1, v8
	v_addc_co_u32_e32 v2, vcc, 0, v2, vcc
	v_add_co_u32_e32 v1, vcc, 0, v6
	s_waitcnt lgkmcnt(0)
	v_addc_co_u32_e32 v2, vcc, v7, v2, vcc
.LBB31_632:
	s_or_b64 exec, exec, s[0:1]
	s_waitcnt lgkmcnt(0)
	v_lshlrev_b32_e32 v7, 2, v3
	v_or_b32_e32 v8, 0x80, v7
	ds_bpermute_b32 v6, v8, v6
	ds_bpermute_b32 v8, v8, v2
	v_add_u32_e32 v4, 32, v4
	s_waitcnt lgkmcnt(1)
	v_add_co_u32_e32 v6, vcc, v1, v6
	v_addc_co_u32_e32 v9, vcc, 0, v2, vcc
	v_add_co_u32_e32 v6, vcc, 0, v6
	s_waitcnt lgkmcnt(0)
	v_addc_co_u32_e32 v8, vcc, v9, v8, vcc
	v_cmp_lt_u32_e32 vcc, v4, v5
	v_cndmask_b32_e32 v2, v2, v8, vcc
	v_cndmask_b32_e32 v1, v1, v6, vcc
	v_cmp_eq_u32_e32 vcc, 0, v3
	s_and_saveexec_b64 s[0:1], vcc
; %bb.633:
	v_lshrrev_b32_e32 v4, 3, v0
	v_and_b32_e32 v4, 8, v4
	ds_write_b64 v4, v[1:2] offset:128
; %bb.634:
	s_or_b64 exec, exec, s[0:1]
	v_cmp_gt_u32_e32 vcc, 2, v0
	s_waitcnt lgkmcnt(0)
	s_barrier
	s_and_saveexec_b64 s[0:1], vcc
	s_cbranch_execz .LBB31_636
; %bb.635:
	v_lshlrev_b32_e32 v1, 3, v3
	ds_read_b64 v[1:2], v1 offset:128
	v_or_b32_e32 v4, 4, v7
	s_add_i32 s2, s2, 63
	v_and_b32_e32 v3, 1, v3
	s_lshr_b32 s2, s2, 6
	s_waitcnt lgkmcnt(0)
	ds_bpermute_b32 v5, v4, v2
	ds_bpermute_b32 v4, v4, v1
	v_add_u32_e32 v3, 1, v3
	v_cmp_gt_u32_e32 vcc, s2, v3
	s_waitcnt lgkmcnt(1)
	v_cndmask_b32_e32 v3, 0, v5, vcc
	s_waitcnt lgkmcnt(0)
	v_cndmask_b32_e32 v4, 0, v4, vcc
	v_add_co_u32_e32 v1, vcc, v4, v1
	v_addc_co_u32_e32 v2, vcc, v3, v2, vcc
.LBB31_636:
	s_or_b64 exec, exec, s[0:1]
.LBB31_637:
	v_mov_b32_e32 v3, s6
	v_cmp_eq_u32_e64 s[2:3], 0, v0
	v_mov_b32_e32 v4, s7
	s_branch .LBB31_671
.LBB31_638:
	s_cmp_eq_u32 s26, 4
                                        ; implicit-def: $vgpr1_vgpr2
                                        ; implicit-def: $vgpr3_vgpr4
	s_cbranch_scc0 .LBB31_671
; %bb.639:
	s_lshl_b32 s2, s6, 9
	s_lshr_b64 s[0:1], s[20:21], 9
	s_add_u32 s8, s18, s2
	s_mov_b32 s7, 0
	s_addc_u32 s9, s19, 0
	s_cmp_lg_u64 s[0:1], s[6:7]
	s_cbranch_scc0 .LBB31_645
; %bb.640:
	global_load_ubyte v1, v0, s[8:9] offset:384
	global_load_ubyte v2, v0, s[8:9] offset:128
	global_load_ubyte v5, v0, s[8:9]
	global_load_ubyte v6, v0, s[8:9] offset:256
	v_mov_b32_e32 v4, 0
	v_mbcnt_lo_u32_b32 v3, -1, 0
	v_mbcnt_hi_u32_b32 v3, -1, v3
	v_mov_b32_dpp v7, v4 quad_perm:[1,0,3,2] row_mask:0xf bank_mask:0xf bound_ctrl:1
	v_lshlrev_b32_e32 v4, 2, v3
	v_or_b32_e32 v8, 0xfc, v4
	s_waitcnt vmcnt(3)
	v_cmp_ne_u16_e32 vcc, 0, v1
	v_cndmask_b32_e64 v1, 0, 1, vcc
	s_waitcnt vmcnt(2)
	v_cmp_ne_u16_e32 vcc, 0, v2
	v_cndmask_b32_e64 v2, 0, 1, vcc
	;; [unrolled: 3-line block ×3, first 2 shown]
	s_waitcnt vmcnt(0)
	v_cmp_ne_u16_e32 vcc, 0, v6
	v_addc_co_u32_e32 v2, vcc, v2, v5, vcc
	v_add_co_u32_e32 v1, vcc, v2, v1
	v_addc_co_u32_e64 v2, s[0:1], 0, 0, vcc
	s_nop 0
	v_mov_b32_dpp v5, v1 quad_perm:[1,0,3,2] row_mask:0xf bank_mask:0xf bound_ctrl:1
	v_add_co_u32_e32 v1, vcc, v1, v5
	v_addc_co_u32_e32 v2, vcc, 0, v2, vcc
	v_add_co_u32_e32 v5, vcc, 0, v1
	v_addc_co_u32_e32 v2, vcc, v7, v2, vcc
	v_mov_b32_dpp v1, v1 quad_perm:[2,3,0,1] row_mask:0xf bank_mask:0xf bound_ctrl:1
	v_add_co_u32_e32 v1, vcc, v5, v1
	v_mov_b32_dpp v6, v2 quad_perm:[2,3,0,1] row_mask:0xf bank_mask:0xf bound_ctrl:1
	v_addc_co_u32_e32 v2, vcc, 0, v2, vcc
	v_add_co_u32_e32 v5, vcc, 0, v1
	v_addc_co_u32_e32 v2, vcc, v2, v6, vcc
	v_mov_b32_dpp v1, v1 row_ror:4 row_mask:0xf bank_mask:0xf bound_ctrl:1
	v_add_co_u32_e32 v1, vcc, v5, v1
	v_mov_b32_dpp v6, v2 row_ror:4 row_mask:0xf bank_mask:0xf bound_ctrl:1
	v_addc_co_u32_e32 v2, vcc, 0, v2, vcc
	v_add_co_u32_e32 v5, vcc, 0, v1
	v_addc_co_u32_e32 v2, vcc, v2, v6, vcc
	v_mov_b32_dpp v1, v1 row_ror:8 row_mask:0xf bank_mask:0xf bound_ctrl:1
	v_add_co_u32_e32 v1, vcc, v5, v1
	v_mov_b32_dpp v6, v2 row_ror:8 row_mask:0xf bank_mask:0xf bound_ctrl:1
	v_addc_co_u32_e32 v2, vcc, 0, v2, vcc
	v_add_co_u32_e32 v5, vcc, 0, v1
	v_addc_co_u32_e32 v2, vcc, v2, v6, vcc
	v_mov_b32_dpp v1, v1 row_bcast:15 row_mask:0xf bank_mask:0xf bound_ctrl:1
	v_add_co_u32_e32 v1, vcc, v5, v1
	v_mov_b32_dpp v6, v2 row_bcast:15 row_mask:0xf bank_mask:0xf bound_ctrl:1
	v_addc_co_u32_e32 v2, vcc, 0, v2, vcc
	v_add_co_u32_e32 v5, vcc, 0, v1
	v_addc_co_u32_e32 v2, vcc, v2, v6, vcc
	v_mov_b32_dpp v1, v1 row_bcast:31 row_mask:0xf bank_mask:0xf bound_ctrl:1
	v_add_co_u32_e32 v1, vcc, v5, v1
	v_addc_co_u32_e32 v5, vcc, 0, v2, vcc
	ds_bpermute_b32 v1, v8, v1
	s_nop 0
	v_add_u32_dpp v2, v2, v5 row_bcast:31 row_mask:0xf bank_mask:0xf bound_ctrl:1
	ds_bpermute_b32 v2, v8, v2
	v_cmp_eq_u32_e32 vcc, 0, v3
	s_and_saveexec_b64 s[0:1], vcc
	s_cbranch_execz .LBB31_642
; %bb.641:
	v_lshrrev_b32_e32 v5, 3, v0
	v_and_b32_e32 v5, 8, v5
	s_waitcnt lgkmcnt(0)
	ds_write_b64 v5, v[1:2] offset:80
.LBB31_642:
	s_or_b64 exec, exec, s[0:1]
	v_cmp_gt_u32_e32 vcc, 64, v0
	s_waitcnt lgkmcnt(0)
	s_barrier
	s_and_saveexec_b64 s[0:1], vcc
	s_cbranch_execz .LBB31_644
; %bb.643:
	v_and_b32_e32 v1, 1, v3
	v_lshlrev_b32_e32 v1, 3, v1
	ds_read_b64 v[1:2], v1 offset:80
	v_or_b32_e32 v3, 4, v4
	s_waitcnt lgkmcnt(0)
	ds_bpermute_b32 v4, v3, v1
	ds_bpermute_b32 v3, v3, v2
	s_waitcnt lgkmcnt(1)
	v_add_co_u32_e32 v1, vcc, v1, v4
	v_addc_co_u32_e32 v2, vcc, 0, v2, vcc
	v_add_co_u32_e32 v1, vcc, 0, v1
	s_waitcnt lgkmcnt(0)
	v_addc_co_u32_e32 v2, vcc, v2, v3, vcc
.LBB31_644:
	s_or_b64 exec, exec, s[0:1]
	s_mov_b64 s[0:1], 0
	s_branch .LBB31_646
.LBB31_645:
	s_mov_b64 s[0:1], -1
                                        ; implicit-def: $vgpr1_vgpr2
.LBB31_646:
	s_and_b64 vcc, exec, s[0:1]
	s_cbranch_vccz .LBB31_670
; %bb.647:
	s_sub_i32 s12, s20, s2
	v_mov_b32_e32 v1, 0
	v_cmp_gt_u32_e32 vcc, s12, v0
	v_mov_b32_e32 v2, v1
	v_mov_b32_e32 v3, v1
	;; [unrolled: 1-line block ×7, first 2 shown]
	s_and_saveexec_b64 s[0:1], vcc
	s_cbranch_execz .LBB31_649
; %bb.648:
	global_load_ubyte v2, v0, s[8:9]
	v_mov_b32_e32 v3, v1
	v_mov_b32_e32 v4, v1
	;; [unrolled: 1-line block ×7, first 2 shown]
	s_waitcnt vmcnt(0)
	v_cmp_ne_u16_e32 vcc, 0, v2
	v_cndmask_b32_e64 v2, 0, 1, vcc
	v_and_b32_e32 v2, 0xffff, v2
	v_mov_b32_e32 v1, v2
	v_mov_b32_e32 v2, v3
	;; [unrolled: 1-line block ×8, first 2 shown]
.LBB31_649:
	s_or_b64 exec, exec, s[0:1]
	v_or_b32_e32 v9, 0x80, v0
	v_cmp_gt_u32_e32 vcc, s12, v9
	s_and_saveexec_b64 s[2:3], vcc
	s_cbranch_execz .LBB31_651
; %bb.650:
	global_load_ubyte v3, v0, s[8:9] offset:128
	s_mov_b32 s10, 0
	v_mov_b32_e32 v4, s10
	s_waitcnt vmcnt(0)
	v_cmp_ne_u16_e64 s[0:1], 0, v3
	v_cndmask_b32_e64 v3, 0, 1, s[0:1]
.LBB31_651:
	s_or_b64 exec, exec, s[2:3]
	v_or_b32_e32 v9, 0x100, v0
	v_cmp_gt_u32_e64 s[0:1], s12, v9
	s_and_saveexec_b64 s[10:11], s[0:1]
	s_cbranch_execz .LBB31_653
; %bb.652:
	global_load_ubyte v5, v0, s[8:9] offset:256
	s_mov_b32 s13, 0
	v_mov_b32_e32 v6, s13
	s_waitcnt vmcnt(0)
	v_cmp_ne_u16_e64 s[2:3], 0, v5
	v_cndmask_b32_e64 v5, 0, 1, s[2:3]
.LBB31_653:
	s_or_b64 exec, exec, s[10:11]
	v_or_b32_e32 v9, 0x180, v0
	v_cmp_gt_u32_e64 s[2:3], s12, v9
	s_and_saveexec_b64 s[10:11], s[2:3]
	s_cbranch_execz .LBB31_655
; %bb.654:
	global_load_ubyte v7, v0, s[8:9] offset:384
	s_mov_b32 s13, 0
	v_mov_b32_e32 v8, s13
	s_waitcnt vmcnt(0)
	v_cmp_ne_u16_e64 s[8:9], 0, v7
	v_cndmask_b32_e64 v7, 0, 1, s[8:9]
.LBB31_655:
	s_or_b64 exec, exec, s[10:11]
	v_cndmask_b32_e32 v3, 0, v3, vcc
	v_cndmask_b32_e32 v4, 0, v4, vcc
	v_add_co_u32_e32 v1, vcc, v3, v1
	v_addc_co_u32_e32 v2, vcc, v4, v2, vcc
	v_cndmask_b32_e64 v4, 0, v5, s[0:1]
	v_cndmask_b32_e64 v3, 0, v6, s[0:1]
	v_add_co_u32_e32 v1, vcc, v1, v4
	v_addc_co_u32_e32 v2, vcc, v2, v3, vcc
	v_cndmask_b32_e64 v4, 0, v7, s[2:3]
	v_cndmask_b32_e64 v3, 0, v8, s[2:3]
	v_add_co_u32_e32 v1, vcc, v1, v4
	v_addc_co_u32_e32 v2, vcc, v2, v3, vcc
	v_mbcnt_lo_u32_b32 v3, -1, 0
	v_mbcnt_hi_u32_b32 v3, -1, v3
	v_and_b32_e32 v4, 63, v3
	v_cmp_ne_u32_e32 vcc, 63, v4
	v_addc_co_u32_e32 v6, vcc, 0, v3, vcc
	v_lshlrev_b32_e32 v6, 2, v6
	ds_bpermute_b32 v8, v6, v1
	ds_bpermute_b32 v7, v6, v2
	s_min_u32 s2, s12, 0x80
	v_and_b32_e32 v5, 64, v0
	v_sub_u32_e64 v5, s2, v5 clamp
	v_add_u32_e32 v6, 1, v4
	v_cmp_lt_u32_e32 vcc, v6, v5
	v_mov_b32_e32 v6, v1
	s_and_saveexec_b64 s[0:1], vcc
	s_cbranch_execz .LBB31_657
; %bb.656:
	s_waitcnt lgkmcnt(1)
	v_add_co_u32_e32 v6, vcc, v1, v8
	v_addc_co_u32_e32 v2, vcc, 0, v2, vcc
	v_add_co_u32_e32 v1, vcc, 0, v6
	s_waitcnt lgkmcnt(0)
	v_addc_co_u32_e32 v2, vcc, v7, v2, vcc
.LBB31_657:
	s_or_b64 exec, exec, s[0:1]
	v_cmp_gt_u32_e32 vcc, 62, v4
	s_waitcnt lgkmcnt(0)
	v_cndmask_b32_e64 v7, 0, 2, vcc
	v_add_lshl_u32 v7, v7, v3, 2
	ds_bpermute_b32 v8, v7, v6
	ds_bpermute_b32 v7, v7, v2
	v_add_u32_e32 v9, 2, v4
	v_cmp_lt_u32_e32 vcc, v9, v5
	s_and_saveexec_b64 s[0:1], vcc
	s_cbranch_execz .LBB31_659
; %bb.658:
	s_waitcnt lgkmcnt(1)
	v_add_co_u32_e32 v6, vcc, v1, v8
	v_addc_co_u32_e32 v2, vcc, 0, v2, vcc
	v_add_co_u32_e32 v1, vcc, 0, v6
	s_waitcnt lgkmcnt(0)
	v_addc_co_u32_e32 v2, vcc, v7, v2, vcc
.LBB31_659:
	s_or_b64 exec, exec, s[0:1]
	v_cmp_gt_u32_e32 vcc, 60, v4
	s_waitcnt lgkmcnt(0)
	v_cndmask_b32_e64 v7, 0, 4, vcc
	v_add_lshl_u32 v7, v7, v3, 2
	ds_bpermute_b32 v8, v7, v6
	ds_bpermute_b32 v7, v7, v2
	v_add_u32_e32 v9, 4, v4
	v_cmp_lt_u32_e32 vcc, v9, v5
	;; [unrolled: 19-line block ×4, first 2 shown]
	s_and_saveexec_b64 s[0:1], vcc
	s_cbranch_execz .LBB31_665
; %bb.664:
	s_waitcnt lgkmcnt(1)
	v_add_co_u32_e32 v6, vcc, v1, v8
	v_addc_co_u32_e32 v2, vcc, 0, v2, vcc
	v_add_co_u32_e32 v1, vcc, 0, v6
	s_waitcnt lgkmcnt(0)
	v_addc_co_u32_e32 v2, vcc, v7, v2, vcc
.LBB31_665:
	s_or_b64 exec, exec, s[0:1]
	s_waitcnt lgkmcnt(0)
	v_lshlrev_b32_e32 v7, 2, v3
	v_or_b32_e32 v8, 0x80, v7
	ds_bpermute_b32 v6, v8, v6
	ds_bpermute_b32 v8, v8, v2
	v_add_u32_e32 v4, 32, v4
	s_waitcnt lgkmcnt(1)
	v_add_co_u32_e32 v6, vcc, v1, v6
	v_addc_co_u32_e32 v9, vcc, 0, v2, vcc
	v_add_co_u32_e32 v6, vcc, 0, v6
	s_waitcnt lgkmcnt(0)
	v_addc_co_u32_e32 v8, vcc, v9, v8, vcc
	v_cmp_lt_u32_e32 vcc, v4, v5
	v_cndmask_b32_e32 v2, v2, v8, vcc
	v_cndmask_b32_e32 v1, v1, v6, vcc
	v_cmp_eq_u32_e32 vcc, 0, v3
	s_and_saveexec_b64 s[0:1], vcc
; %bb.666:
	v_lshrrev_b32_e32 v4, 3, v0
	v_and_b32_e32 v4, 8, v4
	ds_write_b64 v4, v[1:2] offset:128
; %bb.667:
	s_or_b64 exec, exec, s[0:1]
	v_cmp_gt_u32_e32 vcc, 2, v0
	s_waitcnt lgkmcnt(0)
	s_barrier
	s_and_saveexec_b64 s[0:1], vcc
	s_cbranch_execz .LBB31_669
; %bb.668:
	v_lshlrev_b32_e32 v1, 3, v3
	ds_read_b64 v[1:2], v1 offset:128
	v_or_b32_e32 v4, 4, v7
	s_add_i32 s2, s2, 63
	v_and_b32_e32 v3, 1, v3
	s_lshr_b32 s2, s2, 6
	s_waitcnt lgkmcnt(0)
	ds_bpermute_b32 v5, v4, v2
	ds_bpermute_b32 v4, v4, v1
	v_add_u32_e32 v3, 1, v3
	v_cmp_gt_u32_e32 vcc, s2, v3
	s_waitcnt lgkmcnt(1)
	v_cndmask_b32_e32 v3, 0, v5, vcc
	s_waitcnt lgkmcnt(0)
	v_cndmask_b32_e32 v4, 0, v4, vcc
	v_add_co_u32_e32 v1, vcc, v4, v1
	v_addc_co_u32_e32 v2, vcc, v3, v2, vcc
.LBB31_669:
	s_or_b64 exec, exec, s[0:1]
.LBB31_670:
	v_mov_b32_e32 v3, s6
	v_cmp_eq_u32_e64 s[2:3], 0, v0
	v_mov_b32_e32 v4, s7
.LBB31_671:
	s_branch .LBB31_731
.LBB31_672:
	s_cmp_gt_i32 s26, 1
	s_cbranch_scc0 .LBB31_680
; %bb.673:
	s_cmp_eq_u32 s26, 2
                                        ; implicit-def: $vgpr1_vgpr2
                                        ; implicit-def: $vgpr3_vgpr4
	s_cbranch_scc0 .LBB31_681
; %bb.674:
	s_lshl_b32 s8, s6, 8
	s_lshr_b64 s[2:3], s[20:21], 8
	s_add_u32 s0, s18, s8
	s_mov_b32 s7, 0
	s_addc_u32 s1, s19, 0
	s_cmp_lg_u64 s[2:3], s[6:7]
	s_cbranch_scc0 .LBB31_682
; %bb.675:
	global_load_ubyte v1, v0, s[0:1]
	global_load_ubyte v2, v0, s[0:1] offset:128
	v_mov_b32_e32 v4, 0
	v_mbcnt_lo_u32_b32 v3, -1, 0
	v_mbcnt_hi_u32_b32 v3, -1, v3
	v_mov_b32_dpp v5, v4 quad_perm:[1,0,3,2] row_mask:0xf bank_mask:0xf bound_ctrl:1
	v_lshlrev_b32_e32 v4, 2, v3
	v_or_b32_e32 v6, 0xfc, v4
	s_waitcnt vmcnt(1)
	v_cmp_ne_u16_e32 vcc, 0, v1
	v_cndmask_b32_e64 v1, 0, 1, vcc
	s_waitcnt vmcnt(0)
	v_cmp_ne_u16_e32 vcc, 0, v2
	v_addc_co_u32_e32 v1, vcc, 0, v1, vcc
	s_nop 1
	v_mov_b32_dpp v2, v1 quad_perm:[1,0,3,2] row_mask:0xf bank_mask:0xf bound_ctrl:1
	v_add_co_u32_e32 v1, vcc, v1, v2
	v_addc_co_u32_e64 v2, s[2:3], 0, 0, vcc
	v_add_co_u32_e32 v7, vcc, 0, v1
	v_addc_co_u32_e32 v2, vcc, v5, v2, vcc
	v_mov_b32_dpp v1, v1 quad_perm:[2,3,0,1] row_mask:0xf bank_mask:0xf bound_ctrl:1
	v_add_co_u32_e32 v1, vcc, v7, v1
	v_mov_b32_dpp v5, v2 quad_perm:[2,3,0,1] row_mask:0xf bank_mask:0xf bound_ctrl:1
	v_addc_co_u32_e32 v2, vcc, 0, v2, vcc
	v_add_co_u32_e32 v7, vcc, 0, v1
	v_addc_co_u32_e32 v2, vcc, v2, v5, vcc
	v_mov_b32_dpp v1, v1 row_ror:4 row_mask:0xf bank_mask:0xf bound_ctrl:1
	v_add_co_u32_e32 v1, vcc, v7, v1
	v_mov_b32_dpp v5, v2 row_ror:4 row_mask:0xf bank_mask:0xf bound_ctrl:1
	v_addc_co_u32_e32 v2, vcc, 0, v2, vcc
	v_add_co_u32_e32 v7, vcc, 0, v1
	v_addc_co_u32_e32 v2, vcc, v2, v5, vcc
	v_mov_b32_dpp v1, v1 row_ror:8 row_mask:0xf bank_mask:0xf bound_ctrl:1
	v_add_co_u32_e32 v1, vcc, v7, v1
	v_mov_b32_dpp v5, v2 row_ror:8 row_mask:0xf bank_mask:0xf bound_ctrl:1
	v_addc_co_u32_e32 v2, vcc, 0, v2, vcc
	v_add_co_u32_e32 v7, vcc, 0, v1
	v_addc_co_u32_e32 v2, vcc, v2, v5, vcc
	v_mov_b32_dpp v1, v1 row_bcast:15 row_mask:0xf bank_mask:0xf bound_ctrl:1
	v_add_co_u32_e32 v1, vcc, v7, v1
	v_mov_b32_dpp v5, v2 row_bcast:15 row_mask:0xf bank_mask:0xf bound_ctrl:1
	v_addc_co_u32_e32 v2, vcc, 0, v2, vcc
	v_add_co_u32_e32 v7, vcc, 0, v1
	v_addc_co_u32_e32 v2, vcc, v2, v5, vcc
	v_mov_b32_dpp v1, v1 row_bcast:31 row_mask:0xf bank_mask:0xf bound_ctrl:1
	v_add_co_u32_e32 v1, vcc, v7, v1
	v_addc_co_u32_e32 v5, vcc, 0, v2, vcc
	ds_bpermute_b32 v1, v6, v1
	s_nop 0
	v_add_u32_dpp v2, v2, v5 row_bcast:31 row_mask:0xf bank_mask:0xf bound_ctrl:1
	ds_bpermute_b32 v2, v6, v2
	v_cmp_eq_u32_e32 vcc, 0, v3
	s_and_saveexec_b64 s[2:3], vcc
	s_cbranch_execz .LBB31_677
; %bb.676:
	v_lshrrev_b32_e32 v5, 3, v0
	v_and_b32_e32 v5, 8, v5
	s_waitcnt lgkmcnt(0)
	ds_write_b64 v5, v[1:2] offset:48
.LBB31_677:
	s_or_b64 exec, exec, s[2:3]
	v_cmp_gt_u32_e32 vcc, 64, v0
	s_waitcnt lgkmcnt(0)
	s_barrier
	s_and_saveexec_b64 s[2:3], vcc
	s_cbranch_execz .LBB31_679
; %bb.678:
	v_and_b32_e32 v1, 1, v3
	v_lshlrev_b32_e32 v1, 3, v1
	ds_read_b64 v[1:2], v1 offset:48
	v_or_b32_e32 v3, 4, v4
	s_waitcnt lgkmcnt(0)
	ds_bpermute_b32 v4, v3, v1
	ds_bpermute_b32 v3, v3, v2
	s_waitcnt lgkmcnt(1)
	v_add_co_u32_e32 v1, vcc, v1, v4
	v_addc_co_u32_e32 v2, vcc, 0, v2, vcc
	v_add_co_u32_e32 v1, vcc, 0, v1
	s_waitcnt lgkmcnt(0)
	v_addc_co_u32_e32 v2, vcc, v2, v3, vcc
.LBB31_679:
	s_or_b64 exec, exec, s[2:3]
	s_mov_b64 s[2:3], 0
	s_branch .LBB31_683
.LBB31_680:
                                        ; implicit-def: $vgpr1_vgpr2
                                        ; implicit-def: $vgpr3_vgpr4
	s_cbranch_execnz .LBB31_704
	s_branch .LBB31_731
.LBB31_681:
	s_branch .LBB31_731
.LBB31_682:
	s_mov_b64 s[2:3], -1
                                        ; implicit-def: $vgpr1_vgpr2
.LBB31_683:
	s_and_b64 vcc, exec, s[2:3]
	s_cbranch_vccz .LBB31_703
; %bb.684:
	s_sub_i32 s8, s20, s8
	v_mov_b32_e32 v1, 0
	v_cmp_gt_u32_e32 vcc, s8, v0
	v_mov_b32_e32 v2, v1
	v_mov_b32_e32 v3, v1
	;; [unrolled: 1-line block ×3, first 2 shown]
	s_and_saveexec_b64 s[2:3], vcc
	s_cbranch_execz .LBB31_686
; %bb.685:
	global_load_ubyte v2, v0, s[0:1]
	v_mov_b32_e32 v3, v1
	v_mov_b32_e32 v4, v1
	;; [unrolled: 1-line block ×3, first 2 shown]
	s_waitcnt vmcnt(0)
	v_cmp_ne_u16_e32 vcc, 0, v2
	v_cndmask_b32_e64 v2, 0, 1, vcc
	v_and_b32_e32 v2, 0xffff, v2
	v_mov_b32_e32 v1, v2
	v_mov_b32_e32 v2, v3
	;; [unrolled: 1-line block ×4, first 2 shown]
.LBB31_686:
	s_or_b64 exec, exec, s[2:3]
	v_or_b32_e32 v5, 0x80, v0
	v_cmp_gt_u32_e32 vcc, s8, v5
	s_and_saveexec_b64 s[2:3], vcc
	s_cbranch_execz .LBB31_688
; %bb.687:
	global_load_ubyte v3, v0, s[0:1] offset:128
	s_mov_b32 s9, 0
	v_mov_b32_e32 v4, s9
	s_waitcnt vmcnt(0)
	v_cmp_ne_u16_e64 s[0:1], 0, v3
	v_cndmask_b32_e64 v3, 0, 1, s[0:1]
.LBB31_688:
	s_or_b64 exec, exec, s[2:3]
	v_cndmask_b32_e32 v3, 0, v3, vcc
	v_cndmask_b32_e32 v4, 0, v4, vcc
	v_add_co_u32_e32 v1, vcc, v3, v1
	v_mbcnt_lo_u32_b32 v3, -1, 0
	v_mbcnt_hi_u32_b32 v3, -1, v3
	v_addc_co_u32_e32 v2, vcc, v4, v2, vcc
	v_and_b32_e32 v4, 63, v3
	v_cmp_ne_u32_e32 vcc, 63, v4
	v_addc_co_u32_e32 v6, vcc, 0, v3, vcc
	v_lshlrev_b32_e32 v6, 2, v6
	ds_bpermute_b32 v8, v6, v1
	ds_bpermute_b32 v7, v6, v2
	s_min_u32 s2, s8, 0x80
	v_and_b32_e32 v5, 64, v0
	v_sub_u32_e64 v5, s2, v5 clamp
	v_add_u32_e32 v6, 1, v4
	v_cmp_lt_u32_e32 vcc, v6, v5
	v_mov_b32_e32 v6, v1
	s_and_saveexec_b64 s[0:1], vcc
	s_cbranch_execz .LBB31_690
; %bb.689:
	s_waitcnt lgkmcnt(1)
	v_add_co_u32_e32 v6, vcc, v1, v8
	v_addc_co_u32_e32 v2, vcc, 0, v2, vcc
	v_add_co_u32_e32 v1, vcc, 0, v6
	s_waitcnt lgkmcnt(0)
	v_addc_co_u32_e32 v2, vcc, v7, v2, vcc
.LBB31_690:
	s_or_b64 exec, exec, s[0:1]
	v_cmp_gt_u32_e32 vcc, 62, v4
	s_waitcnt lgkmcnt(0)
	v_cndmask_b32_e64 v7, 0, 2, vcc
	v_add_lshl_u32 v7, v7, v3, 2
	ds_bpermute_b32 v8, v7, v6
	ds_bpermute_b32 v7, v7, v2
	v_add_u32_e32 v9, 2, v4
	v_cmp_lt_u32_e32 vcc, v9, v5
	s_and_saveexec_b64 s[0:1], vcc
	s_cbranch_execz .LBB31_692
; %bb.691:
	s_waitcnt lgkmcnt(1)
	v_add_co_u32_e32 v6, vcc, v1, v8
	v_addc_co_u32_e32 v2, vcc, 0, v2, vcc
	v_add_co_u32_e32 v1, vcc, 0, v6
	s_waitcnt lgkmcnt(0)
	v_addc_co_u32_e32 v2, vcc, v7, v2, vcc
.LBB31_692:
	s_or_b64 exec, exec, s[0:1]
	v_cmp_gt_u32_e32 vcc, 60, v4
	s_waitcnt lgkmcnt(0)
	v_cndmask_b32_e64 v7, 0, 4, vcc
	v_add_lshl_u32 v7, v7, v3, 2
	ds_bpermute_b32 v8, v7, v6
	ds_bpermute_b32 v7, v7, v2
	v_add_u32_e32 v9, 4, v4
	v_cmp_lt_u32_e32 vcc, v9, v5
	;; [unrolled: 19-line block ×4, first 2 shown]
	s_and_saveexec_b64 s[0:1], vcc
	s_cbranch_execz .LBB31_698
; %bb.697:
	s_waitcnt lgkmcnt(1)
	v_add_co_u32_e32 v6, vcc, v1, v8
	v_addc_co_u32_e32 v2, vcc, 0, v2, vcc
	v_add_co_u32_e32 v1, vcc, 0, v6
	s_waitcnt lgkmcnt(0)
	v_addc_co_u32_e32 v2, vcc, v7, v2, vcc
.LBB31_698:
	s_or_b64 exec, exec, s[0:1]
	s_waitcnt lgkmcnt(0)
	v_lshlrev_b32_e32 v7, 2, v3
	v_or_b32_e32 v8, 0x80, v7
	ds_bpermute_b32 v6, v8, v6
	ds_bpermute_b32 v8, v8, v2
	v_add_u32_e32 v4, 32, v4
	s_waitcnt lgkmcnt(1)
	v_add_co_u32_e32 v6, vcc, v1, v6
	v_addc_co_u32_e32 v9, vcc, 0, v2, vcc
	v_add_co_u32_e32 v6, vcc, 0, v6
	s_waitcnt lgkmcnt(0)
	v_addc_co_u32_e32 v8, vcc, v9, v8, vcc
	v_cmp_lt_u32_e32 vcc, v4, v5
	v_cndmask_b32_e32 v2, v2, v8, vcc
	v_cndmask_b32_e32 v1, v1, v6, vcc
	v_cmp_eq_u32_e32 vcc, 0, v3
	s_and_saveexec_b64 s[0:1], vcc
; %bb.699:
	v_lshrrev_b32_e32 v4, 3, v0
	v_and_b32_e32 v4, 8, v4
	ds_write_b64 v4, v[1:2] offset:128
; %bb.700:
	s_or_b64 exec, exec, s[0:1]
	v_cmp_gt_u32_e32 vcc, 2, v0
	s_waitcnt lgkmcnt(0)
	s_barrier
	s_and_saveexec_b64 s[0:1], vcc
	s_cbranch_execz .LBB31_702
; %bb.701:
	v_lshlrev_b32_e32 v1, 3, v3
	ds_read_b64 v[1:2], v1 offset:128
	v_or_b32_e32 v4, 4, v7
	s_add_i32 s2, s2, 63
	v_and_b32_e32 v3, 1, v3
	s_lshr_b32 s2, s2, 6
	s_waitcnt lgkmcnt(0)
	ds_bpermute_b32 v5, v4, v2
	ds_bpermute_b32 v4, v4, v1
	v_add_u32_e32 v3, 1, v3
	v_cmp_gt_u32_e32 vcc, s2, v3
	s_waitcnt lgkmcnt(1)
	v_cndmask_b32_e32 v3, 0, v5, vcc
	s_waitcnt lgkmcnt(0)
	v_cndmask_b32_e32 v4, 0, v4, vcc
	v_add_co_u32_e32 v1, vcc, v4, v1
	v_addc_co_u32_e32 v2, vcc, v3, v2, vcc
.LBB31_702:
	s_or_b64 exec, exec, s[0:1]
.LBB31_703:
	v_mov_b32_e32 v3, s6
	v_cmp_eq_u32_e64 s[2:3], 0, v0
	v_mov_b32_e32 v4, s7
	s_branch .LBB31_731
.LBB31_704:
	s_cmp_eq_u32 s26, 1
                                        ; implicit-def: $vgpr1_vgpr2
                                        ; implicit-def: $vgpr3_vgpr4
	s_cbranch_scc0 .LBB31_731
; %bb.705:
	s_lshl_b32 s2, s6, 7
	s_mov_b32 s7, 0
	s_lshr_b64 s[0:1], s[20:21], 7
	s_cmp_lg_u64 s[0:1], s[6:7]
	v_mbcnt_lo_u32_b32 v3, -1, 0
	s_cbranch_scc0 .LBB31_711
; %bb.706:
	s_add_u32 s0, s18, s2
	s_addc_u32 s1, s19, 0
	global_load_ubyte v1, v0, s[0:1]
	v_mov_b32_e32 v2, 0
	v_mbcnt_hi_u32_b32 v4, -1, v3
	v_lshlrev_b32_e32 v5, 2, v4
	v_mov_b32_dpp v2, v2 quad_perm:[1,0,3,2] row_mask:0xf bank_mask:0xf bound_ctrl:1
	v_or_b32_e32 v6, 0xfc, v5
	s_waitcnt vmcnt(0)
	v_cmp_ne_u16_e32 vcc, 0, v1
	v_cndmask_b32_e64 v1, 0, 1, vcc
	s_nop 1
	v_mov_b32_dpp v7, v1 quad_perm:[1,0,3,2] row_mask:0xf bank_mask:0xf bound_ctrl:1
	v_add_co_u32_e32 v1, vcc, v7, v1
	v_addc_co_u32_e64 v7, s[0:1], 0, 0, vcc
	v_add_co_u32_e32 v8, vcc, 0, v1
	v_addc_co_u32_e32 v2, vcc, v2, v7, vcc
	v_mov_b32_dpp v1, v1 quad_perm:[2,3,0,1] row_mask:0xf bank_mask:0xf bound_ctrl:1
	v_add_co_u32_e32 v1, vcc, v8, v1
	v_mov_b32_dpp v7, v2 quad_perm:[2,3,0,1] row_mask:0xf bank_mask:0xf bound_ctrl:1
	v_addc_co_u32_e32 v2, vcc, 0, v2, vcc
	v_add_co_u32_e32 v8, vcc, 0, v1
	v_addc_co_u32_e32 v2, vcc, v2, v7, vcc
	v_mov_b32_dpp v1, v1 row_ror:4 row_mask:0xf bank_mask:0xf bound_ctrl:1
	v_add_co_u32_e32 v1, vcc, v8, v1
	v_mov_b32_dpp v7, v2 row_ror:4 row_mask:0xf bank_mask:0xf bound_ctrl:1
	v_addc_co_u32_e32 v2, vcc, 0, v2, vcc
	v_add_co_u32_e32 v8, vcc, 0, v1
	v_addc_co_u32_e32 v2, vcc, v2, v7, vcc
	v_mov_b32_dpp v1, v1 row_ror:8 row_mask:0xf bank_mask:0xf bound_ctrl:1
	v_add_co_u32_e32 v1, vcc, v8, v1
	v_mov_b32_dpp v7, v2 row_ror:8 row_mask:0xf bank_mask:0xf bound_ctrl:1
	v_addc_co_u32_e32 v2, vcc, 0, v2, vcc
	v_add_co_u32_e32 v8, vcc, 0, v1
	v_addc_co_u32_e32 v2, vcc, v2, v7, vcc
	v_mov_b32_dpp v1, v1 row_bcast:15 row_mask:0xf bank_mask:0xf bound_ctrl:1
	v_add_co_u32_e32 v1, vcc, v8, v1
	v_mov_b32_dpp v7, v2 row_bcast:15 row_mask:0xf bank_mask:0xf bound_ctrl:1
	v_addc_co_u32_e32 v2, vcc, 0, v2, vcc
	v_add_co_u32_e32 v8, vcc, 0, v1
	v_addc_co_u32_e32 v2, vcc, v2, v7, vcc
	v_mov_b32_dpp v1, v1 row_bcast:31 row_mask:0xf bank_mask:0xf bound_ctrl:1
	v_add_co_u32_e32 v1, vcc, v8, v1
	v_addc_co_u32_e32 v7, vcc, 0, v2, vcc
	ds_bpermute_b32 v1, v6, v1
	s_nop 0
	v_add_u32_dpp v2, v2, v7 row_bcast:31 row_mask:0xf bank_mask:0xf bound_ctrl:1
	ds_bpermute_b32 v2, v6, v2
	v_cmp_eq_u32_e32 vcc, 0, v4
	s_and_saveexec_b64 s[0:1], vcc
	s_cbranch_execz .LBB31_708
; %bb.707:
	v_lshrrev_b32_e32 v6, 3, v0
	v_and_b32_e32 v6, 8, v6
	s_waitcnt lgkmcnt(0)
	ds_write_b64 v6, v[1:2] offset:32
.LBB31_708:
	s_or_b64 exec, exec, s[0:1]
	v_cmp_gt_u32_e32 vcc, 64, v0
	s_waitcnt lgkmcnt(0)
	s_barrier
	s_and_saveexec_b64 s[0:1], vcc
	s_cbranch_execz .LBB31_710
; %bb.709:
	v_and_b32_e32 v1, 1, v4
	v_lshlrev_b32_e32 v1, 3, v1
	ds_read_b64 v[1:2], v1 offset:32
	v_or_b32_e32 v4, 4, v5
	s_waitcnt lgkmcnt(0)
	ds_bpermute_b32 v5, v4, v1
	ds_bpermute_b32 v4, v4, v2
	s_waitcnt lgkmcnt(1)
	v_add_co_u32_e32 v1, vcc, v1, v5
	v_addc_co_u32_e32 v2, vcc, 0, v2, vcc
	v_add_co_u32_e32 v1, vcc, 0, v1
	s_waitcnt lgkmcnt(0)
	v_addc_co_u32_e32 v2, vcc, v2, v4, vcc
.LBB31_710:
	s_or_b64 exec, exec, s[0:1]
	s_mov_b64 s[0:1], 0
	s_branch .LBB31_712
.LBB31_711:
	s_mov_b64 s[0:1], -1
                                        ; implicit-def: $vgpr1_vgpr2
.LBB31_712:
	s_and_b64 vcc, exec, s[0:1]
	s_cbranch_vccz .LBB31_730
; %bb.713:
	s_sub_i32 s3, s20, s2
	v_cmp_gt_u32_e32 vcc, s3, v0
                                        ; implicit-def: $vgpr1_vgpr2
	s_and_saveexec_b64 s[0:1], vcc
	s_cbranch_execz .LBB31_715
; %bb.714:
	s_add_u32 s8, s18, s2
	s_addc_u32 s9, s19, 0
	global_load_ubyte v1, v0, s[8:9]
	s_mov_b32 s2, 0
	v_mov_b32_e32 v2, s2
	s_waitcnt vmcnt(0)
	v_cmp_ne_u16_e32 vcc, 0, v1
	v_cndmask_b32_e64 v1, 0, 1, vcc
.LBB31_715:
	s_or_b64 exec, exec, s[0:1]
	v_mbcnt_hi_u32_b32 v3, -1, v3
	v_and_b32_e32 v4, 63, v3
	v_cmp_ne_u32_e32 vcc, 63, v4
	v_addc_co_u32_e32 v6, vcc, 0, v3, vcc
	v_lshlrev_b32_e32 v6, 2, v6
	ds_bpermute_b32 v8, v6, v1
	ds_bpermute_b32 v7, v6, v2
	s_min_u32 s2, s3, 0x80
	v_and_b32_e32 v5, 64, v0
	v_sub_u32_e64 v5, s2, v5 clamp
	v_add_u32_e32 v6, 1, v4
	v_cmp_lt_u32_e32 vcc, v6, v5
	v_mov_b32_e32 v6, v1
	s_and_saveexec_b64 s[0:1], vcc
	s_cbranch_execz .LBB31_717
; %bb.716:
	s_waitcnt lgkmcnt(1)
	v_add_co_u32_e32 v6, vcc, v1, v8
	v_addc_co_u32_e32 v2, vcc, 0, v2, vcc
	v_add_co_u32_e32 v1, vcc, 0, v6
	s_waitcnt lgkmcnt(0)
	v_addc_co_u32_e32 v2, vcc, v7, v2, vcc
.LBB31_717:
	s_or_b64 exec, exec, s[0:1]
	v_cmp_gt_u32_e32 vcc, 62, v4
	s_waitcnt lgkmcnt(0)
	v_cndmask_b32_e64 v7, 0, 2, vcc
	v_add_lshl_u32 v7, v7, v3, 2
	ds_bpermute_b32 v8, v7, v6
	ds_bpermute_b32 v7, v7, v2
	v_add_u32_e32 v9, 2, v4
	v_cmp_lt_u32_e32 vcc, v9, v5
	s_and_saveexec_b64 s[0:1], vcc
	s_cbranch_execz .LBB31_719
; %bb.718:
	s_waitcnt lgkmcnt(1)
	v_add_co_u32_e32 v6, vcc, v1, v8
	v_addc_co_u32_e32 v2, vcc, 0, v2, vcc
	v_add_co_u32_e32 v1, vcc, 0, v6
	s_waitcnt lgkmcnt(0)
	v_addc_co_u32_e32 v2, vcc, v7, v2, vcc
.LBB31_719:
	s_or_b64 exec, exec, s[0:1]
	v_cmp_gt_u32_e32 vcc, 60, v4
	s_waitcnt lgkmcnt(0)
	v_cndmask_b32_e64 v7, 0, 4, vcc
	v_add_lshl_u32 v7, v7, v3, 2
	ds_bpermute_b32 v8, v7, v6
	ds_bpermute_b32 v7, v7, v2
	v_add_u32_e32 v9, 4, v4
	v_cmp_lt_u32_e32 vcc, v9, v5
	;; [unrolled: 19-line block ×4, first 2 shown]
	s_and_saveexec_b64 s[0:1], vcc
	s_cbranch_execz .LBB31_725
; %bb.724:
	s_waitcnt lgkmcnt(1)
	v_add_co_u32_e32 v6, vcc, v1, v8
	v_addc_co_u32_e32 v2, vcc, 0, v2, vcc
	v_add_co_u32_e32 v1, vcc, 0, v6
	s_waitcnt lgkmcnt(0)
	v_addc_co_u32_e32 v2, vcc, v7, v2, vcc
.LBB31_725:
	s_or_b64 exec, exec, s[0:1]
	s_waitcnt lgkmcnt(0)
	v_lshlrev_b32_e32 v7, 2, v3
	v_or_b32_e32 v8, 0x80, v7
	ds_bpermute_b32 v6, v8, v6
	ds_bpermute_b32 v8, v8, v2
	v_add_u32_e32 v4, 32, v4
	s_waitcnt lgkmcnt(1)
	v_add_co_u32_e32 v6, vcc, v1, v6
	v_addc_co_u32_e32 v9, vcc, 0, v2, vcc
	v_add_co_u32_e32 v6, vcc, 0, v6
	s_waitcnt lgkmcnt(0)
	v_addc_co_u32_e32 v8, vcc, v9, v8, vcc
	v_cmp_lt_u32_e32 vcc, v4, v5
	v_cndmask_b32_e32 v2, v2, v8, vcc
	v_cndmask_b32_e32 v1, v1, v6, vcc
	v_cmp_eq_u32_e32 vcc, 0, v3
	s_and_saveexec_b64 s[0:1], vcc
; %bb.726:
	v_lshrrev_b32_e32 v4, 3, v0
	v_and_b32_e32 v4, 8, v4
	ds_write_b64 v4, v[1:2] offset:128
; %bb.727:
	s_or_b64 exec, exec, s[0:1]
	v_cmp_gt_u32_e32 vcc, 2, v0
	s_waitcnt lgkmcnt(0)
	s_barrier
	s_and_saveexec_b64 s[0:1], vcc
	s_cbranch_execz .LBB31_729
; %bb.728:
	v_lshlrev_b32_e32 v1, 3, v3
	ds_read_b64 v[1:2], v1 offset:128
	v_or_b32_e32 v4, 4, v7
	s_add_i32 s2, s2, 63
	v_and_b32_e32 v3, 1, v3
	s_lshr_b32 s2, s2, 6
	s_waitcnt lgkmcnt(0)
	ds_bpermute_b32 v5, v4, v2
	ds_bpermute_b32 v4, v4, v1
	v_add_u32_e32 v3, 1, v3
	v_cmp_gt_u32_e32 vcc, s2, v3
	s_waitcnt lgkmcnt(1)
	v_cndmask_b32_e32 v3, 0, v5, vcc
	s_waitcnt lgkmcnt(0)
	v_cndmask_b32_e32 v4, 0, v4, vcc
	v_add_co_u32_e32 v1, vcc, v4, v1
	v_addc_co_u32_e32 v2, vcc, v3, v2, vcc
.LBB31_729:
	s_or_b64 exec, exec, s[0:1]
.LBB31_730:
	v_mov_b32_e32 v3, s6
	v_cmp_eq_u32_e64 s[2:3], 0, v0
	v_mov_b32_e32 v4, s7
.LBB31_731:
	s_and_saveexec_b64 s[0:1], s[2:3]
	s_cbranch_execz .LBB31_733
; %bb.732:
	v_lshlrev_b64 v[3:4], 3, v[3:4]
	s_load_dwordx2 s[0:1], s[4:5], 0x28
	v_mov_b32_e32 v0, s23
	v_add_co_u32_e32 v3, vcc, s22, v3
	v_addc_co_u32_e32 v4, vcc, v0, v4, vcc
	s_cmp_lg_u64 s[20:21], 0
	s_cselect_b64 vcc, -1, 0
	v_cndmask_b32_e32 v0, 0, v1, vcc
	v_cndmask_b32_e32 v2, 0, v2, vcc
	s_waitcnt lgkmcnt(0)
	v_mov_b32_e32 v1, s1
	v_add_co_u32_e32 v0, vcc, s0, v0
	v_addc_co_u32_e32 v1, vcc, v2, v1, vcc
	global_store_dwordx2 v[3:4], v[0:1], off
.LBB31_733:
	s_endpgm
	.section	.rodata,"a",@progbits
	.p2align	6, 0x0
	.amdhsa_kernel _ZN7rocprim17ROCPRIM_400000_NS6detail17trampoline_kernelINS0_14default_configENS1_22reduce_config_selectorIbEEZNS1_11reduce_implILb1ES3_N6hipcub16HIPCUB_304000_NS22TransformInputIteratorIb7NonZeroIaEPalEEPllNS8_6detail34convert_binary_result_type_wrapperINS8_3SumESD_lEEEE10hipError_tPvRmT1_T2_T3_mT4_P12ihipStream_tbEUlT_E1_NS1_11comp_targetILNS1_3genE2ELNS1_11target_archE906ELNS1_3gpuE6ELNS1_3repE0EEENS1_30default_config_static_selectorELNS0_4arch9wavefront6targetE1EEEvSM_
		.amdhsa_group_segment_fixed_size 144
		.amdhsa_private_segment_fixed_size 20
		.amdhsa_kernarg_size 56
		.amdhsa_user_sgpr_count 6
		.amdhsa_user_sgpr_private_segment_buffer 1
		.amdhsa_user_sgpr_dispatch_ptr 0
		.amdhsa_user_sgpr_queue_ptr 0
		.amdhsa_user_sgpr_kernarg_segment_ptr 1
		.amdhsa_user_sgpr_dispatch_id 0
		.amdhsa_user_sgpr_flat_scratch_init 0
		.amdhsa_user_sgpr_private_segment_size 0
		.amdhsa_uses_dynamic_stack 0
		.amdhsa_system_sgpr_private_segment_wavefront_offset 1
		.amdhsa_system_sgpr_workgroup_id_x 1
		.amdhsa_system_sgpr_workgroup_id_y 0
		.amdhsa_system_sgpr_workgroup_id_z 0
		.amdhsa_system_sgpr_workgroup_info 0
		.amdhsa_system_vgpr_workitem_id 0
		.amdhsa_next_free_vgpr 256
		.amdhsa_next_free_sgpr 40
		.amdhsa_reserve_vcc 1
		.amdhsa_reserve_flat_scratch 0
		.amdhsa_float_round_mode_32 0
		.amdhsa_float_round_mode_16_64 0
		.amdhsa_float_denorm_mode_32 3
		.amdhsa_float_denorm_mode_16_64 3
		.amdhsa_dx10_clamp 1
		.amdhsa_ieee_mode 1
		.amdhsa_fp16_overflow 0
		.amdhsa_exception_fp_ieee_invalid_op 0
		.amdhsa_exception_fp_denorm_src 0
		.amdhsa_exception_fp_ieee_div_zero 0
		.amdhsa_exception_fp_ieee_overflow 0
		.amdhsa_exception_fp_ieee_underflow 0
		.amdhsa_exception_fp_ieee_inexact 0
		.amdhsa_exception_int_div_zero 0
	.end_amdhsa_kernel
	.section	.text._ZN7rocprim17ROCPRIM_400000_NS6detail17trampoline_kernelINS0_14default_configENS1_22reduce_config_selectorIbEEZNS1_11reduce_implILb1ES3_N6hipcub16HIPCUB_304000_NS22TransformInputIteratorIb7NonZeroIaEPalEEPllNS8_6detail34convert_binary_result_type_wrapperINS8_3SumESD_lEEEE10hipError_tPvRmT1_T2_T3_mT4_P12ihipStream_tbEUlT_E1_NS1_11comp_targetILNS1_3genE2ELNS1_11target_archE906ELNS1_3gpuE6ELNS1_3repE0EEENS1_30default_config_static_selectorELNS0_4arch9wavefront6targetE1EEEvSM_,"axG",@progbits,_ZN7rocprim17ROCPRIM_400000_NS6detail17trampoline_kernelINS0_14default_configENS1_22reduce_config_selectorIbEEZNS1_11reduce_implILb1ES3_N6hipcub16HIPCUB_304000_NS22TransformInputIteratorIb7NonZeroIaEPalEEPllNS8_6detail34convert_binary_result_type_wrapperINS8_3SumESD_lEEEE10hipError_tPvRmT1_T2_T3_mT4_P12ihipStream_tbEUlT_E1_NS1_11comp_targetILNS1_3genE2ELNS1_11target_archE906ELNS1_3gpuE6ELNS1_3repE0EEENS1_30default_config_static_selectorELNS0_4arch9wavefront6targetE1EEEvSM_,comdat
.Lfunc_end31:
	.size	_ZN7rocprim17ROCPRIM_400000_NS6detail17trampoline_kernelINS0_14default_configENS1_22reduce_config_selectorIbEEZNS1_11reduce_implILb1ES3_N6hipcub16HIPCUB_304000_NS22TransformInputIteratorIb7NonZeroIaEPalEEPllNS8_6detail34convert_binary_result_type_wrapperINS8_3SumESD_lEEEE10hipError_tPvRmT1_T2_T3_mT4_P12ihipStream_tbEUlT_E1_NS1_11comp_targetILNS1_3genE2ELNS1_11target_archE906ELNS1_3gpuE6ELNS1_3repE0EEENS1_30default_config_static_selectorELNS0_4arch9wavefront6targetE1EEEvSM_, .Lfunc_end31-_ZN7rocprim17ROCPRIM_400000_NS6detail17trampoline_kernelINS0_14default_configENS1_22reduce_config_selectorIbEEZNS1_11reduce_implILb1ES3_N6hipcub16HIPCUB_304000_NS22TransformInputIteratorIb7NonZeroIaEPalEEPllNS8_6detail34convert_binary_result_type_wrapperINS8_3SumESD_lEEEE10hipError_tPvRmT1_T2_T3_mT4_P12ihipStream_tbEUlT_E1_NS1_11comp_targetILNS1_3genE2ELNS1_11target_archE906ELNS1_3gpuE6ELNS1_3repE0EEENS1_30default_config_static_selectorELNS0_4arch9wavefront6targetE1EEEvSM_
                                        ; -- End function
	.set _ZN7rocprim17ROCPRIM_400000_NS6detail17trampoline_kernelINS0_14default_configENS1_22reduce_config_selectorIbEEZNS1_11reduce_implILb1ES3_N6hipcub16HIPCUB_304000_NS22TransformInputIteratorIb7NonZeroIaEPalEEPllNS8_6detail34convert_binary_result_type_wrapperINS8_3SumESD_lEEEE10hipError_tPvRmT1_T2_T3_mT4_P12ihipStream_tbEUlT_E1_NS1_11comp_targetILNS1_3genE2ELNS1_11target_archE906ELNS1_3gpuE6ELNS1_3repE0EEENS1_30default_config_static_selectorELNS0_4arch9wavefront6targetE1EEEvSM_.num_vgpr, 256
	.set _ZN7rocprim17ROCPRIM_400000_NS6detail17trampoline_kernelINS0_14default_configENS1_22reduce_config_selectorIbEEZNS1_11reduce_implILb1ES3_N6hipcub16HIPCUB_304000_NS22TransformInputIteratorIb7NonZeroIaEPalEEPllNS8_6detail34convert_binary_result_type_wrapperINS8_3SumESD_lEEEE10hipError_tPvRmT1_T2_T3_mT4_P12ihipStream_tbEUlT_E1_NS1_11comp_targetILNS1_3genE2ELNS1_11target_archE906ELNS1_3gpuE6ELNS1_3repE0EEENS1_30default_config_static_selectorELNS0_4arch9wavefront6targetE1EEEvSM_.num_agpr, 0
	.set _ZN7rocprim17ROCPRIM_400000_NS6detail17trampoline_kernelINS0_14default_configENS1_22reduce_config_selectorIbEEZNS1_11reduce_implILb1ES3_N6hipcub16HIPCUB_304000_NS22TransformInputIteratorIb7NonZeroIaEPalEEPllNS8_6detail34convert_binary_result_type_wrapperINS8_3SumESD_lEEEE10hipError_tPvRmT1_T2_T3_mT4_P12ihipStream_tbEUlT_E1_NS1_11comp_targetILNS1_3genE2ELNS1_11target_archE906ELNS1_3gpuE6ELNS1_3repE0EEENS1_30default_config_static_selectorELNS0_4arch9wavefront6targetE1EEEvSM_.numbered_sgpr, 40
	.set _ZN7rocprim17ROCPRIM_400000_NS6detail17trampoline_kernelINS0_14default_configENS1_22reduce_config_selectorIbEEZNS1_11reduce_implILb1ES3_N6hipcub16HIPCUB_304000_NS22TransformInputIteratorIb7NonZeroIaEPalEEPllNS8_6detail34convert_binary_result_type_wrapperINS8_3SumESD_lEEEE10hipError_tPvRmT1_T2_T3_mT4_P12ihipStream_tbEUlT_E1_NS1_11comp_targetILNS1_3genE2ELNS1_11target_archE906ELNS1_3gpuE6ELNS1_3repE0EEENS1_30default_config_static_selectorELNS0_4arch9wavefront6targetE1EEEvSM_.num_named_barrier, 0
	.set _ZN7rocprim17ROCPRIM_400000_NS6detail17trampoline_kernelINS0_14default_configENS1_22reduce_config_selectorIbEEZNS1_11reduce_implILb1ES3_N6hipcub16HIPCUB_304000_NS22TransformInputIteratorIb7NonZeroIaEPalEEPllNS8_6detail34convert_binary_result_type_wrapperINS8_3SumESD_lEEEE10hipError_tPvRmT1_T2_T3_mT4_P12ihipStream_tbEUlT_E1_NS1_11comp_targetILNS1_3genE2ELNS1_11target_archE906ELNS1_3gpuE6ELNS1_3repE0EEENS1_30default_config_static_selectorELNS0_4arch9wavefront6targetE1EEEvSM_.private_seg_size, 20
	.set _ZN7rocprim17ROCPRIM_400000_NS6detail17trampoline_kernelINS0_14default_configENS1_22reduce_config_selectorIbEEZNS1_11reduce_implILb1ES3_N6hipcub16HIPCUB_304000_NS22TransformInputIteratorIb7NonZeroIaEPalEEPllNS8_6detail34convert_binary_result_type_wrapperINS8_3SumESD_lEEEE10hipError_tPvRmT1_T2_T3_mT4_P12ihipStream_tbEUlT_E1_NS1_11comp_targetILNS1_3genE2ELNS1_11target_archE906ELNS1_3gpuE6ELNS1_3repE0EEENS1_30default_config_static_selectorELNS0_4arch9wavefront6targetE1EEEvSM_.uses_vcc, 1
	.set _ZN7rocprim17ROCPRIM_400000_NS6detail17trampoline_kernelINS0_14default_configENS1_22reduce_config_selectorIbEEZNS1_11reduce_implILb1ES3_N6hipcub16HIPCUB_304000_NS22TransformInputIteratorIb7NonZeroIaEPalEEPllNS8_6detail34convert_binary_result_type_wrapperINS8_3SumESD_lEEEE10hipError_tPvRmT1_T2_T3_mT4_P12ihipStream_tbEUlT_E1_NS1_11comp_targetILNS1_3genE2ELNS1_11target_archE906ELNS1_3gpuE6ELNS1_3repE0EEENS1_30default_config_static_selectorELNS0_4arch9wavefront6targetE1EEEvSM_.uses_flat_scratch, 0
	.set _ZN7rocprim17ROCPRIM_400000_NS6detail17trampoline_kernelINS0_14default_configENS1_22reduce_config_selectorIbEEZNS1_11reduce_implILb1ES3_N6hipcub16HIPCUB_304000_NS22TransformInputIteratorIb7NonZeroIaEPalEEPllNS8_6detail34convert_binary_result_type_wrapperINS8_3SumESD_lEEEE10hipError_tPvRmT1_T2_T3_mT4_P12ihipStream_tbEUlT_E1_NS1_11comp_targetILNS1_3genE2ELNS1_11target_archE906ELNS1_3gpuE6ELNS1_3repE0EEENS1_30default_config_static_selectorELNS0_4arch9wavefront6targetE1EEEvSM_.has_dyn_sized_stack, 0
	.set _ZN7rocprim17ROCPRIM_400000_NS6detail17trampoline_kernelINS0_14default_configENS1_22reduce_config_selectorIbEEZNS1_11reduce_implILb1ES3_N6hipcub16HIPCUB_304000_NS22TransformInputIteratorIb7NonZeroIaEPalEEPllNS8_6detail34convert_binary_result_type_wrapperINS8_3SumESD_lEEEE10hipError_tPvRmT1_T2_T3_mT4_P12ihipStream_tbEUlT_E1_NS1_11comp_targetILNS1_3genE2ELNS1_11target_archE906ELNS1_3gpuE6ELNS1_3repE0EEENS1_30default_config_static_selectorELNS0_4arch9wavefront6targetE1EEEvSM_.has_recursion, 0
	.set _ZN7rocprim17ROCPRIM_400000_NS6detail17trampoline_kernelINS0_14default_configENS1_22reduce_config_selectorIbEEZNS1_11reduce_implILb1ES3_N6hipcub16HIPCUB_304000_NS22TransformInputIteratorIb7NonZeroIaEPalEEPllNS8_6detail34convert_binary_result_type_wrapperINS8_3SumESD_lEEEE10hipError_tPvRmT1_T2_T3_mT4_P12ihipStream_tbEUlT_E1_NS1_11comp_targetILNS1_3genE2ELNS1_11target_archE906ELNS1_3gpuE6ELNS1_3repE0EEENS1_30default_config_static_selectorELNS0_4arch9wavefront6targetE1EEEvSM_.has_indirect_call, 0
	.section	.AMDGPU.csdata,"",@progbits
; Kernel info:
; codeLenInByte = 35768
; TotalNumSgprs: 44
; NumVgprs: 256
; ScratchSize: 20
; MemoryBound: 0
; FloatMode: 240
; IeeeMode: 1
; LDSByteSize: 144 bytes/workgroup (compile time only)
; SGPRBlocks: 5
; VGPRBlocks: 63
; NumSGPRsForWavesPerEU: 44
; NumVGPRsForWavesPerEU: 256
; Occupancy: 1
; WaveLimiterHint : 1
; COMPUTE_PGM_RSRC2:SCRATCH_EN: 1
; COMPUTE_PGM_RSRC2:USER_SGPR: 6
; COMPUTE_PGM_RSRC2:TRAP_HANDLER: 0
; COMPUTE_PGM_RSRC2:TGID_X_EN: 1
; COMPUTE_PGM_RSRC2:TGID_Y_EN: 0
; COMPUTE_PGM_RSRC2:TGID_Z_EN: 0
; COMPUTE_PGM_RSRC2:TIDIG_COMP_CNT: 0
	.section	.text._ZN7rocprim17ROCPRIM_400000_NS6detail17trampoline_kernelINS0_14default_configENS1_22reduce_config_selectorIbEEZNS1_11reduce_implILb1ES3_N6hipcub16HIPCUB_304000_NS22TransformInputIteratorIb7NonZeroIaEPalEEPllNS8_6detail34convert_binary_result_type_wrapperINS8_3SumESD_lEEEE10hipError_tPvRmT1_T2_T3_mT4_P12ihipStream_tbEUlT_E1_NS1_11comp_targetILNS1_3genE10ELNS1_11target_archE1201ELNS1_3gpuE5ELNS1_3repE0EEENS1_30default_config_static_selectorELNS0_4arch9wavefront6targetE1EEEvSM_,"axG",@progbits,_ZN7rocprim17ROCPRIM_400000_NS6detail17trampoline_kernelINS0_14default_configENS1_22reduce_config_selectorIbEEZNS1_11reduce_implILb1ES3_N6hipcub16HIPCUB_304000_NS22TransformInputIteratorIb7NonZeroIaEPalEEPllNS8_6detail34convert_binary_result_type_wrapperINS8_3SumESD_lEEEE10hipError_tPvRmT1_T2_T3_mT4_P12ihipStream_tbEUlT_E1_NS1_11comp_targetILNS1_3genE10ELNS1_11target_archE1201ELNS1_3gpuE5ELNS1_3repE0EEENS1_30default_config_static_selectorELNS0_4arch9wavefront6targetE1EEEvSM_,comdat
	.protected	_ZN7rocprim17ROCPRIM_400000_NS6detail17trampoline_kernelINS0_14default_configENS1_22reduce_config_selectorIbEEZNS1_11reduce_implILb1ES3_N6hipcub16HIPCUB_304000_NS22TransformInputIteratorIb7NonZeroIaEPalEEPllNS8_6detail34convert_binary_result_type_wrapperINS8_3SumESD_lEEEE10hipError_tPvRmT1_T2_T3_mT4_P12ihipStream_tbEUlT_E1_NS1_11comp_targetILNS1_3genE10ELNS1_11target_archE1201ELNS1_3gpuE5ELNS1_3repE0EEENS1_30default_config_static_selectorELNS0_4arch9wavefront6targetE1EEEvSM_ ; -- Begin function _ZN7rocprim17ROCPRIM_400000_NS6detail17trampoline_kernelINS0_14default_configENS1_22reduce_config_selectorIbEEZNS1_11reduce_implILb1ES3_N6hipcub16HIPCUB_304000_NS22TransformInputIteratorIb7NonZeroIaEPalEEPllNS8_6detail34convert_binary_result_type_wrapperINS8_3SumESD_lEEEE10hipError_tPvRmT1_T2_T3_mT4_P12ihipStream_tbEUlT_E1_NS1_11comp_targetILNS1_3genE10ELNS1_11target_archE1201ELNS1_3gpuE5ELNS1_3repE0EEENS1_30default_config_static_selectorELNS0_4arch9wavefront6targetE1EEEvSM_
	.globl	_ZN7rocprim17ROCPRIM_400000_NS6detail17trampoline_kernelINS0_14default_configENS1_22reduce_config_selectorIbEEZNS1_11reduce_implILb1ES3_N6hipcub16HIPCUB_304000_NS22TransformInputIteratorIb7NonZeroIaEPalEEPllNS8_6detail34convert_binary_result_type_wrapperINS8_3SumESD_lEEEE10hipError_tPvRmT1_T2_T3_mT4_P12ihipStream_tbEUlT_E1_NS1_11comp_targetILNS1_3genE10ELNS1_11target_archE1201ELNS1_3gpuE5ELNS1_3repE0EEENS1_30default_config_static_selectorELNS0_4arch9wavefront6targetE1EEEvSM_
	.p2align	8
	.type	_ZN7rocprim17ROCPRIM_400000_NS6detail17trampoline_kernelINS0_14default_configENS1_22reduce_config_selectorIbEEZNS1_11reduce_implILb1ES3_N6hipcub16HIPCUB_304000_NS22TransformInputIteratorIb7NonZeroIaEPalEEPllNS8_6detail34convert_binary_result_type_wrapperINS8_3SumESD_lEEEE10hipError_tPvRmT1_T2_T3_mT4_P12ihipStream_tbEUlT_E1_NS1_11comp_targetILNS1_3genE10ELNS1_11target_archE1201ELNS1_3gpuE5ELNS1_3repE0EEENS1_30default_config_static_selectorELNS0_4arch9wavefront6targetE1EEEvSM_,@function
_ZN7rocprim17ROCPRIM_400000_NS6detail17trampoline_kernelINS0_14default_configENS1_22reduce_config_selectorIbEEZNS1_11reduce_implILb1ES3_N6hipcub16HIPCUB_304000_NS22TransformInputIteratorIb7NonZeroIaEPalEEPllNS8_6detail34convert_binary_result_type_wrapperINS8_3SumESD_lEEEE10hipError_tPvRmT1_T2_T3_mT4_P12ihipStream_tbEUlT_E1_NS1_11comp_targetILNS1_3genE10ELNS1_11target_archE1201ELNS1_3gpuE5ELNS1_3repE0EEENS1_30default_config_static_selectorELNS0_4arch9wavefront6targetE1EEEvSM_: ; @_ZN7rocprim17ROCPRIM_400000_NS6detail17trampoline_kernelINS0_14default_configENS1_22reduce_config_selectorIbEEZNS1_11reduce_implILb1ES3_N6hipcub16HIPCUB_304000_NS22TransformInputIteratorIb7NonZeroIaEPalEEPllNS8_6detail34convert_binary_result_type_wrapperINS8_3SumESD_lEEEE10hipError_tPvRmT1_T2_T3_mT4_P12ihipStream_tbEUlT_E1_NS1_11comp_targetILNS1_3genE10ELNS1_11target_archE1201ELNS1_3gpuE5ELNS1_3repE0EEENS1_30default_config_static_selectorELNS0_4arch9wavefront6targetE1EEEvSM_
; %bb.0:
	.section	.rodata,"a",@progbits
	.p2align	6, 0x0
	.amdhsa_kernel _ZN7rocprim17ROCPRIM_400000_NS6detail17trampoline_kernelINS0_14default_configENS1_22reduce_config_selectorIbEEZNS1_11reduce_implILb1ES3_N6hipcub16HIPCUB_304000_NS22TransformInputIteratorIb7NonZeroIaEPalEEPllNS8_6detail34convert_binary_result_type_wrapperINS8_3SumESD_lEEEE10hipError_tPvRmT1_T2_T3_mT4_P12ihipStream_tbEUlT_E1_NS1_11comp_targetILNS1_3genE10ELNS1_11target_archE1201ELNS1_3gpuE5ELNS1_3repE0EEENS1_30default_config_static_selectorELNS0_4arch9wavefront6targetE1EEEvSM_
		.amdhsa_group_segment_fixed_size 0
		.amdhsa_private_segment_fixed_size 0
		.amdhsa_kernarg_size 56
		.amdhsa_user_sgpr_count 6
		.amdhsa_user_sgpr_private_segment_buffer 1
		.amdhsa_user_sgpr_dispatch_ptr 0
		.amdhsa_user_sgpr_queue_ptr 0
		.amdhsa_user_sgpr_kernarg_segment_ptr 1
		.amdhsa_user_sgpr_dispatch_id 0
		.amdhsa_user_sgpr_flat_scratch_init 0
		.amdhsa_user_sgpr_private_segment_size 0
		.amdhsa_uses_dynamic_stack 0
		.amdhsa_system_sgpr_private_segment_wavefront_offset 0
		.amdhsa_system_sgpr_workgroup_id_x 1
		.amdhsa_system_sgpr_workgroup_id_y 0
		.amdhsa_system_sgpr_workgroup_id_z 0
		.amdhsa_system_sgpr_workgroup_info 0
		.amdhsa_system_vgpr_workitem_id 0
		.amdhsa_next_free_vgpr 1
		.amdhsa_next_free_sgpr 0
		.amdhsa_reserve_vcc 0
		.amdhsa_reserve_flat_scratch 0
		.amdhsa_float_round_mode_32 0
		.amdhsa_float_round_mode_16_64 0
		.amdhsa_float_denorm_mode_32 3
		.amdhsa_float_denorm_mode_16_64 3
		.amdhsa_dx10_clamp 1
		.amdhsa_ieee_mode 1
		.amdhsa_fp16_overflow 0
		.amdhsa_exception_fp_ieee_invalid_op 0
		.amdhsa_exception_fp_denorm_src 0
		.amdhsa_exception_fp_ieee_div_zero 0
		.amdhsa_exception_fp_ieee_overflow 0
		.amdhsa_exception_fp_ieee_underflow 0
		.amdhsa_exception_fp_ieee_inexact 0
		.amdhsa_exception_int_div_zero 0
	.end_amdhsa_kernel
	.section	.text._ZN7rocprim17ROCPRIM_400000_NS6detail17trampoline_kernelINS0_14default_configENS1_22reduce_config_selectorIbEEZNS1_11reduce_implILb1ES3_N6hipcub16HIPCUB_304000_NS22TransformInputIteratorIb7NonZeroIaEPalEEPllNS8_6detail34convert_binary_result_type_wrapperINS8_3SumESD_lEEEE10hipError_tPvRmT1_T2_T3_mT4_P12ihipStream_tbEUlT_E1_NS1_11comp_targetILNS1_3genE10ELNS1_11target_archE1201ELNS1_3gpuE5ELNS1_3repE0EEENS1_30default_config_static_selectorELNS0_4arch9wavefront6targetE1EEEvSM_,"axG",@progbits,_ZN7rocprim17ROCPRIM_400000_NS6detail17trampoline_kernelINS0_14default_configENS1_22reduce_config_selectorIbEEZNS1_11reduce_implILb1ES3_N6hipcub16HIPCUB_304000_NS22TransformInputIteratorIb7NonZeroIaEPalEEPllNS8_6detail34convert_binary_result_type_wrapperINS8_3SumESD_lEEEE10hipError_tPvRmT1_T2_T3_mT4_P12ihipStream_tbEUlT_E1_NS1_11comp_targetILNS1_3genE10ELNS1_11target_archE1201ELNS1_3gpuE5ELNS1_3repE0EEENS1_30default_config_static_selectorELNS0_4arch9wavefront6targetE1EEEvSM_,comdat
.Lfunc_end32:
	.size	_ZN7rocprim17ROCPRIM_400000_NS6detail17trampoline_kernelINS0_14default_configENS1_22reduce_config_selectorIbEEZNS1_11reduce_implILb1ES3_N6hipcub16HIPCUB_304000_NS22TransformInputIteratorIb7NonZeroIaEPalEEPllNS8_6detail34convert_binary_result_type_wrapperINS8_3SumESD_lEEEE10hipError_tPvRmT1_T2_T3_mT4_P12ihipStream_tbEUlT_E1_NS1_11comp_targetILNS1_3genE10ELNS1_11target_archE1201ELNS1_3gpuE5ELNS1_3repE0EEENS1_30default_config_static_selectorELNS0_4arch9wavefront6targetE1EEEvSM_, .Lfunc_end32-_ZN7rocprim17ROCPRIM_400000_NS6detail17trampoline_kernelINS0_14default_configENS1_22reduce_config_selectorIbEEZNS1_11reduce_implILb1ES3_N6hipcub16HIPCUB_304000_NS22TransformInputIteratorIb7NonZeroIaEPalEEPllNS8_6detail34convert_binary_result_type_wrapperINS8_3SumESD_lEEEE10hipError_tPvRmT1_T2_T3_mT4_P12ihipStream_tbEUlT_E1_NS1_11comp_targetILNS1_3genE10ELNS1_11target_archE1201ELNS1_3gpuE5ELNS1_3repE0EEENS1_30default_config_static_selectorELNS0_4arch9wavefront6targetE1EEEvSM_
                                        ; -- End function
	.set _ZN7rocprim17ROCPRIM_400000_NS6detail17trampoline_kernelINS0_14default_configENS1_22reduce_config_selectorIbEEZNS1_11reduce_implILb1ES3_N6hipcub16HIPCUB_304000_NS22TransformInputIteratorIb7NonZeroIaEPalEEPllNS8_6detail34convert_binary_result_type_wrapperINS8_3SumESD_lEEEE10hipError_tPvRmT1_T2_T3_mT4_P12ihipStream_tbEUlT_E1_NS1_11comp_targetILNS1_3genE10ELNS1_11target_archE1201ELNS1_3gpuE5ELNS1_3repE0EEENS1_30default_config_static_selectorELNS0_4arch9wavefront6targetE1EEEvSM_.num_vgpr, 0
	.set _ZN7rocprim17ROCPRIM_400000_NS6detail17trampoline_kernelINS0_14default_configENS1_22reduce_config_selectorIbEEZNS1_11reduce_implILb1ES3_N6hipcub16HIPCUB_304000_NS22TransformInputIteratorIb7NonZeroIaEPalEEPllNS8_6detail34convert_binary_result_type_wrapperINS8_3SumESD_lEEEE10hipError_tPvRmT1_T2_T3_mT4_P12ihipStream_tbEUlT_E1_NS1_11comp_targetILNS1_3genE10ELNS1_11target_archE1201ELNS1_3gpuE5ELNS1_3repE0EEENS1_30default_config_static_selectorELNS0_4arch9wavefront6targetE1EEEvSM_.num_agpr, 0
	.set _ZN7rocprim17ROCPRIM_400000_NS6detail17trampoline_kernelINS0_14default_configENS1_22reduce_config_selectorIbEEZNS1_11reduce_implILb1ES3_N6hipcub16HIPCUB_304000_NS22TransformInputIteratorIb7NonZeroIaEPalEEPllNS8_6detail34convert_binary_result_type_wrapperINS8_3SumESD_lEEEE10hipError_tPvRmT1_T2_T3_mT4_P12ihipStream_tbEUlT_E1_NS1_11comp_targetILNS1_3genE10ELNS1_11target_archE1201ELNS1_3gpuE5ELNS1_3repE0EEENS1_30default_config_static_selectorELNS0_4arch9wavefront6targetE1EEEvSM_.numbered_sgpr, 0
	.set _ZN7rocprim17ROCPRIM_400000_NS6detail17trampoline_kernelINS0_14default_configENS1_22reduce_config_selectorIbEEZNS1_11reduce_implILb1ES3_N6hipcub16HIPCUB_304000_NS22TransformInputIteratorIb7NonZeroIaEPalEEPllNS8_6detail34convert_binary_result_type_wrapperINS8_3SumESD_lEEEE10hipError_tPvRmT1_T2_T3_mT4_P12ihipStream_tbEUlT_E1_NS1_11comp_targetILNS1_3genE10ELNS1_11target_archE1201ELNS1_3gpuE5ELNS1_3repE0EEENS1_30default_config_static_selectorELNS0_4arch9wavefront6targetE1EEEvSM_.num_named_barrier, 0
	.set _ZN7rocprim17ROCPRIM_400000_NS6detail17trampoline_kernelINS0_14default_configENS1_22reduce_config_selectorIbEEZNS1_11reduce_implILb1ES3_N6hipcub16HIPCUB_304000_NS22TransformInputIteratorIb7NonZeroIaEPalEEPllNS8_6detail34convert_binary_result_type_wrapperINS8_3SumESD_lEEEE10hipError_tPvRmT1_T2_T3_mT4_P12ihipStream_tbEUlT_E1_NS1_11comp_targetILNS1_3genE10ELNS1_11target_archE1201ELNS1_3gpuE5ELNS1_3repE0EEENS1_30default_config_static_selectorELNS0_4arch9wavefront6targetE1EEEvSM_.private_seg_size, 0
	.set _ZN7rocprim17ROCPRIM_400000_NS6detail17trampoline_kernelINS0_14default_configENS1_22reduce_config_selectorIbEEZNS1_11reduce_implILb1ES3_N6hipcub16HIPCUB_304000_NS22TransformInputIteratorIb7NonZeroIaEPalEEPllNS8_6detail34convert_binary_result_type_wrapperINS8_3SumESD_lEEEE10hipError_tPvRmT1_T2_T3_mT4_P12ihipStream_tbEUlT_E1_NS1_11comp_targetILNS1_3genE10ELNS1_11target_archE1201ELNS1_3gpuE5ELNS1_3repE0EEENS1_30default_config_static_selectorELNS0_4arch9wavefront6targetE1EEEvSM_.uses_vcc, 0
	.set _ZN7rocprim17ROCPRIM_400000_NS6detail17trampoline_kernelINS0_14default_configENS1_22reduce_config_selectorIbEEZNS1_11reduce_implILb1ES3_N6hipcub16HIPCUB_304000_NS22TransformInputIteratorIb7NonZeroIaEPalEEPllNS8_6detail34convert_binary_result_type_wrapperINS8_3SumESD_lEEEE10hipError_tPvRmT1_T2_T3_mT4_P12ihipStream_tbEUlT_E1_NS1_11comp_targetILNS1_3genE10ELNS1_11target_archE1201ELNS1_3gpuE5ELNS1_3repE0EEENS1_30default_config_static_selectorELNS0_4arch9wavefront6targetE1EEEvSM_.uses_flat_scratch, 0
	.set _ZN7rocprim17ROCPRIM_400000_NS6detail17trampoline_kernelINS0_14default_configENS1_22reduce_config_selectorIbEEZNS1_11reduce_implILb1ES3_N6hipcub16HIPCUB_304000_NS22TransformInputIteratorIb7NonZeroIaEPalEEPllNS8_6detail34convert_binary_result_type_wrapperINS8_3SumESD_lEEEE10hipError_tPvRmT1_T2_T3_mT4_P12ihipStream_tbEUlT_E1_NS1_11comp_targetILNS1_3genE10ELNS1_11target_archE1201ELNS1_3gpuE5ELNS1_3repE0EEENS1_30default_config_static_selectorELNS0_4arch9wavefront6targetE1EEEvSM_.has_dyn_sized_stack, 0
	.set _ZN7rocprim17ROCPRIM_400000_NS6detail17trampoline_kernelINS0_14default_configENS1_22reduce_config_selectorIbEEZNS1_11reduce_implILb1ES3_N6hipcub16HIPCUB_304000_NS22TransformInputIteratorIb7NonZeroIaEPalEEPllNS8_6detail34convert_binary_result_type_wrapperINS8_3SumESD_lEEEE10hipError_tPvRmT1_T2_T3_mT4_P12ihipStream_tbEUlT_E1_NS1_11comp_targetILNS1_3genE10ELNS1_11target_archE1201ELNS1_3gpuE5ELNS1_3repE0EEENS1_30default_config_static_selectorELNS0_4arch9wavefront6targetE1EEEvSM_.has_recursion, 0
	.set _ZN7rocprim17ROCPRIM_400000_NS6detail17trampoline_kernelINS0_14default_configENS1_22reduce_config_selectorIbEEZNS1_11reduce_implILb1ES3_N6hipcub16HIPCUB_304000_NS22TransformInputIteratorIb7NonZeroIaEPalEEPllNS8_6detail34convert_binary_result_type_wrapperINS8_3SumESD_lEEEE10hipError_tPvRmT1_T2_T3_mT4_P12ihipStream_tbEUlT_E1_NS1_11comp_targetILNS1_3genE10ELNS1_11target_archE1201ELNS1_3gpuE5ELNS1_3repE0EEENS1_30default_config_static_selectorELNS0_4arch9wavefront6targetE1EEEvSM_.has_indirect_call, 0
	.section	.AMDGPU.csdata,"",@progbits
; Kernel info:
; codeLenInByte = 0
; TotalNumSgprs: 4
; NumVgprs: 0
; ScratchSize: 0
; MemoryBound: 0
; FloatMode: 240
; IeeeMode: 1
; LDSByteSize: 0 bytes/workgroup (compile time only)
; SGPRBlocks: 0
; VGPRBlocks: 0
; NumSGPRsForWavesPerEU: 4
; NumVGPRsForWavesPerEU: 1
; Occupancy: 10
; WaveLimiterHint : 0
; COMPUTE_PGM_RSRC2:SCRATCH_EN: 0
; COMPUTE_PGM_RSRC2:USER_SGPR: 6
; COMPUTE_PGM_RSRC2:TRAP_HANDLER: 0
; COMPUTE_PGM_RSRC2:TGID_X_EN: 1
; COMPUTE_PGM_RSRC2:TGID_Y_EN: 0
; COMPUTE_PGM_RSRC2:TGID_Z_EN: 0
; COMPUTE_PGM_RSRC2:TIDIG_COMP_CNT: 0
	.section	.text._ZN7rocprim17ROCPRIM_400000_NS6detail17trampoline_kernelINS0_14default_configENS1_22reduce_config_selectorIbEEZNS1_11reduce_implILb1ES3_N6hipcub16HIPCUB_304000_NS22TransformInputIteratorIb7NonZeroIaEPalEEPllNS8_6detail34convert_binary_result_type_wrapperINS8_3SumESD_lEEEE10hipError_tPvRmT1_T2_T3_mT4_P12ihipStream_tbEUlT_E1_NS1_11comp_targetILNS1_3genE10ELNS1_11target_archE1200ELNS1_3gpuE4ELNS1_3repE0EEENS1_30default_config_static_selectorELNS0_4arch9wavefront6targetE1EEEvSM_,"axG",@progbits,_ZN7rocprim17ROCPRIM_400000_NS6detail17trampoline_kernelINS0_14default_configENS1_22reduce_config_selectorIbEEZNS1_11reduce_implILb1ES3_N6hipcub16HIPCUB_304000_NS22TransformInputIteratorIb7NonZeroIaEPalEEPllNS8_6detail34convert_binary_result_type_wrapperINS8_3SumESD_lEEEE10hipError_tPvRmT1_T2_T3_mT4_P12ihipStream_tbEUlT_E1_NS1_11comp_targetILNS1_3genE10ELNS1_11target_archE1200ELNS1_3gpuE4ELNS1_3repE0EEENS1_30default_config_static_selectorELNS0_4arch9wavefront6targetE1EEEvSM_,comdat
	.protected	_ZN7rocprim17ROCPRIM_400000_NS6detail17trampoline_kernelINS0_14default_configENS1_22reduce_config_selectorIbEEZNS1_11reduce_implILb1ES3_N6hipcub16HIPCUB_304000_NS22TransformInputIteratorIb7NonZeroIaEPalEEPllNS8_6detail34convert_binary_result_type_wrapperINS8_3SumESD_lEEEE10hipError_tPvRmT1_T2_T3_mT4_P12ihipStream_tbEUlT_E1_NS1_11comp_targetILNS1_3genE10ELNS1_11target_archE1200ELNS1_3gpuE4ELNS1_3repE0EEENS1_30default_config_static_selectorELNS0_4arch9wavefront6targetE1EEEvSM_ ; -- Begin function _ZN7rocprim17ROCPRIM_400000_NS6detail17trampoline_kernelINS0_14default_configENS1_22reduce_config_selectorIbEEZNS1_11reduce_implILb1ES3_N6hipcub16HIPCUB_304000_NS22TransformInputIteratorIb7NonZeroIaEPalEEPllNS8_6detail34convert_binary_result_type_wrapperINS8_3SumESD_lEEEE10hipError_tPvRmT1_T2_T3_mT4_P12ihipStream_tbEUlT_E1_NS1_11comp_targetILNS1_3genE10ELNS1_11target_archE1200ELNS1_3gpuE4ELNS1_3repE0EEENS1_30default_config_static_selectorELNS0_4arch9wavefront6targetE1EEEvSM_
	.globl	_ZN7rocprim17ROCPRIM_400000_NS6detail17trampoline_kernelINS0_14default_configENS1_22reduce_config_selectorIbEEZNS1_11reduce_implILb1ES3_N6hipcub16HIPCUB_304000_NS22TransformInputIteratorIb7NonZeroIaEPalEEPllNS8_6detail34convert_binary_result_type_wrapperINS8_3SumESD_lEEEE10hipError_tPvRmT1_T2_T3_mT4_P12ihipStream_tbEUlT_E1_NS1_11comp_targetILNS1_3genE10ELNS1_11target_archE1200ELNS1_3gpuE4ELNS1_3repE0EEENS1_30default_config_static_selectorELNS0_4arch9wavefront6targetE1EEEvSM_
	.p2align	8
	.type	_ZN7rocprim17ROCPRIM_400000_NS6detail17trampoline_kernelINS0_14default_configENS1_22reduce_config_selectorIbEEZNS1_11reduce_implILb1ES3_N6hipcub16HIPCUB_304000_NS22TransformInputIteratorIb7NonZeroIaEPalEEPllNS8_6detail34convert_binary_result_type_wrapperINS8_3SumESD_lEEEE10hipError_tPvRmT1_T2_T3_mT4_P12ihipStream_tbEUlT_E1_NS1_11comp_targetILNS1_3genE10ELNS1_11target_archE1200ELNS1_3gpuE4ELNS1_3repE0EEENS1_30default_config_static_selectorELNS0_4arch9wavefront6targetE1EEEvSM_,@function
_ZN7rocprim17ROCPRIM_400000_NS6detail17trampoline_kernelINS0_14default_configENS1_22reduce_config_selectorIbEEZNS1_11reduce_implILb1ES3_N6hipcub16HIPCUB_304000_NS22TransformInputIteratorIb7NonZeroIaEPalEEPllNS8_6detail34convert_binary_result_type_wrapperINS8_3SumESD_lEEEE10hipError_tPvRmT1_T2_T3_mT4_P12ihipStream_tbEUlT_E1_NS1_11comp_targetILNS1_3genE10ELNS1_11target_archE1200ELNS1_3gpuE4ELNS1_3repE0EEENS1_30default_config_static_selectorELNS0_4arch9wavefront6targetE1EEEvSM_: ; @_ZN7rocprim17ROCPRIM_400000_NS6detail17trampoline_kernelINS0_14default_configENS1_22reduce_config_selectorIbEEZNS1_11reduce_implILb1ES3_N6hipcub16HIPCUB_304000_NS22TransformInputIteratorIb7NonZeroIaEPalEEPllNS8_6detail34convert_binary_result_type_wrapperINS8_3SumESD_lEEEE10hipError_tPvRmT1_T2_T3_mT4_P12ihipStream_tbEUlT_E1_NS1_11comp_targetILNS1_3genE10ELNS1_11target_archE1200ELNS1_3gpuE4ELNS1_3repE0EEENS1_30default_config_static_selectorELNS0_4arch9wavefront6targetE1EEEvSM_
; %bb.0:
	.section	.rodata,"a",@progbits
	.p2align	6, 0x0
	.amdhsa_kernel _ZN7rocprim17ROCPRIM_400000_NS6detail17trampoline_kernelINS0_14default_configENS1_22reduce_config_selectorIbEEZNS1_11reduce_implILb1ES3_N6hipcub16HIPCUB_304000_NS22TransformInputIteratorIb7NonZeroIaEPalEEPllNS8_6detail34convert_binary_result_type_wrapperINS8_3SumESD_lEEEE10hipError_tPvRmT1_T2_T3_mT4_P12ihipStream_tbEUlT_E1_NS1_11comp_targetILNS1_3genE10ELNS1_11target_archE1200ELNS1_3gpuE4ELNS1_3repE0EEENS1_30default_config_static_selectorELNS0_4arch9wavefront6targetE1EEEvSM_
		.amdhsa_group_segment_fixed_size 0
		.amdhsa_private_segment_fixed_size 0
		.amdhsa_kernarg_size 56
		.amdhsa_user_sgpr_count 6
		.amdhsa_user_sgpr_private_segment_buffer 1
		.amdhsa_user_sgpr_dispatch_ptr 0
		.amdhsa_user_sgpr_queue_ptr 0
		.amdhsa_user_sgpr_kernarg_segment_ptr 1
		.amdhsa_user_sgpr_dispatch_id 0
		.amdhsa_user_sgpr_flat_scratch_init 0
		.amdhsa_user_sgpr_private_segment_size 0
		.amdhsa_uses_dynamic_stack 0
		.amdhsa_system_sgpr_private_segment_wavefront_offset 0
		.amdhsa_system_sgpr_workgroup_id_x 1
		.amdhsa_system_sgpr_workgroup_id_y 0
		.amdhsa_system_sgpr_workgroup_id_z 0
		.amdhsa_system_sgpr_workgroup_info 0
		.amdhsa_system_vgpr_workitem_id 0
		.amdhsa_next_free_vgpr 1
		.amdhsa_next_free_sgpr 0
		.amdhsa_reserve_vcc 0
		.amdhsa_reserve_flat_scratch 0
		.amdhsa_float_round_mode_32 0
		.amdhsa_float_round_mode_16_64 0
		.amdhsa_float_denorm_mode_32 3
		.amdhsa_float_denorm_mode_16_64 3
		.amdhsa_dx10_clamp 1
		.amdhsa_ieee_mode 1
		.amdhsa_fp16_overflow 0
		.amdhsa_exception_fp_ieee_invalid_op 0
		.amdhsa_exception_fp_denorm_src 0
		.amdhsa_exception_fp_ieee_div_zero 0
		.amdhsa_exception_fp_ieee_overflow 0
		.amdhsa_exception_fp_ieee_underflow 0
		.amdhsa_exception_fp_ieee_inexact 0
		.amdhsa_exception_int_div_zero 0
	.end_amdhsa_kernel
	.section	.text._ZN7rocprim17ROCPRIM_400000_NS6detail17trampoline_kernelINS0_14default_configENS1_22reduce_config_selectorIbEEZNS1_11reduce_implILb1ES3_N6hipcub16HIPCUB_304000_NS22TransformInputIteratorIb7NonZeroIaEPalEEPllNS8_6detail34convert_binary_result_type_wrapperINS8_3SumESD_lEEEE10hipError_tPvRmT1_T2_T3_mT4_P12ihipStream_tbEUlT_E1_NS1_11comp_targetILNS1_3genE10ELNS1_11target_archE1200ELNS1_3gpuE4ELNS1_3repE0EEENS1_30default_config_static_selectorELNS0_4arch9wavefront6targetE1EEEvSM_,"axG",@progbits,_ZN7rocprim17ROCPRIM_400000_NS6detail17trampoline_kernelINS0_14default_configENS1_22reduce_config_selectorIbEEZNS1_11reduce_implILb1ES3_N6hipcub16HIPCUB_304000_NS22TransformInputIteratorIb7NonZeroIaEPalEEPllNS8_6detail34convert_binary_result_type_wrapperINS8_3SumESD_lEEEE10hipError_tPvRmT1_T2_T3_mT4_P12ihipStream_tbEUlT_E1_NS1_11comp_targetILNS1_3genE10ELNS1_11target_archE1200ELNS1_3gpuE4ELNS1_3repE0EEENS1_30default_config_static_selectorELNS0_4arch9wavefront6targetE1EEEvSM_,comdat
.Lfunc_end33:
	.size	_ZN7rocprim17ROCPRIM_400000_NS6detail17trampoline_kernelINS0_14default_configENS1_22reduce_config_selectorIbEEZNS1_11reduce_implILb1ES3_N6hipcub16HIPCUB_304000_NS22TransformInputIteratorIb7NonZeroIaEPalEEPllNS8_6detail34convert_binary_result_type_wrapperINS8_3SumESD_lEEEE10hipError_tPvRmT1_T2_T3_mT4_P12ihipStream_tbEUlT_E1_NS1_11comp_targetILNS1_3genE10ELNS1_11target_archE1200ELNS1_3gpuE4ELNS1_3repE0EEENS1_30default_config_static_selectorELNS0_4arch9wavefront6targetE1EEEvSM_, .Lfunc_end33-_ZN7rocprim17ROCPRIM_400000_NS6detail17trampoline_kernelINS0_14default_configENS1_22reduce_config_selectorIbEEZNS1_11reduce_implILb1ES3_N6hipcub16HIPCUB_304000_NS22TransformInputIteratorIb7NonZeroIaEPalEEPllNS8_6detail34convert_binary_result_type_wrapperINS8_3SumESD_lEEEE10hipError_tPvRmT1_T2_T3_mT4_P12ihipStream_tbEUlT_E1_NS1_11comp_targetILNS1_3genE10ELNS1_11target_archE1200ELNS1_3gpuE4ELNS1_3repE0EEENS1_30default_config_static_selectorELNS0_4arch9wavefront6targetE1EEEvSM_
                                        ; -- End function
	.set _ZN7rocprim17ROCPRIM_400000_NS6detail17trampoline_kernelINS0_14default_configENS1_22reduce_config_selectorIbEEZNS1_11reduce_implILb1ES3_N6hipcub16HIPCUB_304000_NS22TransformInputIteratorIb7NonZeroIaEPalEEPllNS8_6detail34convert_binary_result_type_wrapperINS8_3SumESD_lEEEE10hipError_tPvRmT1_T2_T3_mT4_P12ihipStream_tbEUlT_E1_NS1_11comp_targetILNS1_3genE10ELNS1_11target_archE1200ELNS1_3gpuE4ELNS1_3repE0EEENS1_30default_config_static_selectorELNS0_4arch9wavefront6targetE1EEEvSM_.num_vgpr, 0
	.set _ZN7rocprim17ROCPRIM_400000_NS6detail17trampoline_kernelINS0_14default_configENS1_22reduce_config_selectorIbEEZNS1_11reduce_implILb1ES3_N6hipcub16HIPCUB_304000_NS22TransformInputIteratorIb7NonZeroIaEPalEEPllNS8_6detail34convert_binary_result_type_wrapperINS8_3SumESD_lEEEE10hipError_tPvRmT1_T2_T3_mT4_P12ihipStream_tbEUlT_E1_NS1_11comp_targetILNS1_3genE10ELNS1_11target_archE1200ELNS1_3gpuE4ELNS1_3repE0EEENS1_30default_config_static_selectorELNS0_4arch9wavefront6targetE1EEEvSM_.num_agpr, 0
	.set _ZN7rocprim17ROCPRIM_400000_NS6detail17trampoline_kernelINS0_14default_configENS1_22reduce_config_selectorIbEEZNS1_11reduce_implILb1ES3_N6hipcub16HIPCUB_304000_NS22TransformInputIteratorIb7NonZeroIaEPalEEPllNS8_6detail34convert_binary_result_type_wrapperINS8_3SumESD_lEEEE10hipError_tPvRmT1_T2_T3_mT4_P12ihipStream_tbEUlT_E1_NS1_11comp_targetILNS1_3genE10ELNS1_11target_archE1200ELNS1_3gpuE4ELNS1_3repE0EEENS1_30default_config_static_selectorELNS0_4arch9wavefront6targetE1EEEvSM_.numbered_sgpr, 0
	.set _ZN7rocprim17ROCPRIM_400000_NS6detail17trampoline_kernelINS0_14default_configENS1_22reduce_config_selectorIbEEZNS1_11reduce_implILb1ES3_N6hipcub16HIPCUB_304000_NS22TransformInputIteratorIb7NonZeroIaEPalEEPllNS8_6detail34convert_binary_result_type_wrapperINS8_3SumESD_lEEEE10hipError_tPvRmT1_T2_T3_mT4_P12ihipStream_tbEUlT_E1_NS1_11comp_targetILNS1_3genE10ELNS1_11target_archE1200ELNS1_3gpuE4ELNS1_3repE0EEENS1_30default_config_static_selectorELNS0_4arch9wavefront6targetE1EEEvSM_.num_named_barrier, 0
	.set _ZN7rocprim17ROCPRIM_400000_NS6detail17trampoline_kernelINS0_14default_configENS1_22reduce_config_selectorIbEEZNS1_11reduce_implILb1ES3_N6hipcub16HIPCUB_304000_NS22TransformInputIteratorIb7NonZeroIaEPalEEPllNS8_6detail34convert_binary_result_type_wrapperINS8_3SumESD_lEEEE10hipError_tPvRmT1_T2_T3_mT4_P12ihipStream_tbEUlT_E1_NS1_11comp_targetILNS1_3genE10ELNS1_11target_archE1200ELNS1_3gpuE4ELNS1_3repE0EEENS1_30default_config_static_selectorELNS0_4arch9wavefront6targetE1EEEvSM_.private_seg_size, 0
	.set _ZN7rocprim17ROCPRIM_400000_NS6detail17trampoline_kernelINS0_14default_configENS1_22reduce_config_selectorIbEEZNS1_11reduce_implILb1ES3_N6hipcub16HIPCUB_304000_NS22TransformInputIteratorIb7NonZeroIaEPalEEPllNS8_6detail34convert_binary_result_type_wrapperINS8_3SumESD_lEEEE10hipError_tPvRmT1_T2_T3_mT4_P12ihipStream_tbEUlT_E1_NS1_11comp_targetILNS1_3genE10ELNS1_11target_archE1200ELNS1_3gpuE4ELNS1_3repE0EEENS1_30default_config_static_selectorELNS0_4arch9wavefront6targetE1EEEvSM_.uses_vcc, 0
	.set _ZN7rocprim17ROCPRIM_400000_NS6detail17trampoline_kernelINS0_14default_configENS1_22reduce_config_selectorIbEEZNS1_11reduce_implILb1ES3_N6hipcub16HIPCUB_304000_NS22TransformInputIteratorIb7NonZeroIaEPalEEPllNS8_6detail34convert_binary_result_type_wrapperINS8_3SumESD_lEEEE10hipError_tPvRmT1_T2_T3_mT4_P12ihipStream_tbEUlT_E1_NS1_11comp_targetILNS1_3genE10ELNS1_11target_archE1200ELNS1_3gpuE4ELNS1_3repE0EEENS1_30default_config_static_selectorELNS0_4arch9wavefront6targetE1EEEvSM_.uses_flat_scratch, 0
	.set _ZN7rocprim17ROCPRIM_400000_NS6detail17trampoline_kernelINS0_14default_configENS1_22reduce_config_selectorIbEEZNS1_11reduce_implILb1ES3_N6hipcub16HIPCUB_304000_NS22TransformInputIteratorIb7NonZeroIaEPalEEPllNS8_6detail34convert_binary_result_type_wrapperINS8_3SumESD_lEEEE10hipError_tPvRmT1_T2_T3_mT4_P12ihipStream_tbEUlT_E1_NS1_11comp_targetILNS1_3genE10ELNS1_11target_archE1200ELNS1_3gpuE4ELNS1_3repE0EEENS1_30default_config_static_selectorELNS0_4arch9wavefront6targetE1EEEvSM_.has_dyn_sized_stack, 0
	.set _ZN7rocprim17ROCPRIM_400000_NS6detail17trampoline_kernelINS0_14default_configENS1_22reduce_config_selectorIbEEZNS1_11reduce_implILb1ES3_N6hipcub16HIPCUB_304000_NS22TransformInputIteratorIb7NonZeroIaEPalEEPllNS8_6detail34convert_binary_result_type_wrapperINS8_3SumESD_lEEEE10hipError_tPvRmT1_T2_T3_mT4_P12ihipStream_tbEUlT_E1_NS1_11comp_targetILNS1_3genE10ELNS1_11target_archE1200ELNS1_3gpuE4ELNS1_3repE0EEENS1_30default_config_static_selectorELNS0_4arch9wavefront6targetE1EEEvSM_.has_recursion, 0
	.set _ZN7rocprim17ROCPRIM_400000_NS6detail17trampoline_kernelINS0_14default_configENS1_22reduce_config_selectorIbEEZNS1_11reduce_implILb1ES3_N6hipcub16HIPCUB_304000_NS22TransformInputIteratorIb7NonZeroIaEPalEEPllNS8_6detail34convert_binary_result_type_wrapperINS8_3SumESD_lEEEE10hipError_tPvRmT1_T2_T3_mT4_P12ihipStream_tbEUlT_E1_NS1_11comp_targetILNS1_3genE10ELNS1_11target_archE1200ELNS1_3gpuE4ELNS1_3repE0EEENS1_30default_config_static_selectorELNS0_4arch9wavefront6targetE1EEEvSM_.has_indirect_call, 0
	.section	.AMDGPU.csdata,"",@progbits
; Kernel info:
; codeLenInByte = 0
; TotalNumSgprs: 4
; NumVgprs: 0
; ScratchSize: 0
; MemoryBound: 0
; FloatMode: 240
; IeeeMode: 1
; LDSByteSize: 0 bytes/workgroup (compile time only)
; SGPRBlocks: 0
; VGPRBlocks: 0
; NumSGPRsForWavesPerEU: 4
; NumVGPRsForWavesPerEU: 1
; Occupancy: 10
; WaveLimiterHint : 0
; COMPUTE_PGM_RSRC2:SCRATCH_EN: 0
; COMPUTE_PGM_RSRC2:USER_SGPR: 6
; COMPUTE_PGM_RSRC2:TRAP_HANDLER: 0
; COMPUTE_PGM_RSRC2:TGID_X_EN: 1
; COMPUTE_PGM_RSRC2:TGID_Y_EN: 0
; COMPUTE_PGM_RSRC2:TGID_Z_EN: 0
; COMPUTE_PGM_RSRC2:TIDIG_COMP_CNT: 0
	.section	.text._ZN7rocprim17ROCPRIM_400000_NS6detail17trampoline_kernelINS0_14default_configENS1_22reduce_config_selectorIbEEZNS1_11reduce_implILb1ES3_N6hipcub16HIPCUB_304000_NS22TransformInputIteratorIb7NonZeroIaEPalEEPllNS8_6detail34convert_binary_result_type_wrapperINS8_3SumESD_lEEEE10hipError_tPvRmT1_T2_T3_mT4_P12ihipStream_tbEUlT_E1_NS1_11comp_targetILNS1_3genE9ELNS1_11target_archE1100ELNS1_3gpuE3ELNS1_3repE0EEENS1_30default_config_static_selectorELNS0_4arch9wavefront6targetE1EEEvSM_,"axG",@progbits,_ZN7rocprim17ROCPRIM_400000_NS6detail17trampoline_kernelINS0_14default_configENS1_22reduce_config_selectorIbEEZNS1_11reduce_implILb1ES3_N6hipcub16HIPCUB_304000_NS22TransformInputIteratorIb7NonZeroIaEPalEEPllNS8_6detail34convert_binary_result_type_wrapperINS8_3SumESD_lEEEE10hipError_tPvRmT1_T2_T3_mT4_P12ihipStream_tbEUlT_E1_NS1_11comp_targetILNS1_3genE9ELNS1_11target_archE1100ELNS1_3gpuE3ELNS1_3repE0EEENS1_30default_config_static_selectorELNS0_4arch9wavefront6targetE1EEEvSM_,comdat
	.protected	_ZN7rocprim17ROCPRIM_400000_NS6detail17trampoline_kernelINS0_14default_configENS1_22reduce_config_selectorIbEEZNS1_11reduce_implILb1ES3_N6hipcub16HIPCUB_304000_NS22TransformInputIteratorIb7NonZeroIaEPalEEPllNS8_6detail34convert_binary_result_type_wrapperINS8_3SumESD_lEEEE10hipError_tPvRmT1_T2_T3_mT4_P12ihipStream_tbEUlT_E1_NS1_11comp_targetILNS1_3genE9ELNS1_11target_archE1100ELNS1_3gpuE3ELNS1_3repE0EEENS1_30default_config_static_selectorELNS0_4arch9wavefront6targetE1EEEvSM_ ; -- Begin function _ZN7rocprim17ROCPRIM_400000_NS6detail17trampoline_kernelINS0_14default_configENS1_22reduce_config_selectorIbEEZNS1_11reduce_implILb1ES3_N6hipcub16HIPCUB_304000_NS22TransformInputIteratorIb7NonZeroIaEPalEEPllNS8_6detail34convert_binary_result_type_wrapperINS8_3SumESD_lEEEE10hipError_tPvRmT1_T2_T3_mT4_P12ihipStream_tbEUlT_E1_NS1_11comp_targetILNS1_3genE9ELNS1_11target_archE1100ELNS1_3gpuE3ELNS1_3repE0EEENS1_30default_config_static_selectorELNS0_4arch9wavefront6targetE1EEEvSM_
	.globl	_ZN7rocprim17ROCPRIM_400000_NS6detail17trampoline_kernelINS0_14default_configENS1_22reduce_config_selectorIbEEZNS1_11reduce_implILb1ES3_N6hipcub16HIPCUB_304000_NS22TransformInputIteratorIb7NonZeroIaEPalEEPllNS8_6detail34convert_binary_result_type_wrapperINS8_3SumESD_lEEEE10hipError_tPvRmT1_T2_T3_mT4_P12ihipStream_tbEUlT_E1_NS1_11comp_targetILNS1_3genE9ELNS1_11target_archE1100ELNS1_3gpuE3ELNS1_3repE0EEENS1_30default_config_static_selectorELNS0_4arch9wavefront6targetE1EEEvSM_
	.p2align	8
	.type	_ZN7rocprim17ROCPRIM_400000_NS6detail17trampoline_kernelINS0_14default_configENS1_22reduce_config_selectorIbEEZNS1_11reduce_implILb1ES3_N6hipcub16HIPCUB_304000_NS22TransformInputIteratorIb7NonZeroIaEPalEEPllNS8_6detail34convert_binary_result_type_wrapperINS8_3SumESD_lEEEE10hipError_tPvRmT1_T2_T3_mT4_P12ihipStream_tbEUlT_E1_NS1_11comp_targetILNS1_3genE9ELNS1_11target_archE1100ELNS1_3gpuE3ELNS1_3repE0EEENS1_30default_config_static_selectorELNS0_4arch9wavefront6targetE1EEEvSM_,@function
_ZN7rocprim17ROCPRIM_400000_NS6detail17trampoline_kernelINS0_14default_configENS1_22reduce_config_selectorIbEEZNS1_11reduce_implILb1ES3_N6hipcub16HIPCUB_304000_NS22TransformInputIteratorIb7NonZeroIaEPalEEPllNS8_6detail34convert_binary_result_type_wrapperINS8_3SumESD_lEEEE10hipError_tPvRmT1_T2_T3_mT4_P12ihipStream_tbEUlT_E1_NS1_11comp_targetILNS1_3genE9ELNS1_11target_archE1100ELNS1_3gpuE3ELNS1_3repE0EEENS1_30default_config_static_selectorELNS0_4arch9wavefront6targetE1EEEvSM_: ; @_ZN7rocprim17ROCPRIM_400000_NS6detail17trampoline_kernelINS0_14default_configENS1_22reduce_config_selectorIbEEZNS1_11reduce_implILb1ES3_N6hipcub16HIPCUB_304000_NS22TransformInputIteratorIb7NonZeroIaEPalEEPllNS8_6detail34convert_binary_result_type_wrapperINS8_3SumESD_lEEEE10hipError_tPvRmT1_T2_T3_mT4_P12ihipStream_tbEUlT_E1_NS1_11comp_targetILNS1_3genE9ELNS1_11target_archE1100ELNS1_3gpuE3ELNS1_3repE0EEENS1_30default_config_static_selectorELNS0_4arch9wavefront6targetE1EEEvSM_
; %bb.0:
	.section	.rodata,"a",@progbits
	.p2align	6, 0x0
	.amdhsa_kernel _ZN7rocprim17ROCPRIM_400000_NS6detail17trampoline_kernelINS0_14default_configENS1_22reduce_config_selectorIbEEZNS1_11reduce_implILb1ES3_N6hipcub16HIPCUB_304000_NS22TransformInputIteratorIb7NonZeroIaEPalEEPllNS8_6detail34convert_binary_result_type_wrapperINS8_3SumESD_lEEEE10hipError_tPvRmT1_T2_T3_mT4_P12ihipStream_tbEUlT_E1_NS1_11comp_targetILNS1_3genE9ELNS1_11target_archE1100ELNS1_3gpuE3ELNS1_3repE0EEENS1_30default_config_static_selectorELNS0_4arch9wavefront6targetE1EEEvSM_
		.amdhsa_group_segment_fixed_size 0
		.amdhsa_private_segment_fixed_size 0
		.amdhsa_kernarg_size 56
		.amdhsa_user_sgpr_count 6
		.amdhsa_user_sgpr_private_segment_buffer 1
		.amdhsa_user_sgpr_dispatch_ptr 0
		.amdhsa_user_sgpr_queue_ptr 0
		.amdhsa_user_sgpr_kernarg_segment_ptr 1
		.amdhsa_user_sgpr_dispatch_id 0
		.amdhsa_user_sgpr_flat_scratch_init 0
		.amdhsa_user_sgpr_private_segment_size 0
		.amdhsa_uses_dynamic_stack 0
		.amdhsa_system_sgpr_private_segment_wavefront_offset 0
		.amdhsa_system_sgpr_workgroup_id_x 1
		.amdhsa_system_sgpr_workgroup_id_y 0
		.amdhsa_system_sgpr_workgroup_id_z 0
		.amdhsa_system_sgpr_workgroup_info 0
		.amdhsa_system_vgpr_workitem_id 0
		.amdhsa_next_free_vgpr 1
		.amdhsa_next_free_sgpr 0
		.amdhsa_reserve_vcc 0
		.amdhsa_reserve_flat_scratch 0
		.amdhsa_float_round_mode_32 0
		.amdhsa_float_round_mode_16_64 0
		.amdhsa_float_denorm_mode_32 3
		.amdhsa_float_denorm_mode_16_64 3
		.amdhsa_dx10_clamp 1
		.amdhsa_ieee_mode 1
		.amdhsa_fp16_overflow 0
		.amdhsa_exception_fp_ieee_invalid_op 0
		.amdhsa_exception_fp_denorm_src 0
		.amdhsa_exception_fp_ieee_div_zero 0
		.amdhsa_exception_fp_ieee_overflow 0
		.amdhsa_exception_fp_ieee_underflow 0
		.amdhsa_exception_fp_ieee_inexact 0
		.amdhsa_exception_int_div_zero 0
	.end_amdhsa_kernel
	.section	.text._ZN7rocprim17ROCPRIM_400000_NS6detail17trampoline_kernelINS0_14default_configENS1_22reduce_config_selectorIbEEZNS1_11reduce_implILb1ES3_N6hipcub16HIPCUB_304000_NS22TransformInputIteratorIb7NonZeroIaEPalEEPllNS8_6detail34convert_binary_result_type_wrapperINS8_3SumESD_lEEEE10hipError_tPvRmT1_T2_T3_mT4_P12ihipStream_tbEUlT_E1_NS1_11comp_targetILNS1_3genE9ELNS1_11target_archE1100ELNS1_3gpuE3ELNS1_3repE0EEENS1_30default_config_static_selectorELNS0_4arch9wavefront6targetE1EEEvSM_,"axG",@progbits,_ZN7rocprim17ROCPRIM_400000_NS6detail17trampoline_kernelINS0_14default_configENS1_22reduce_config_selectorIbEEZNS1_11reduce_implILb1ES3_N6hipcub16HIPCUB_304000_NS22TransformInputIteratorIb7NonZeroIaEPalEEPllNS8_6detail34convert_binary_result_type_wrapperINS8_3SumESD_lEEEE10hipError_tPvRmT1_T2_T3_mT4_P12ihipStream_tbEUlT_E1_NS1_11comp_targetILNS1_3genE9ELNS1_11target_archE1100ELNS1_3gpuE3ELNS1_3repE0EEENS1_30default_config_static_selectorELNS0_4arch9wavefront6targetE1EEEvSM_,comdat
.Lfunc_end34:
	.size	_ZN7rocprim17ROCPRIM_400000_NS6detail17trampoline_kernelINS0_14default_configENS1_22reduce_config_selectorIbEEZNS1_11reduce_implILb1ES3_N6hipcub16HIPCUB_304000_NS22TransformInputIteratorIb7NonZeroIaEPalEEPllNS8_6detail34convert_binary_result_type_wrapperINS8_3SumESD_lEEEE10hipError_tPvRmT1_T2_T3_mT4_P12ihipStream_tbEUlT_E1_NS1_11comp_targetILNS1_3genE9ELNS1_11target_archE1100ELNS1_3gpuE3ELNS1_3repE0EEENS1_30default_config_static_selectorELNS0_4arch9wavefront6targetE1EEEvSM_, .Lfunc_end34-_ZN7rocprim17ROCPRIM_400000_NS6detail17trampoline_kernelINS0_14default_configENS1_22reduce_config_selectorIbEEZNS1_11reduce_implILb1ES3_N6hipcub16HIPCUB_304000_NS22TransformInputIteratorIb7NonZeroIaEPalEEPllNS8_6detail34convert_binary_result_type_wrapperINS8_3SumESD_lEEEE10hipError_tPvRmT1_T2_T3_mT4_P12ihipStream_tbEUlT_E1_NS1_11comp_targetILNS1_3genE9ELNS1_11target_archE1100ELNS1_3gpuE3ELNS1_3repE0EEENS1_30default_config_static_selectorELNS0_4arch9wavefront6targetE1EEEvSM_
                                        ; -- End function
	.set _ZN7rocprim17ROCPRIM_400000_NS6detail17trampoline_kernelINS0_14default_configENS1_22reduce_config_selectorIbEEZNS1_11reduce_implILb1ES3_N6hipcub16HIPCUB_304000_NS22TransformInputIteratorIb7NonZeroIaEPalEEPllNS8_6detail34convert_binary_result_type_wrapperINS8_3SumESD_lEEEE10hipError_tPvRmT1_T2_T3_mT4_P12ihipStream_tbEUlT_E1_NS1_11comp_targetILNS1_3genE9ELNS1_11target_archE1100ELNS1_3gpuE3ELNS1_3repE0EEENS1_30default_config_static_selectorELNS0_4arch9wavefront6targetE1EEEvSM_.num_vgpr, 0
	.set _ZN7rocprim17ROCPRIM_400000_NS6detail17trampoline_kernelINS0_14default_configENS1_22reduce_config_selectorIbEEZNS1_11reduce_implILb1ES3_N6hipcub16HIPCUB_304000_NS22TransformInputIteratorIb7NonZeroIaEPalEEPllNS8_6detail34convert_binary_result_type_wrapperINS8_3SumESD_lEEEE10hipError_tPvRmT1_T2_T3_mT4_P12ihipStream_tbEUlT_E1_NS1_11comp_targetILNS1_3genE9ELNS1_11target_archE1100ELNS1_3gpuE3ELNS1_3repE0EEENS1_30default_config_static_selectorELNS0_4arch9wavefront6targetE1EEEvSM_.num_agpr, 0
	.set _ZN7rocprim17ROCPRIM_400000_NS6detail17trampoline_kernelINS0_14default_configENS1_22reduce_config_selectorIbEEZNS1_11reduce_implILb1ES3_N6hipcub16HIPCUB_304000_NS22TransformInputIteratorIb7NonZeroIaEPalEEPllNS8_6detail34convert_binary_result_type_wrapperINS8_3SumESD_lEEEE10hipError_tPvRmT1_T2_T3_mT4_P12ihipStream_tbEUlT_E1_NS1_11comp_targetILNS1_3genE9ELNS1_11target_archE1100ELNS1_3gpuE3ELNS1_3repE0EEENS1_30default_config_static_selectorELNS0_4arch9wavefront6targetE1EEEvSM_.numbered_sgpr, 0
	.set _ZN7rocprim17ROCPRIM_400000_NS6detail17trampoline_kernelINS0_14default_configENS1_22reduce_config_selectorIbEEZNS1_11reduce_implILb1ES3_N6hipcub16HIPCUB_304000_NS22TransformInputIteratorIb7NonZeroIaEPalEEPllNS8_6detail34convert_binary_result_type_wrapperINS8_3SumESD_lEEEE10hipError_tPvRmT1_T2_T3_mT4_P12ihipStream_tbEUlT_E1_NS1_11comp_targetILNS1_3genE9ELNS1_11target_archE1100ELNS1_3gpuE3ELNS1_3repE0EEENS1_30default_config_static_selectorELNS0_4arch9wavefront6targetE1EEEvSM_.num_named_barrier, 0
	.set _ZN7rocprim17ROCPRIM_400000_NS6detail17trampoline_kernelINS0_14default_configENS1_22reduce_config_selectorIbEEZNS1_11reduce_implILb1ES3_N6hipcub16HIPCUB_304000_NS22TransformInputIteratorIb7NonZeroIaEPalEEPllNS8_6detail34convert_binary_result_type_wrapperINS8_3SumESD_lEEEE10hipError_tPvRmT1_T2_T3_mT4_P12ihipStream_tbEUlT_E1_NS1_11comp_targetILNS1_3genE9ELNS1_11target_archE1100ELNS1_3gpuE3ELNS1_3repE0EEENS1_30default_config_static_selectorELNS0_4arch9wavefront6targetE1EEEvSM_.private_seg_size, 0
	.set _ZN7rocprim17ROCPRIM_400000_NS6detail17trampoline_kernelINS0_14default_configENS1_22reduce_config_selectorIbEEZNS1_11reduce_implILb1ES3_N6hipcub16HIPCUB_304000_NS22TransformInputIteratorIb7NonZeroIaEPalEEPllNS8_6detail34convert_binary_result_type_wrapperINS8_3SumESD_lEEEE10hipError_tPvRmT1_T2_T3_mT4_P12ihipStream_tbEUlT_E1_NS1_11comp_targetILNS1_3genE9ELNS1_11target_archE1100ELNS1_3gpuE3ELNS1_3repE0EEENS1_30default_config_static_selectorELNS0_4arch9wavefront6targetE1EEEvSM_.uses_vcc, 0
	.set _ZN7rocprim17ROCPRIM_400000_NS6detail17trampoline_kernelINS0_14default_configENS1_22reduce_config_selectorIbEEZNS1_11reduce_implILb1ES3_N6hipcub16HIPCUB_304000_NS22TransformInputIteratorIb7NonZeroIaEPalEEPllNS8_6detail34convert_binary_result_type_wrapperINS8_3SumESD_lEEEE10hipError_tPvRmT1_T2_T3_mT4_P12ihipStream_tbEUlT_E1_NS1_11comp_targetILNS1_3genE9ELNS1_11target_archE1100ELNS1_3gpuE3ELNS1_3repE0EEENS1_30default_config_static_selectorELNS0_4arch9wavefront6targetE1EEEvSM_.uses_flat_scratch, 0
	.set _ZN7rocprim17ROCPRIM_400000_NS6detail17trampoline_kernelINS0_14default_configENS1_22reduce_config_selectorIbEEZNS1_11reduce_implILb1ES3_N6hipcub16HIPCUB_304000_NS22TransformInputIteratorIb7NonZeroIaEPalEEPllNS8_6detail34convert_binary_result_type_wrapperINS8_3SumESD_lEEEE10hipError_tPvRmT1_T2_T3_mT4_P12ihipStream_tbEUlT_E1_NS1_11comp_targetILNS1_3genE9ELNS1_11target_archE1100ELNS1_3gpuE3ELNS1_3repE0EEENS1_30default_config_static_selectorELNS0_4arch9wavefront6targetE1EEEvSM_.has_dyn_sized_stack, 0
	.set _ZN7rocprim17ROCPRIM_400000_NS6detail17trampoline_kernelINS0_14default_configENS1_22reduce_config_selectorIbEEZNS1_11reduce_implILb1ES3_N6hipcub16HIPCUB_304000_NS22TransformInputIteratorIb7NonZeroIaEPalEEPllNS8_6detail34convert_binary_result_type_wrapperINS8_3SumESD_lEEEE10hipError_tPvRmT1_T2_T3_mT4_P12ihipStream_tbEUlT_E1_NS1_11comp_targetILNS1_3genE9ELNS1_11target_archE1100ELNS1_3gpuE3ELNS1_3repE0EEENS1_30default_config_static_selectorELNS0_4arch9wavefront6targetE1EEEvSM_.has_recursion, 0
	.set _ZN7rocprim17ROCPRIM_400000_NS6detail17trampoline_kernelINS0_14default_configENS1_22reduce_config_selectorIbEEZNS1_11reduce_implILb1ES3_N6hipcub16HIPCUB_304000_NS22TransformInputIteratorIb7NonZeroIaEPalEEPllNS8_6detail34convert_binary_result_type_wrapperINS8_3SumESD_lEEEE10hipError_tPvRmT1_T2_T3_mT4_P12ihipStream_tbEUlT_E1_NS1_11comp_targetILNS1_3genE9ELNS1_11target_archE1100ELNS1_3gpuE3ELNS1_3repE0EEENS1_30default_config_static_selectorELNS0_4arch9wavefront6targetE1EEEvSM_.has_indirect_call, 0
	.section	.AMDGPU.csdata,"",@progbits
; Kernel info:
; codeLenInByte = 0
; TotalNumSgprs: 4
; NumVgprs: 0
; ScratchSize: 0
; MemoryBound: 0
; FloatMode: 240
; IeeeMode: 1
; LDSByteSize: 0 bytes/workgroup (compile time only)
; SGPRBlocks: 0
; VGPRBlocks: 0
; NumSGPRsForWavesPerEU: 4
; NumVGPRsForWavesPerEU: 1
; Occupancy: 10
; WaveLimiterHint : 0
; COMPUTE_PGM_RSRC2:SCRATCH_EN: 0
; COMPUTE_PGM_RSRC2:USER_SGPR: 6
; COMPUTE_PGM_RSRC2:TRAP_HANDLER: 0
; COMPUTE_PGM_RSRC2:TGID_X_EN: 1
; COMPUTE_PGM_RSRC2:TGID_Y_EN: 0
; COMPUTE_PGM_RSRC2:TGID_Z_EN: 0
; COMPUTE_PGM_RSRC2:TIDIG_COMP_CNT: 0
	.section	.text._ZN7rocprim17ROCPRIM_400000_NS6detail17trampoline_kernelINS0_14default_configENS1_22reduce_config_selectorIbEEZNS1_11reduce_implILb1ES3_N6hipcub16HIPCUB_304000_NS22TransformInputIteratorIb7NonZeroIaEPalEEPllNS8_6detail34convert_binary_result_type_wrapperINS8_3SumESD_lEEEE10hipError_tPvRmT1_T2_T3_mT4_P12ihipStream_tbEUlT_E1_NS1_11comp_targetILNS1_3genE8ELNS1_11target_archE1030ELNS1_3gpuE2ELNS1_3repE0EEENS1_30default_config_static_selectorELNS0_4arch9wavefront6targetE1EEEvSM_,"axG",@progbits,_ZN7rocprim17ROCPRIM_400000_NS6detail17trampoline_kernelINS0_14default_configENS1_22reduce_config_selectorIbEEZNS1_11reduce_implILb1ES3_N6hipcub16HIPCUB_304000_NS22TransformInputIteratorIb7NonZeroIaEPalEEPllNS8_6detail34convert_binary_result_type_wrapperINS8_3SumESD_lEEEE10hipError_tPvRmT1_T2_T3_mT4_P12ihipStream_tbEUlT_E1_NS1_11comp_targetILNS1_3genE8ELNS1_11target_archE1030ELNS1_3gpuE2ELNS1_3repE0EEENS1_30default_config_static_selectorELNS0_4arch9wavefront6targetE1EEEvSM_,comdat
	.protected	_ZN7rocprim17ROCPRIM_400000_NS6detail17trampoline_kernelINS0_14default_configENS1_22reduce_config_selectorIbEEZNS1_11reduce_implILb1ES3_N6hipcub16HIPCUB_304000_NS22TransformInputIteratorIb7NonZeroIaEPalEEPllNS8_6detail34convert_binary_result_type_wrapperINS8_3SumESD_lEEEE10hipError_tPvRmT1_T2_T3_mT4_P12ihipStream_tbEUlT_E1_NS1_11comp_targetILNS1_3genE8ELNS1_11target_archE1030ELNS1_3gpuE2ELNS1_3repE0EEENS1_30default_config_static_selectorELNS0_4arch9wavefront6targetE1EEEvSM_ ; -- Begin function _ZN7rocprim17ROCPRIM_400000_NS6detail17trampoline_kernelINS0_14default_configENS1_22reduce_config_selectorIbEEZNS1_11reduce_implILb1ES3_N6hipcub16HIPCUB_304000_NS22TransformInputIteratorIb7NonZeroIaEPalEEPllNS8_6detail34convert_binary_result_type_wrapperINS8_3SumESD_lEEEE10hipError_tPvRmT1_T2_T3_mT4_P12ihipStream_tbEUlT_E1_NS1_11comp_targetILNS1_3genE8ELNS1_11target_archE1030ELNS1_3gpuE2ELNS1_3repE0EEENS1_30default_config_static_selectorELNS0_4arch9wavefront6targetE1EEEvSM_
	.globl	_ZN7rocprim17ROCPRIM_400000_NS6detail17trampoline_kernelINS0_14default_configENS1_22reduce_config_selectorIbEEZNS1_11reduce_implILb1ES3_N6hipcub16HIPCUB_304000_NS22TransformInputIteratorIb7NonZeroIaEPalEEPllNS8_6detail34convert_binary_result_type_wrapperINS8_3SumESD_lEEEE10hipError_tPvRmT1_T2_T3_mT4_P12ihipStream_tbEUlT_E1_NS1_11comp_targetILNS1_3genE8ELNS1_11target_archE1030ELNS1_3gpuE2ELNS1_3repE0EEENS1_30default_config_static_selectorELNS0_4arch9wavefront6targetE1EEEvSM_
	.p2align	8
	.type	_ZN7rocprim17ROCPRIM_400000_NS6detail17trampoline_kernelINS0_14default_configENS1_22reduce_config_selectorIbEEZNS1_11reduce_implILb1ES3_N6hipcub16HIPCUB_304000_NS22TransformInputIteratorIb7NonZeroIaEPalEEPllNS8_6detail34convert_binary_result_type_wrapperINS8_3SumESD_lEEEE10hipError_tPvRmT1_T2_T3_mT4_P12ihipStream_tbEUlT_E1_NS1_11comp_targetILNS1_3genE8ELNS1_11target_archE1030ELNS1_3gpuE2ELNS1_3repE0EEENS1_30default_config_static_selectorELNS0_4arch9wavefront6targetE1EEEvSM_,@function
_ZN7rocprim17ROCPRIM_400000_NS6detail17trampoline_kernelINS0_14default_configENS1_22reduce_config_selectorIbEEZNS1_11reduce_implILb1ES3_N6hipcub16HIPCUB_304000_NS22TransformInputIteratorIb7NonZeroIaEPalEEPllNS8_6detail34convert_binary_result_type_wrapperINS8_3SumESD_lEEEE10hipError_tPvRmT1_T2_T3_mT4_P12ihipStream_tbEUlT_E1_NS1_11comp_targetILNS1_3genE8ELNS1_11target_archE1030ELNS1_3gpuE2ELNS1_3repE0EEENS1_30default_config_static_selectorELNS0_4arch9wavefront6targetE1EEEvSM_: ; @_ZN7rocprim17ROCPRIM_400000_NS6detail17trampoline_kernelINS0_14default_configENS1_22reduce_config_selectorIbEEZNS1_11reduce_implILb1ES3_N6hipcub16HIPCUB_304000_NS22TransformInputIteratorIb7NonZeroIaEPalEEPllNS8_6detail34convert_binary_result_type_wrapperINS8_3SumESD_lEEEE10hipError_tPvRmT1_T2_T3_mT4_P12ihipStream_tbEUlT_E1_NS1_11comp_targetILNS1_3genE8ELNS1_11target_archE1030ELNS1_3gpuE2ELNS1_3repE0EEENS1_30default_config_static_selectorELNS0_4arch9wavefront6targetE1EEEvSM_
; %bb.0:
	.section	.rodata,"a",@progbits
	.p2align	6, 0x0
	.amdhsa_kernel _ZN7rocprim17ROCPRIM_400000_NS6detail17trampoline_kernelINS0_14default_configENS1_22reduce_config_selectorIbEEZNS1_11reduce_implILb1ES3_N6hipcub16HIPCUB_304000_NS22TransformInputIteratorIb7NonZeroIaEPalEEPllNS8_6detail34convert_binary_result_type_wrapperINS8_3SumESD_lEEEE10hipError_tPvRmT1_T2_T3_mT4_P12ihipStream_tbEUlT_E1_NS1_11comp_targetILNS1_3genE8ELNS1_11target_archE1030ELNS1_3gpuE2ELNS1_3repE0EEENS1_30default_config_static_selectorELNS0_4arch9wavefront6targetE1EEEvSM_
		.amdhsa_group_segment_fixed_size 0
		.amdhsa_private_segment_fixed_size 0
		.amdhsa_kernarg_size 56
		.amdhsa_user_sgpr_count 6
		.amdhsa_user_sgpr_private_segment_buffer 1
		.amdhsa_user_sgpr_dispatch_ptr 0
		.amdhsa_user_sgpr_queue_ptr 0
		.amdhsa_user_sgpr_kernarg_segment_ptr 1
		.amdhsa_user_sgpr_dispatch_id 0
		.amdhsa_user_sgpr_flat_scratch_init 0
		.amdhsa_user_sgpr_private_segment_size 0
		.amdhsa_uses_dynamic_stack 0
		.amdhsa_system_sgpr_private_segment_wavefront_offset 0
		.amdhsa_system_sgpr_workgroup_id_x 1
		.amdhsa_system_sgpr_workgroup_id_y 0
		.amdhsa_system_sgpr_workgroup_id_z 0
		.amdhsa_system_sgpr_workgroup_info 0
		.amdhsa_system_vgpr_workitem_id 0
		.amdhsa_next_free_vgpr 1
		.amdhsa_next_free_sgpr 0
		.amdhsa_reserve_vcc 0
		.amdhsa_reserve_flat_scratch 0
		.amdhsa_float_round_mode_32 0
		.amdhsa_float_round_mode_16_64 0
		.amdhsa_float_denorm_mode_32 3
		.amdhsa_float_denorm_mode_16_64 3
		.amdhsa_dx10_clamp 1
		.amdhsa_ieee_mode 1
		.amdhsa_fp16_overflow 0
		.amdhsa_exception_fp_ieee_invalid_op 0
		.amdhsa_exception_fp_denorm_src 0
		.amdhsa_exception_fp_ieee_div_zero 0
		.amdhsa_exception_fp_ieee_overflow 0
		.amdhsa_exception_fp_ieee_underflow 0
		.amdhsa_exception_fp_ieee_inexact 0
		.amdhsa_exception_int_div_zero 0
	.end_amdhsa_kernel
	.section	.text._ZN7rocprim17ROCPRIM_400000_NS6detail17trampoline_kernelINS0_14default_configENS1_22reduce_config_selectorIbEEZNS1_11reduce_implILb1ES3_N6hipcub16HIPCUB_304000_NS22TransformInputIteratorIb7NonZeroIaEPalEEPllNS8_6detail34convert_binary_result_type_wrapperINS8_3SumESD_lEEEE10hipError_tPvRmT1_T2_T3_mT4_P12ihipStream_tbEUlT_E1_NS1_11comp_targetILNS1_3genE8ELNS1_11target_archE1030ELNS1_3gpuE2ELNS1_3repE0EEENS1_30default_config_static_selectorELNS0_4arch9wavefront6targetE1EEEvSM_,"axG",@progbits,_ZN7rocprim17ROCPRIM_400000_NS6detail17trampoline_kernelINS0_14default_configENS1_22reduce_config_selectorIbEEZNS1_11reduce_implILb1ES3_N6hipcub16HIPCUB_304000_NS22TransformInputIteratorIb7NonZeroIaEPalEEPllNS8_6detail34convert_binary_result_type_wrapperINS8_3SumESD_lEEEE10hipError_tPvRmT1_T2_T3_mT4_P12ihipStream_tbEUlT_E1_NS1_11comp_targetILNS1_3genE8ELNS1_11target_archE1030ELNS1_3gpuE2ELNS1_3repE0EEENS1_30default_config_static_selectorELNS0_4arch9wavefront6targetE1EEEvSM_,comdat
.Lfunc_end35:
	.size	_ZN7rocprim17ROCPRIM_400000_NS6detail17trampoline_kernelINS0_14default_configENS1_22reduce_config_selectorIbEEZNS1_11reduce_implILb1ES3_N6hipcub16HIPCUB_304000_NS22TransformInputIteratorIb7NonZeroIaEPalEEPllNS8_6detail34convert_binary_result_type_wrapperINS8_3SumESD_lEEEE10hipError_tPvRmT1_T2_T3_mT4_P12ihipStream_tbEUlT_E1_NS1_11comp_targetILNS1_3genE8ELNS1_11target_archE1030ELNS1_3gpuE2ELNS1_3repE0EEENS1_30default_config_static_selectorELNS0_4arch9wavefront6targetE1EEEvSM_, .Lfunc_end35-_ZN7rocprim17ROCPRIM_400000_NS6detail17trampoline_kernelINS0_14default_configENS1_22reduce_config_selectorIbEEZNS1_11reduce_implILb1ES3_N6hipcub16HIPCUB_304000_NS22TransformInputIteratorIb7NonZeroIaEPalEEPllNS8_6detail34convert_binary_result_type_wrapperINS8_3SumESD_lEEEE10hipError_tPvRmT1_T2_T3_mT4_P12ihipStream_tbEUlT_E1_NS1_11comp_targetILNS1_3genE8ELNS1_11target_archE1030ELNS1_3gpuE2ELNS1_3repE0EEENS1_30default_config_static_selectorELNS0_4arch9wavefront6targetE1EEEvSM_
                                        ; -- End function
	.set _ZN7rocprim17ROCPRIM_400000_NS6detail17trampoline_kernelINS0_14default_configENS1_22reduce_config_selectorIbEEZNS1_11reduce_implILb1ES3_N6hipcub16HIPCUB_304000_NS22TransformInputIteratorIb7NonZeroIaEPalEEPllNS8_6detail34convert_binary_result_type_wrapperINS8_3SumESD_lEEEE10hipError_tPvRmT1_T2_T3_mT4_P12ihipStream_tbEUlT_E1_NS1_11comp_targetILNS1_3genE8ELNS1_11target_archE1030ELNS1_3gpuE2ELNS1_3repE0EEENS1_30default_config_static_selectorELNS0_4arch9wavefront6targetE1EEEvSM_.num_vgpr, 0
	.set _ZN7rocprim17ROCPRIM_400000_NS6detail17trampoline_kernelINS0_14default_configENS1_22reduce_config_selectorIbEEZNS1_11reduce_implILb1ES3_N6hipcub16HIPCUB_304000_NS22TransformInputIteratorIb7NonZeroIaEPalEEPllNS8_6detail34convert_binary_result_type_wrapperINS8_3SumESD_lEEEE10hipError_tPvRmT1_T2_T3_mT4_P12ihipStream_tbEUlT_E1_NS1_11comp_targetILNS1_3genE8ELNS1_11target_archE1030ELNS1_3gpuE2ELNS1_3repE0EEENS1_30default_config_static_selectorELNS0_4arch9wavefront6targetE1EEEvSM_.num_agpr, 0
	.set _ZN7rocprim17ROCPRIM_400000_NS6detail17trampoline_kernelINS0_14default_configENS1_22reduce_config_selectorIbEEZNS1_11reduce_implILb1ES3_N6hipcub16HIPCUB_304000_NS22TransformInputIteratorIb7NonZeroIaEPalEEPllNS8_6detail34convert_binary_result_type_wrapperINS8_3SumESD_lEEEE10hipError_tPvRmT1_T2_T3_mT4_P12ihipStream_tbEUlT_E1_NS1_11comp_targetILNS1_3genE8ELNS1_11target_archE1030ELNS1_3gpuE2ELNS1_3repE0EEENS1_30default_config_static_selectorELNS0_4arch9wavefront6targetE1EEEvSM_.numbered_sgpr, 0
	.set _ZN7rocprim17ROCPRIM_400000_NS6detail17trampoline_kernelINS0_14default_configENS1_22reduce_config_selectorIbEEZNS1_11reduce_implILb1ES3_N6hipcub16HIPCUB_304000_NS22TransformInputIteratorIb7NonZeroIaEPalEEPllNS8_6detail34convert_binary_result_type_wrapperINS8_3SumESD_lEEEE10hipError_tPvRmT1_T2_T3_mT4_P12ihipStream_tbEUlT_E1_NS1_11comp_targetILNS1_3genE8ELNS1_11target_archE1030ELNS1_3gpuE2ELNS1_3repE0EEENS1_30default_config_static_selectorELNS0_4arch9wavefront6targetE1EEEvSM_.num_named_barrier, 0
	.set _ZN7rocprim17ROCPRIM_400000_NS6detail17trampoline_kernelINS0_14default_configENS1_22reduce_config_selectorIbEEZNS1_11reduce_implILb1ES3_N6hipcub16HIPCUB_304000_NS22TransformInputIteratorIb7NonZeroIaEPalEEPllNS8_6detail34convert_binary_result_type_wrapperINS8_3SumESD_lEEEE10hipError_tPvRmT1_T2_T3_mT4_P12ihipStream_tbEUlT_E1_NS1_11comp_targetILNS1_3genE8ELNS1_11target_archE1030ELNS1_3gpuE2ELNS1_3repE0EEENS1_30default_config_static_selectorELNS0_4arch9wavefront6targetE1EEEvSM_.private_seg_size, 0
	.set _ZN7rocprim17ROCPRIM_400000_NS6detail17trampoline_kernelINS0_14default_configENS1_22reduce_config_selectorIbEEZNS1_11reduce_implILb1ES3_N6hipcub16HIPCUB_304000_NS22TransformInputIteratorIb7NonZeroIaEPalEEPllNS8_6detail34convert_binary_result_type_wrapperINS8_3SumESD_lEEEE10hipError_tPvRmT1_T2_T3_mT4_P12ihipStream_tbEUlT_E1_NS1_11comp_targetILNS1_3genE8ELNS1_11target_archE1030ELNS1_3gpuE2ELNS1_3repE0EEENS1_30default_config_static_selectorELNS0_4arch9wavefront6targetE1EEEvSM_.uses_vcc, 0
	.set _ZN7rocprim17ROCPRIM_400000_NS6detail17trampoline_kernelINS0_14default_configENS1_22reduce_config_selectorIbEEZNS1_11reduce_implILb1ES3_N6hipcub16HIPCUB_304000_NS22TransformInputIteratorIb7NonZeroIaEPalEEPllNS8_6detail34convert_binary_result_type_wrapperINS8_3SumESD_lEEEE10hipError_tPvRmT1_T2_T3_mT4_P12ihipStream_tbEUlT_E1_NS1_11comp_targetILNS1_3genE8ELNS1_11target_archE1030ELNS1_3gpuE2ELNS1_3repE0EEENS1_30default_config_static_selectorELNS0_4arch9wavefront6targetE1EEEvSM_.uses_flat_scratch, 0
	.set _ZN7rocprim17ROCPRIM_400000_NS6detail17trampoline_kernelINS0_14default_configENS1_22reduce_config_selectorIbEEZNS1_11reduce_implILb1ES3_N6hipcub16HIPCUB_304000_NS22TransformInputIteratorIb7NonZeroIaEPalEEPllNS8_6detail34convert_binary_result_type_wrapperINS8_3SumESD_lEEEE10hipError_tPvRmT1_T2_T3_mT4_P12ihipStream_tbEUlT_E1_NS1_11comp_targetILNS1_3genE8ELNS1_11target_archE1030ELNS1_3gpuE2ELNS1_3repE0EEENS1_30default_config_static_selectorELNS0_4arch9wavefront6targetE1EEEvSM_.has_dyn_sized_stack, 0
	.set _ZN7rocprim17ROCPRIM_400000_NS6detail17trampoline_kernelINS0_14default_configENS1_22reduce_config_selectorIbEEZNS1_11reduce_implILb1ES3_N6hipcub16HIPCUB_304000_NS22TransformInputIteratorIb7NonZeroIaEPalEEPllNS8_6detail34convert_binary_result_type_wrapperINS8_3SumESD_lEEEE10hipError_tPvRmT1_T2_T3_mT4_P12ihipStream_tbEUlT_E1_NS1_11comp_targetILNS1_3genE8ELNS1_11target_archE1030ELNS1_3gpuE2ELNS1_3repE0EEENS1_30default_config_static_selectorELNS0_4arch9wavefront6targetE1EEEvSM_.has_recursion, 0
	.set _ZN7rocprim17ROCPRIM_400000_NS6detail17trampoline_kernelINS0_14default_configENS1_22reduce_config_selectorIbEEZNS1_11reduce_implILb1ES3_N6hipcub16HIPCUB_304000_NS22TransformInputIteratorIb7NonZeroIaEPalEEPllNS8_6detail34convert_binary_result_type_wrapperINS8_3SumESD_lEEEE10hipError_tPvRmT1_T2_T3_mT4_P12ihipStream_tbEUlT_E1_NS1_11comp_targetILNS1_3genE8ELNS1_11target_archE1030ELNS1_3gpuE2ELNS1_3repE0EEENS1_30default_config_static_selectorELNS0_4arch9wavefront6targetE1EEEvSM_.has_indirect_call, 0
	.section	.AMDGPU.csdata,"",@progbits
; Kernel info:
; codeLenInByte = 0
; TotalNumSgprs: 4
; NumVgprs: 0
; ScratchSize: 0
; MemoryBound: 0
; FloatMode: 240
; IeeeMode: 1
; LDSByteSize: 0 bytes/workgroup (compile time only)
; SGPRBlocks: 0
; VGPRBlocks: 0
; NumSGPRsForWavesPerEU: 4
; NumVGPRsForWavesPerEU: 1
; Occupancy: 10
; WaveLimiterHint : 0
; COMPUTE_PGM_RSRC2:SCRATCH_EN: 0
; COMPUTE_PGM_RSRC2:USER_SGPR: 6
; COMPUTE_PGM_RSRC2:TRAP_HANDLER: 0
; COMPUTE_PGM_RSRC2:TGID_X_EN: 1
; COMPUTE_PGM_RSRC2:TGID_Y_EN: 0
; COMPUTE_PGM_RSRC2:TGID_Z_EN: 0
; COMPUTE_PGM_RSRC2:TIDIG_COMP_CNT: 0
	.section	.text._ZN7rocprim17ROCPRIM_400000_NS6detail31init_lookback_scan_state_kernelINS1_19lookback_scan_stateImLb0ELb1EEENS1_16block_id_wrapperIjLb0EEEEEvT_jT0_jPNS7_10value_typeE,"axG",@progbits,_ZN7rocprim17ROCPRIM_400000_NS6detail31init_lookback_scan_state_kernelINS1_19lookback_scan_stateImLb0ELb1EEENS1_16block_id_wrapperIjLb0EEEEEvT_jT0_jPNS7_10value_typeE,comdat
	.protected	_ZN7rocprim17ROCPRIM_400000_NS6detail31init_lookback_scan_state_kernelINS1_19lookback_scan_stateImLb0ELb1EEENS1_16block_id_wrapperIjLb0EEEEEvT_jT0_jPNS7_10value_typeE ; -- Begin function _ZN7rocprim17ROCPRIM_400000_NS6detail31init_lookback_scan_state_kernelINS1_19lookback_scan_stateImLb0ELb1EEENS1_16block_id_wrapperIjLb0EEEEEvT_jT0_jPNS7_10value_typeE
	.globl	_ZN7rocprim17ROCPRIM_400000_NS6detail31init_lookback_scan_state_kernelINS1_19lookback_scan_stateImLb0ELb1EEENS1_16block_id_wrapperIjLb0EEEEEvT_jT0_jPNS7_10value_typeE
	.p2align	8
	.type	_ZN7rocprim17ROCPRIM_400000_NS6detail31init_lookback_scan_state_kernelINS1_19lookback_scan_stateImLb0ELb1EEENS1_16block_id_wrapperIjLb0EEEEEvT_jT0_jPNS7_10value_typeE,@function
_ZN7rocprim17ROCPRIM_400000_NS6detail31init_lookback_scan_state_kernelINS1_19lookback_scan_stateImLb0ELb1EEENS1_16block_id_wrapperIjLb0EEEEEvT_jT0_jPNS7_10value_typeE: ; @_ZN7rocprim17ROCPRIM_400000_NS6detail31init_lookback_scan_state_kernelINS1_19lookback_scan_stateImLb0ELb1EEENS1_16block_id_wrapperIjLb0EEEEEvT_jT0_jPNS7_10value_typeE
; %bb.0:
	s_load_dword s7, s[4:5], 0x2c
	s_load_dwordx2 s[2:3], s[4:5], 0x18
	s_load_dwordx2 s[0:1], s[4:5], 0x0
	s_load_dword s12, s[4:5], 0x8
	s_waitcnt lgkmcnt(0)
	s_and_b32 s7, s7, 0xffff
	s_mul_i32 s6, s6, s7
	s_cmp_eq_u64 s[2:3], 0
	v_add_u32_e32 v0, s6, v0
	s_cbranch_scc1 .LBB36_8
; %bb.1:
	s_load_dword s6, s[4:5], 0x10
	s_mov_b32 s7, 0
	s_waitcnt lgkmcnt(0)
	s_cmp_lt_u32 s6, s12
	s_cselect_b32 s4, s6, 0
	v_cmp_eq_u32_e32 vcc, s4, v0
	s_and_saveexec_b64 s[4:5], vcc
	s_cbranch_execz .LBB36_7
; %bb.2:
	s_add_i32 s6, s6, 64
	s_lshl_b64 s[6:7], s[6:7], 4
	s_add_u32 s10, s0, s6
	s_addc_u32 s11, s1, s7
	v_mov_b32_e32 v1, s10
	v_mov_b32_e32 v2, s11
	;;#ASMSTART
	global_load_dwordx4 v[1:4], v[1:2] off glc	
s_waitcnt vmcnt(0)
	;;#ASMEND
	v_and_b32_e32 v4, 0xff, v3
	v_mov_b32_e32 v5, 0
	v_cmp_eq_u64_e32 vcc, 0, v[4:5]
	s_mov_b64 s[8:9], 0
	s_and_saveexec_b64 s[6:7], vcc
	s_cbranch_execz .LBB36_6
; %bb.3:
	v_mov_b32_e32 v6, s10
	v_mov_b32_e32 v7, s11
.LBB36_4:                               ; =>This Inner Loop Header: Depth=1
	;;#ASMSTART
	global_load_dwordx4 v[1:4], v[6:7] off glc	
s_waitcnt vmcnt(0)
	;;#ASMEND
	v_and_b32_e32 v4, 0xff, v3
	v_cmp_ne_u64_e32 vcc, 0, v[4:5]
	s_or_b64 s[8:9], vcc, s[8:9]
	s_andn2_b64 exec, exec, s[8:9]
	s_cbranch_execnz .LBB36_4
; %bb.5:
	s_or_b64 exec, exec, s[8:9]
.LBB36_6:
	s_or_b64 exec, exec, s[6:7]
	v_mov_b32_e32 v3, 0
	global_store_dwordx2 v3, v[1:2], s[2:3]
.LBB36_7:
	s_or_b64 exec, exec, s[4:5]
.LBB36_8:
	v_cmp_gt_u32_e32 vcc, s12, v0
	s_and_saveexec_b64 s[2:3], vcc
	s_cbranch_execnz .LBB36_11
; %bb.9:
	s_or_b64 exec, exec, s[2:3]
	v_cmp_gt_u32_e32 vcc, 64, v0
	s_and_saveexec_b64 s[2:3], vcc
	s_cbranch_execnz .LBB36_12
.LBB36_10:
	s_endpgm
.LBB36_11:
	v_add_u32_e32 v1, 64, v0
	v_mov_b32_e32 v2, 0
	v_lshlrev_b64 v[3:4], 4, v[1:2]
	v_mov_b32_e32 v1, s1
	v_add_co_u32_e32 v5, vcc, s0, v3
	v_addc_co_u32_e32 v6, vcc, v1, v4, vcc
	v_mov_b32_e32 v1, v2
	v_mov_b32_e32 v3, v2
	v_mov_b32_e32 v4, v2
	global_store_dwordx4 v[5:6], v[1:4], off
	s_or_b64 exec, exec, s[2:3]
	v_cmp_gt_u32_e32 vcc, 64, v0
	s_and_saveexec_b64 s[2:3], vcc
	s_cbranch_execz .LBB36_10
.LBB36_12:
	v_mov_b32_e32 v1, 0
	v_lshlrev_b64 v[2:3], 4, v[0:1]
	v_mov_b32_e32 v0, s1
	v_add_co_u32_e32 v4, vcc, s0, v2
	v_addc_co_u32_e32 v5, vcc, v0, v3, vcc
	v_mov_b32_e32 v2, 0xff
	v_mov_b32_e32 v0, v1
	;; [unrolled: 1-line block ×3, first 2 shown]
	global_store_dwordx4 v[4:5], v[0:3], off
	s_endpgm
	.section	.rodata,"a",@progbits
	.p2align	6, 0x0
	.amdhsa_kernel _ZN7rocprim17ROCPRIM_400000_NS6detail31init_lookback_scan_state_kernelINS1_19lookback_scan_stateImLb0ELb1EEENS1_16block_id_wrapperIjLb0EEEEEvT_jT0_jPNS7_10value_typeE
		.amdhsa_group_segment_fixed_size 0
		.amdhsa_private_segment_fixed_size 0
		.amdhsa_kernarg_size 288
		.amdhsa_user_sgpr_count 6
		.amdhsa_user_sgpr_private_segment_buffer 1
		.amdhsa_user_sgpr_dispatch_ptr 0
		.amdhsa_user_sgpr_queue_ptr 0
		.amdhsa_user_sgpr_kernarg_segment_ptr 1
		.amdhsa_user_sgpr_dispatch_id 0
		.amdhsa_user_sgpr_flat_scratch_init 0
		.amdhsa_user_sgpr_private_segment_size 0
		.amdhsa_uses_dynamic_stack 0
		.amdhsa_system_sgpr_private_segment_wavefront_offset 0
		.amdhsa_system_sgpr_workgroup_id_x 1
		.amdhsa_system_sgpr_workgroup_id_y 0
		.amdhsa_system_sgpr_workgroup_id_z 0
		.amdhsa_system_sgpr_workgroup_info 0
		.amdhsa_system_vgpr_workitem_id 0
		.amdhsa_next_free_vgpr 8
		.amdhsa_next_free_sgpr 13
		.amdhsa_reserve_vcc 1
		.amdhsa_reserve_flat_scratch 0
		.amdhsa_float_round_mode_32 0
		.amdhsa_float_round_mode_16_64 0
		.amdhsa_float_denorm_mode_32 3
		.amdhsa_float_denorm_mode_16_64 3
		.amdhsa_dx10_clamp 1
		.amdhsa_ieee_mode 1
		.amdhsa_fp16_overflow 0
		.amdhsa_exception_fp_ieee_invalid_op 0
		.amdhsa_exception_fp_denorm_src 0
		.amdhsa_exception_fp_ieee_div_zero 0
		.amdhsa_exception_fp_ieee_overflow 0
		.amdhsa_exception_fp_ieee_underflow 0
		.amdhsa_exception_fp_ieee_inexact 0
		.amdhsa_exception_int_div_zero 0
	.end_amdhsa_kernel
	.section	.text._ZN7rocprim17ROCPRIM_400000_NS6detail31init_lookback_scan_state_kernelINS1_19lookback_scan_stateImLb0ELb1EEENS1_16block_id_wrapperIjLb0EEEEEvT_jT0_jPNS7_10value_typeE,"axG",@progbits,_ZN7rocprim17ROCPRIM_400000_NS6detail31init_lookback_scan_state_kernelINS1_19lookback_scan_stateImLb0ELb1EEENS1_16block_id_wrapperIjLb0EEEEEvT_jT0_jPNS7_10value_typeE,comdat
.Lfunc_end36:
	.size	_ZN7rocprim17ROCPRIM_400000_NS6detail31init_lookback_scan_state_kernelINS1_19lookback_scan_stateImLb0ELb1EEENS1_16block_id_wrapperIjLb0EEEEEvT_jT0_jPNS7_10value_typeE, .Lfunc_end36-_ZN7rocprim17ROCPRIM_400000_NS6detail31init_lookback_scan_state_kernelINS1_19lookback_scan_stateImLb0ELb1EEENS1_16block_id_wrapperIjLb0EEEEEvT_jT0_jPNS7_10value_typeE
                                        ; -- End function
	.set _ZN7rocprim17ROCPRIM_400000_NS6detail31init_lookback_scan_state_kernelINS1_19lookback_scan_stateImLb0ELb1EEENS1_16block_id_wrapperIjLb0EEEEEvT_jT0_jPNS7_10value_typeE.num_vgpr, 8
	.set _ZN7rocprim17ROCPRIM_400000_NS6detail31init_lookback_scan_state_kernelINS1_19lookback_scan_stateImLb0ELb1EEENS1_16block_id_wrapperIjLb0EEEEEvT_jT0_jPNS7_10value_typeE.num_agpr, 0
	.set _ZN7rocprim17ROCPRIM_400000_NS6detail31init_lookback_scan_state_kernelINS1_19lookback_scan_stateImLb0ELb1EEENS1_16block_id_wrapperIjLb0EEEEEvT_jT0_jPNS7_10value_typeE.numbered_sgpr, 13
	.set _ZN7rocprim17ROCPRIM_400000_NS6detail31init_lookback_scan_state_kernelINS1_19lookback_scan_stateImLb0ELb1EEENS1_16block_id_wrapperIjLb0EEEEEvT_jT0_jPNS7_10value_typeE.num_named_barrier, 0
	.set _ZN7rocprim17ROCPRIM_400000_NS6detail31init_lookback_scan_state_kernelINS1_19lookback_scan_stateImLb0ELb1EEENS1_16block_id_wrapperIjLb0EEEEEvT_jT0_jPNS7_10value_typeE.private_seg_size, 0
	.set _ZN7rocprim17ROCPRIM_400000_NS6detail31init_lookback_scan_state_kernelINS1_19lookback_scan_stateImLb0ELb1EEENS1_16block_id_wrapperIjLb0EEEEEvT_jT0_jPNS7_10value_typeE.uses_vcc, 1
	.set _ZN7rocprim17ROCPRIM_400000_NS6detail31init_lookback_scan_state_kernelINS1_19lookback_scan_stateImLb0ELb1EEENS1_16block_id_wrapperIjLb0EEEEEvT_jT0_jPNS7_10value_typeE.uses_flat_scratch, 0
	.set _ZN7rocprim17ROCPRIM_400000_NS6detail31init_lookback_scan_state_kernelINS1_19lookback_scan_stateImLb0ELb1EEENS1_16block_id_wrapperIjLb0EEEEEvT_jT0_jPNS7_10value_typeE.has_dyn_sized_stack, 0
	.set _ZN7rocprim17ROCPRIM_400000_NS6detail31init_lookback_scan_state_kernelINS1_19lookback_scan_stateImLb0ELb1EEENS1_16block_id_wrapperIjLb0EEEEEvT_jT0_jPNS7_10value_typeE.has_recursion, 0
	.set _ZN7rocprim17ROCPRIM_400000_NS6detail31init_lookback_scan_state_kernelINS1_19lookback_scan_stateImLb0ELb1EEENS1_16block_id_wrapperIjLb0EEEEEvT_jT0_jPNS7_10value_typeE.has_indirect_call, 0
	.section	.AMDGPU.csdata,"",@progbits
; Kernel info:
; codeLenInByte = 384
; TotalNumSgprs: 17
; NumVgprs: 8
; ScratchSize: 0
; MemoryBound: 0
; FloatMode: 240
; IeeeMode: 1
; LDSByteSize: 0 bytes/workgroup (compile time only)
; SGPRBlocks: 2
; VGPRBlocks: 1
; NumSGPRsForWavesPerEU: 17
; NumVGPRsForWavesPerEU: 8
; Occupancy: 10
; WaveLimiterHint : 0
; COMPUTE_PGM_RSRC2:SCRATCH_EN: 0
; COMPUTE_PGM_RSRC2:USER_SGPR: 6
; COMPUTE_PGM_RSRC2:TRAP_HANDLER: 0
; COMPUTE_PGM_RSRC2:TGID_X_EN: 1
; COMPUTE_PGM_RSRC2:TGID_Y_EN: 0
; COMPUTE_PGM_RSRC2:TGID_Z_EN: 0
; COMPUTE_PGM_RSRC2:TIDIG_COMP_CNT: 0
	.section	.text._ZN7rocprim17ROCPRIM_400000_NS6detail17trampoline_kernelINS0_14default_configENS1_25partition_config_selectorILNS1_17partition_subalgoE5ElNS0_10empty_typeEbEEZZNS1_14partition_implILS5_5ELb0ES3_mN6hipcub16HIPCUB_304000_NS21CountingInputIteratorIllEEPS6_NSA_22TransformInputIteratorIb7NonZeroIaEPalEENS0_5tupleIJPlS6_EEENSJ_IJSD_SD_EEES6_SK_JS6_EEE10hipError_tPvRmT3_T4_T5_T6_T7_T9_mT8_P12ihipStream_tbDpT10_ENKUlT_T0_E_clISt17integral_constantIbLb0EES16_EEDaS11_S12_EUlS11_E_NS1_11comp_targetILNS1_3genE0ELNS1_11target_archE4294967295ELNS1_3gpuE0ELNS1_3repE0EEENS1_30default_config_static_selectorELNS0_4arch9wavefront6targetE1EEEvT1_,"axG",@progbits,_ZN7rocprim17ROCPRIM_400000_NS6detail17trampoline_kernelINS0_14default_configENS1_25partition_config_selectorILNS1_17partition_subalgoE5ElNS0_10empty_typeEbEEZZNS1_14partition_implILS5_5ELb0ES3_mN6hipcub16HIPCUB_304000_NS21CountingInputIteratorIllEEPS6_NSA_22TransformInputIteratorIb7NonZeroIaEPalEENS0_5tupleIJPlS6_EEENSJ_IJSD_SD_EEES6_SK_JS6_EEE10hipError_tPvRmT3_T4_T5_T6_T7_T9_mT8_P12ihipStream_tbDpT10_ENKUlT_T0_E_clISt17integral_constantIbLb0EES16_EEDaS11_S12_EUlS11_E_NS1_11comp_targetILNS1_3genE0ELNS1_11target_archE4294967295ELNS1_3gpuE0ELNS1_3repE0EEENS1_30default_config_static_selectorELNS0_4arch9wavefront6targetE1EEEvT1_,comdat
	.protected	_ZN7rocprim17ROCPRIM_400000_NS6detail17trampoline_kernelINS0_14default_configENS1_25partition_config_selectorILNS1_17partition_subalgoE5ElNS0_10empty_typeEbEEZZNS1_14partition_implILS5_5ELb0ES3_mN6hipcub16HIPCUB_304000_NS21CountingInputIteratorIllEEPS6_NSA_22TransformInputIteratorIb7NonZeroIaEPalEENS0_5tupleIJPlS6_EEENSJ_IJSD_SD_EEES6_SK_JS6_EEE10hipError_tPvRmT3_T4_T5_T6_T7_T9_mT8_P12ihipStream_tbDpT10_ENKUlT_T0_E_clISt17integral_constantIbLb0EES16_EEDaS11_S12_EUlS11_E_NS1_11comp_targetILNS1_3genE0ELNS1_11target_archE4294967295ELNS1_3gpuE0ELNS1_3repE0EEENS1_30default_config_static_selectorELNS0_4arch9wavefront6targetE1EEEvT1_ ; -- Begin function _ZN7rocprim17ROCPRIM_400000_NS6detail17trampoline_kernelINS0_14default_configENS1_25partition_config_selectorILNS1_17partition_subalgoE5ElNS0_10empty_typeEbEEZZNS1_14partition_implILS5_5ELb0ES3_mN6hipcub16HIPCUB_304000_NS21CountingInputIteratorIllEEPS6_NSA_22TransformInputIteratorIb7NonZeroIaEPalEENS0_5tupleIJPlS6_EEENSJ_IJSD_SD_EEES6_SK_JS6_EEE10hipError_tPvRmT3_T4_T5_T6_T7_T9_mT8_P12ihipStream_tbDpT10_ENKUlT_T0_E_clISt17integral_constantIbLb0EES16_EEDaS11_S12_EUlS11_E_NS1_11comp_targetILNS1_3genE0ELNS1_11target_archE4294967295ELNS1_3gpuE0ELNS1_3repE0EEENS1_30default_config_static_selectorELNS0_4arch9wavefront6targetE1EEEvT1_
	.globl	_ZN7rocprim17ROCPRIM_400000_NS6detail17trampoline_kernelINS0_14default_configENS1_25partition_config_selectorILNS1_17partition_subalgoE5ElNS0_10empty_typeEbEEZZNS1_14partition_implILS5_5ELb0ES3_mN6hipcub16HIPCUB_304000_NS21CountingInputIteratorIllEEPS6_NSA_22TransformInputIteratorIb7NonZeroIaEPalEENS0_5tupleIJPlS6_EEENSJ_IJSD_SD_EEES6_SK_JS6_EEE10hipError_tPvRmT3_T4_T5_T6_T7_T9_mT8_P12ihipStream_tbDpT10_ENKUlT_T0_E_clISt17integral_constantIbLb0EES16_EEDaS11_S12_EUlS11_E_NS1_11comp_targetILNS1_3genE0ELNS1_11target_archE4294967295ELNS1_3gpuE0ELNS1_3repE0EEENS1_30default_config_static_selectorELNS0_4arch9wavefront6targetE1EEEvT1_
	.p2align	8
	.type	_ZN7rocprim17ROCPRIM_400000_NS6detail17trampoline_kernelINS0_14default_configENS1_25partition_config_selectorILNS1_17partition_subalgoE5ElNS0_10empty_typeEbEEZZNS1_14partition_implILS5_5ELb0ES3_mN6hipcub16HIPCUB_304000_NS21CountingInputIteratorIllEEPS6_NSA_22TransformInputIteratorIb7NonZeroIaEPalEENS0_5tupleIJPlS6_EEENSJ_IJSD_SD_EEES6_SK_JS6_EEE10hipError_tPvRmT3_T4_T5_T6_T7_T9_mT8_P12ihipStream_tbDpT10_ENKUlT_T0_E_clISt17integral_constantIbLb0EES16_EEDaS11_S12_EUlS11_E_NS1_11comp_targetILNS1_3genE0ELNS1_11target_archE4294967295ELNS1_3gpuE0ELNS1_3repE0EEENS1_30default_config_static_selectorELNS0_4arch9wavefront6targetE1EEEvT1_,@function
_ZN7rocprim17ROCPRIM_400000_NS6detail17trampoline_kernelINS0_14default_configENS1_25partition_config_selectorILNS1_17partition_subalgoE5ElNS0_10empty_typeEbEEZZNS1_14partition_implILS5_5ELb0ES3_mN6hipcub16HIPCUB_304000_NS21CountingInputIteratorIllEEPS6_NSA_22TransformInputIteratorIb7NonZeroIaEPalEENS0_5tupleIJPlS6_EEENSJ_IJSD_SD_EEES6_SK_JS6_EEE10hipError_tPvRmT3_T4_T5_T6_T7_T9_mT8_P12ihipStream_tbDpT10_ENKUlT_T0_E_clISt17integral_constantIbLb0EES16_EEDaS11_S12_EUlS11_E_NS1_11comp_targetILNS1_3genE0ELNS1_11target_archE4294967295ELNS1_3gpuE0ELNS1_3repE0EEENS1_30default_config_static_selectorELNS0_4arch9wavefront6targetE1EEEvT1_: ; @_ZN7rocprim17ROCPRIM_400000_NS6detail17trampoline_kernelINS0_14default_configENS1_25partition_config_selectorILNS1_17partition_subalgoE5ElNS0_10empty_typeEbEEZZNS1_14partition_implILS5_5ELb0ES3_mN6hipcub16HIPCUB_304000_NS21CountingInputIteratorIllEEPS6_NSA_22TransformInputIteratorIb7NonZeroIaEPalEENS0_5tupleIJPlS6_EEENSJ_IJSD_SD_EEES6_SK_JS6_EEE10hipError_tPvRmT3_T4_T5_T6_T7_T9_mT8_P12ihipStream_tbDpT10_ENKUlT_T0_E_clISt17integral_constantIbLb0EES16_EEDaS11_S12_EUlS11_E_NS1_11comp_targetILNS1_3genE0ELNS1_11target_archE4294967295ELNS1_3gpuE0ELNS1_3repE0EEENS1_30default_config_static_selectorELNS0_4arch9wavefront6targetE1EEEvT1_
; %bb.0:
	.section	.rodata,"a",@progbits
	.p2align	6, 0x0
	.amdhsa_kernel _ZN7rocprim17ROCPRIM_400000_NS6detail17trampoline_kernelINS0_14default_configENS1_25partition_config_selectorILNS1_17partition_subalgoE5ElNS0_10empty_typeEbEEZZNS1_14partition_implILS5_5ELb0ES3_mN6hipcub16HIPCUB_304000_NS21CountingInputIteratorIllEEPS6_NSA_22TransformInputIteratorIb7NonZeroIaEPalEENS0_5tupleIJPlS6_EEENSJ_IJSD_SD_EEES6_SK_JS6_EEE10hipError_tPvRmT3_T4_T5_T6_T7_T9_mT8_P12ihipStream_tbDpT10_ENKUlT_T0_E_clISt17integral_constantIbLb0EES16_EEDaS11_S12_EUlS11_E_NS1_11comp_targetILNS1_3genE0ELNS1_11target_archE4294967295ELNS1_3gpuE0ELNS1_3repE0EEENS1_30default_config_static_selectorELNS0_4arch9wavefront6targetE1EEEvT1_
		.amdhsa_group_segment_fixed_size 0
		.amdhsa_private_segment_fixed_size 0
		.amdhsa_kernarg_size 120
		.amdhsa_user_sgpr_count 6
		.amdhsa_user_sgpr_private_segment_buffer 1
		.amdhsa_user_sgpr_dispatch_ptr 0
		.amdhsa_user_sgpr_queue_ptr 0
		.amdhsa_user_sgpr_kernarg_segment_ptr 1
		.amdhsa_user_sgpr_dispatch_id 0
		.amdhsa_user_sgpr_flat_scratch_init 0
		.amdhsa_user_sgpr_private_segment_size 0
		.amdhsa_uses_dynamic_stack 0
		.amdhsa_system_sgpr_private_segment_wavefront_offset 0
		.amdhsa_system_sgpr_workgroup_id_x 1
		.amdhsa_system_sgpr_workgroup_id_y 0
		.amdhsa_system_sgpr_workgroup_id_z 0
		.amdhsa_system_sgpr_workgroup_info 0
		.amdhsa_system_vgpr_workitem_id 0
		.amdhsa_next_free_vgpr 1
		.amdhsa_next_free_sgpr 0
		.amdhsa_reserve_vcc 0
		.amdhsa_reserve_flat_scratch 0
		.amdhsa_float_round_mode_32 0
		.amdhsa_float_round_mode_16_64 0
		.amdhsa_float_denorm_mode_32 3
		.amdhsa_float_denorm_mode_16_64 3
		.amdhsa_dx10_clamp 1
		.amdhsa_ieee_mode 1
		.amdhsa_fp16_overflow 0
		.amdhsa_exception_fp_ieee_invalid_op 0
		.amdhsa_exception_fp_denorm_src 0
		.amdhsa_exception_fp_ieee_div_zero 0
		.amdhsa_exception_fp_ieee_overflow 0
		.amdhsa_exception_fp_ieee_underflow 0
		.amdhsa_exception_fp_ieee_inexact 0
		.amdhsa_exception_int_div_zero 0
	.end_amdhsa_kernel
	.section	.text._ZN7rocprim17ROCPRIM_400000_NS6detail17trampoline_kernelINS0_14default_configENS1_25partition_config_selectorILNS1_17partition_subalgoE5ElNS0_10empty_typeEbEEZZNS1_14partition_implILS5_5ELb0ES3_mN6hipcub16HIPCUB_304000_NS21CountingInputIteratorIllEEPS6_NSA_22TransformInputIteratorIb7NonZeroIaEPalEENS0_5tupleIJPlS6_EEENSJ_IJSD_SD_EEES6_SK_JS6_EEE10hipError_tPvRmT3_T4_T5_T6_T7_T9_mT8_P12ihipStream_tbDpT10_ENKUlT_T0_E_clISt17integral_constantIbLb0EES16_EEDaS11_S12_EUlS11_E_NS1_11comp_targetILNS1_3genE0ELNS1_11target_archE4294967295ELNS1_3gpuE0ELNS1_3repE0EEENS1_30default_config_static_selectorELNS0_4arch9wavefront6targetE1EEEvT1_,"axG",@progbits,_ZN7rocprim17ROCPRIM_400000_NS6detail17trampoline_kernelINS0_14default_configENS1_25partition_config_selectorILNS1_17partition_subalgoE5ElNS0_10empty_typeEbEEZZNS1_14partition_implILS5_5ELb0ES3_mN6hipcub16HIPCUB_304000_NS21CountingInputIteratorIllEEPS6_NSA_22TransformInputIteratorIb7NonZeroIaEPalEENS0_5tupleIJPlS6_EEENSJ_IJSD_SD_EEES6_SK_JS6_EEE10hipError_tPvRmT3_T4_T5_T6_T7_T9_mT8_P12ihipStream_tbDpT10_ENKUlT_T0_E_clISt17integral_constantIbLb0EES16_EEDaS11_S12_EUlS11_E_NS1_11comp_targetILNS1_3genE0ELNS1_11target_archE4294967295ELNS1_3gpuE0ELNS1_3repE0EEENS1_30default_config_static_selectorELNS0_4arch9wavefront6targetE1EEEvT1_,comdat
.Lfunc_end37:
	.size	_ZN7rocprim17ROCPRIM_400000_NS6detail17trampoline_kernelINS0_14default_configENS1_25partition_config_selectorILNS1_17partition_subalgoE5ElNS0_10empty_typeEbEEZZNS1_14partition_implILS5_5ELb0ES3_mN6hipcub16HIPCUB_304000_NS21CountingInputIteratorIllEEPS6_NSA_22TransformInputIteratorIb7NonZeroIaEPalEENS0_5tupleIJPlS6_EEENSJ_IJSD_SD_EEES6_SK_JS6_EEE10hipError_tPvRmT3_T4_T5_T6_T7_T9_mT8_P12ihipStream_tbDpT10_ENKUlT_T0_E_clISt17integral_constantIbLb0EES16_EEDaS11_S12_EUlS11_E_NS1_11comp_targetILNS1_3genE0ELNS1_11target_archE4294967295ELNS1_3gpuE0ELNS1_3repE0EEENS1_30default_config_static_selectorELNS0_4arch9wavefront6targetE1EEEvT1_, .Lfunc_end37-_ZN7rocprim17ROCPRIM_400000_NS6detail17trampoline_kernelINS0_14default_configENS1_25partition_config_selectorILNS1_17partition_subalgoE5ElNS0_10empty_typeEbEEZZNS1_14partition_implILS5_5ELb0ES3_mN6hipcub16HIPCUB_304000_NS21CountingInputIteratorIllEEPS6_NSA_22TransformInputIteratorIb7NonZeroIaEPalEENS0_5tupleIJPlS6_EEENSJ_IJSD_SD_EEES6_SK_JS6_EEE10hipError_tPvRmT3_T4_T5_T6_T7_T9_mT8_P12ihipStream_tbDpT10_ENKUlT_T0_E_clISt17integral_constantIbLb0EES16_EEDaS11_S12_EUlS11_E_NS1_11comp_targetILNS1_3genE0ELNS1_11target_archE4294967295ELNS1_3gpuE0ELNS1_3repE0EEENS1_30default_config_static_selectorELNS0_4arch9wavefront6targetE1EEEvT1_
                                        ; -- End function
	.set _ZN7rocprim17ROCPRIM_400000_NS6detail17trampoline_kernelINS0_14default_configENS1_25partition_config_selectorILNS1_17partition_subalgoE5ElNS0_10empty_typeEbEEZZNS1_14partition_implILS5_5ELb0ES3_mN6hipcub16HIPCUB_304000_NS21CountingInputIteratorIllEEPS6_NSA_22TransformInputIteratorIb7NonZeroIaEPalEENS0_5tupleIJPlS6_EEENSJ_IJSD_SD_EEES6_SK_JS6_EEE10hipError_tPvRmT3_T4_T5_T6_T7_T9_mT8_P12ihipStream_tbDpT10_ENKUlT_T0_E_clISt17integral_constantIbLb0EES16_EEDaS11_S12_EUlS11_E_NS1_11comp_targetILNS1_3genE0ELNS1_11target_archE4294967295ELNS1_3gpuE0ELNS1_3repE0EEENS1_30default_config_static_selectorELNS0_4arch9wavefront6targetE1EEEvT1_.num_vgpr, 0
	.set _ZN7rocprim17ROCPRIM_400000_NS6detail17trampoline_kernelINS0_14default_configENS1_25partition_config_selectorILNS1_17partition_subalgoE5ElNS0_10empty_typeEbEEZZNS1_14partition_implILS5_5ELb0ES3_mN6hipcub16HIPCUB_304000_NS21CountingInputIteratorIllEEPS6_NSA_22TransformInputIteratorIb7NonZeroIaEPalEENS0_5tupleIJPlS6_EEENSJ_IJSD_SD_EEES6_SK_JS6_EEE10hipError_tPvRmT3_T4_T5_T6_T7_T9_mT8_P12ihipStream_tbDpT10_ENKUlT_T0_E_clISt17integral_constantIbLb0EES16_EEDaS11_S12_EUlS11_E_NS1_11comp_targetILNS1_3genE0ELNS1_11target_archE4294967295ELNS1_3gpuE0ELNS1_3repE0EEENS1_30default_config_static_selectorELNS0_4arch9wavefront6targetE1EEEvT1_.num_agpr, 0
	.set _ZN7rocprim17ROCPRIM_400000_NS6detail17trampoline_kernelINS0_14default_configENS1_25partition_config_selectorILNS1_17partition_subalgoE5ElNS0_10empty_typeEbEEZZNS1_14partition_implILS5_5ELb0ES3_mN6hipcub16HIPCUB_304000_NS21CountingInputIteratorIllEEPS6_NSA_22TransformInputIteratorIb7NonZeroIaEPalEENS0_5tupleIJPlS6_EEENSJ_IJSD_SD_EEES6_SK_JS6_EEE10hipError_tPvRmT3_T4_T5_T6_T7_T9_mT8_P12ihipStream_tbDpT10_ENKUlT_T0_E_clISt17integral_constantIbLb0EES16_EEDaS11_S12_EUlS11_E_NS1_11comp_targetILNS1_3genE0ELNS1_11target_archE4294967295ELNS1_3gpuE0ELNS1_3repE0EEENS1_30default_config_static_selectorELNS0_4arch9wavefront6targetE1EEEvT1_.numbered_sgpr, 0
	.set _ZN7rocprim17ROCPRIM_400000_NS6detail17trampoline_kernelINS0_14default_configENS1_25partition_config_selectorILNS1_17partition_subalgoE5ElNS0_10empty_typeEbEEZZNS1_14partition_implILS5_5ELb0ES3_mN6hipcub16HIPCUB_304000_NS21CountingInputIteratorIllEEPS6_NSA_22TransformInputIteratorIb7NonZeroIaEPalEENS0_5tupleIJPlS6_EEENSJ_IJSD_SD_EEES6_SK_JS6_EEE10hipError_tPvRmT3_T4_T5_T6_T7_T9_mT8_P12ihipStream_tbDpT10_ENKUlT_T0_E_clISt17integral_constantIbLb0EES16_EEDaS11_S12_EUlS11_E_NS1_11comp_targetILNS1_3genE0ELNS1_11target_archE4294967295ELNS1_3gpuE0ELNS1_3repE0EEENS1_30default_config_static_selectorELNS0_4arch9wavefront6targetE1EEEvT1_.num_named_barrier, 0
	.set _ZN7rocprim17ROCPRIM_400000_NS6detail17trampoline_kernelINS0_14default_configENS1_25partition_config_selectorILNS1_17partition_subalgoE5ElNS0_10empty_typeEbEEZZNS1_14partition_implILS5_5ELb0ES3_mN6hipcub16HIPCUB_304000_NS21CountingInputIteratorIllEEPS6_NSA_22TransformInputIteratorIb7NonZeroIaEPalEENS0_5tupleIJPlS6_EEENSJ_IJSD_SD_EEES6_SK_JS6_EEE10hipError_tPvRmT3_T4_T5_T6_T7_T9_mT8_P12ihipStream_tbDpT10_ENKUlT_T0_E_clISt17integral_constantIbLb0EES16_EEDaS11_S12_EUlS11_E_NS1_11comp_targetILNS1_3genE0ELNS1_11target_archE4294967295ELNS1_3gpuE0ELNS1_3repE0EEENS1_30default_config_static_selectorELNS0_4arch9wavefront6targetE1EEEvT1_.private_seg_size, 0
	.set _ZN7rocprim17ROCPRIM_400000_NS6detail17trampoline_kernelINS0_14default_configENS1_25partition_config_selectorILNS1_17partition_subalgoE5ElNS0_10empty_typeEbEEZZNS1_14partition_implILS5_5ELb0ES3_mN6hipcub16HIPCUB_304000_NS21CountingInputIteratorIllEEPS6_NSA_22TransformInputIteratorIb7NonZeroIaEPalEENS0_5tupleIJPlS6_EEENSJ_IJSD_SD_EEES6_SK_JS6_EEE10hipError_tPvRmT3_T4_T5_T6_T7_T9_mT8_P12ihipStream_tbDpT10_ENKUlT_T0_E_clISt17integral_constantIbLb0EES16_EEDaS11_S12_EUlS11_E_NS1_11comp_targetILNS1_3genE0ELNS1_11target_archE4294967295ELNS1_3gpuE0ELNS1_3repE0EEENS1_30default_config_static_selectorELNS0_4arch9wavefront6targetE1EEEvT1_.uses_vcc, 0
	.set _ZN7rocprim17ROCPRIM_400000_NS6detail17trampoline_kernelINS0_14default_configENS1_25partition_config_selectorILNS1_17partition_subalgoE5ElNS0_10empty_typeEbEEZZNS1_14partition_implILS5_5ELb0ES3_mN6hipcub16HIPCUB_304000_NS21CountingInputIteratorIllEEPS6_NSA_22TransformInputIteratorIb7NonZeroIaEPalEENS0_5tupleIJPlS6_EEENSJ_IJSD_SD_EEES6_SK_JS6_EEE10hipError_tPvRmT3_T4_T5_T6_T7_T9_mT8_P12ihipStream_tbDpT10_ENKUlT_T0_E_clISt17integral_constantIbLb0EES16_EEDaS11_S12_EUlS11_E_NS1_11comp_targetILNS1_3genE0ELNS1_11target_archE4294967295ELNS1_3gpuE0ELNS1_3repE0EEENS1_30default_config_static_selectorELNS0_4arch9wavefront6targetE1EEEvT1_.uses_flat_scratch, 0
	.set _ZN7rocprim17ROCPRIM_400000_NS6detail17trampoline_kernelINS0_14default_configENS1_25partition_config_selectorILNS1_17partition_subalgoE5ElNS0_10empty_typeEbEEZZNS1_14partition_implILS5_5ELb0ES3_mN6hipcub16HIPCUB_304000_NS21CountingInputIteratorIllEEPS6_NSA_22TransformInputIteratorIb7NonZeroIaEPalEENS0_5tupleIJPlS6_EEENSJ_IJSD_SD_EEES6_SK_JS6_EEE10hipError_tPvRmT3_T4_T5_T6_T7_T9_mT8_P12ihipStream_tbDpT10_ENKUlT_T0_E_clISt17integral_constantIbLb0EES16_EEDaS11_S12_EUlS11_E_NS1_11comp_targetILNS1_3genE0ELNS1_11target_archE4294967295ELNS1_3gpuE0ELNS1_3repE0EEENS1_30default_config_static_selectorELNS0_4arch9wavefront6targetE1EEEvT1_.has_dyn_sized_stack, 0
	.set _ZN7rocprim17ROCPRIM_400000_NS6detail17trampoline_kernelINS0_14default_configENS1_25partition_config_selectorILNS1_17partition_subalgoE5ElNS0_10empty_typeEbEEZZNS1_14partition_implILS5_5ELb0ES3_mN6hipcub16HIPCUB_304000_NS21CountingInputIteratorIllEEPS6_NSA_22TransformInputIteratorIb7NonZeroIaEPalEENS0_5tupleIJPlS6_EEENSJ_IJSD_SD_EEES6_SK_JS6_EEE10hipError_tPvRmT3_T4_T5_T6_T7_T9_mT8_P12ihipStream_tbDpT10_ENKUlT_T0_E_clISt17integral_constantIbLb0EES16_EEDaS11_S12_EUlS11_E_NS1_11comp_targetILNS1_3genE0ELNS1_11target_archE4294967295ELNS1_3gpuE0ELNS1_3repE0EEENS1_30default_config_static_selectorELNS0_4arch9wavefront6targetE1EEEvT1_.has_recursion, 0
	.set _ZN7rocprim17ROCPRIM_400000_NS6detail17trampoline_kernelINS0_14default_configENS1_25partition_config_selectorILNS1_17partition_subalgoE5ElNS0_10empty_typeEbEEZZNS1_14partition_implILS5_5ELb0ES3_mN6hipcub16HIPCUB_304000_NS21CountingInputIteratorIllEEPS6_NSA_22TransformInputIteratorIb7NonZeroIaEPalEENS0_5tupleIJPlS6_EEENSJ_IJSD_SD_EEES6_SK_JS6_EEE10hipError_tPvRmT3_T4_T5_T6_T7_T9_mT8_P12ihipStream_tbDpT10_ENKUlT_T0_E_clISt17integral_constantIbLb0EES16_EEDaS11_S12_EUlS11_E_NS1_11comp_targetILNS1_3genE0ELNS1_11target_archE4294967295ELNS1_3gpuE0ELNS1_3repE0EEENS1_30default_config_static_selectorELNS0_4arch9wavefront6targetE1EEEvT1_.has_indirect_call, 0
	.section	.AMDGPU.csdata,"",@progbits
; Kernel info:
; codeLenInByte = 0
; TotalNumSgprs: 4
; NumVgprs: 0
; ScratchSize: 0
; MemoryBound: 0
; FloatMode: 240
; IeeeMode: 1
; LDSByteSize: 0 bytes/workgroup (compile time only)
; SGPRBlocks: 0
; VGPRBlocks: 0
; NumSGPRsForWavesPerEU: 4
; NumVGPRsForWavesPerEU: 1
; Occupancy: 10
; WaveLimiterHint : 0
; COMPUTE_PGM_RSRC2:SCRATCH_EN: 0
; COMPUTE_PGM_RSRC2:USER_SGPR: 6
; COMPUTE_PGM_RSRC2:TRAP_HANDLER: 0
; COMPUTE_PGM_RSRC2:TGID_X_EN: 1
; COMPUTE_PGM_RSRC2:TGID_Y_EN: 0
; COMPUTE_PGM_RSRC2:TGID_Z_EN: 0
; COMPUTE_PGM_RSRC2:TIDIG_COMP_CNT: 0
	.section	.text._ZN7rocprim17ROCPRIM_400000_NS6detail17trampoline_kernelINS0_14default_configENS1_25partition_config_selectorILNS1_17partition_subalgoE5ElNS0_10empty_typeEbEEZZNS1_14partition_implILS5_5ELb0ES3_mN6hipcub16HIPCUB_304000_NS21CountingInputIteratorIllEEPS6_NSA_22TransformInputIteratorIb7NonZeroIaEPalEENS0_5tupleIJPlS6_EEENSJ_IJSD_SD_EEES6_SK_JS6_EEE10hipError_tPvRmT3_T4_T5_T6_T7_T9_mT8_P12ihipStream_tbDpT10_ENKUlT_T0_E_clISt17integral_constantIbLb0EES16_EEDaS11_S12_EUlS11_E_NS1_11comp_targetILNS1_3genE5ELNS1_11target_archE942ELNS1_3gpuE9ELNS1_3repE0EEENS1_30default_config_static_selectorELNS0_4arch9wavefront6targetE1EEEvT1_,"axG",@progbits,_ZN7rocprim17ROCPRIM_400000_NS6detail17trampoline_kernelINS0_14default_configENS1_25partition_config_selectorILNS1_17partition_subalgoE5ElNS0_10empty_typeEbEEZZNS1_14partition_implILS5_5ELb0ES3_mN6hipcub16HIPCUB_304000_NS21CountingInputIteratorIllEEPS6_NSA_22TransformInputIteratorIb7NonZeroIaEPalEENS0_5tupleIJPlS6_EEENSJ_IJSD_SD_EEES6_SK_JS6_EEE10hipError_tPvRmT3_T4_T5_T6_T7_T9_mT8_P12ihipStream_tbDpT10_ENKUlT_T0_E_clISt17integral_constantIbLb0EES16_EEDaS11_S12_EUlS11_E_NS1_11comp_targetILNS1_3genE5ELNS1_11target_archE942ELNS1_3gpuE9ELNS1_3repE0EEENS1_30default_config_static_selectorELNS0_4arch9wavefront6targetE1EEEvT1_,comdat
	.protected	_ZN7rocprim17ROCPRIM_400000_NS6detail17trampoline_kernelINS0_14default_configENS1_25partition_config_selectorILNS1_17partition_subalgoE5ElNS0_10empty_typeEbEEZZNS1_14partition_implILS5_5ELb0ES3_mN6hipcub16HIPCUB_304000_NS21CountingInputIteratorIllEEPS6_NSA_22TransformInputIteratorIb7NonZeroIaEPalEENS0_5tupleIJPlS6_EEENSJ_IJSD_SD_EEES6_SK_JS6_EEE10hipError_tPvRmT3_T4_T5_T6_T7_T9_mT8_P12ihipStream_tbDpT10_ENKUlT_T0_E_clISt17integral_constantIbLb0EES16_EEDaS11_S12_EUlS11_E_NS1_11comp_targetILNS1_3genE5ELNS1_11target_archE942ELNS1_3gpuE9ELNS1_3repE0EEENS1_30default_config_static_selectorELNS0_4arch9wavefront6targetE1EEEvT1_ ; -- Begin function _ZN7rocprim17ROCPRIM_400000_NS6detail17trampoline_kernelINS0_14default_configENS1_25partition_config_selectorILNS1_17partition_subalgoE5ElNS0_10empty_typeEbEEZZNS1_14partition_implILS5_5ELb0ES3_mN6hipcub16HIPCUB_304000_NS21CountingInputIteratorIllEEPS6_NSA_22TransformInputIteratorIb7NonZeroIaEPalEENS0_5tupleIJPlS6_EEENSJ_IJSD_SD_EEES6_SK_JS6_EEE10hipError_tPvRmT3_T4_T5_T6_T7_T9_mT8_P12ihipStream_tbDpT10_ENKUlT_T0_E_clISt17integral_constantIbLb0EES16_EEDaS11_S12_EUlS11_E_NS1_11comp_targetILNS1_3genE5ELNS1_11target_archE942ELNS1_3gpuE9ELNS1_3repE0EEENS1_30default_config_static_selectorELNS0_4arch9wavefront6targetE1EEEvT1_
	.globl	_ZN7rocprim17ROCPRIM_400000_NS6detail17trampoline_kernelINS0_14default_configENS1_25partition_config_selectorILNS1_17partition_subalgoE5ElNS0_10empty_typeEbEEZZNS1_14partition_implILS5_5ELb0ES3_mN6hipcub16HIPCUB_304000_NS21CountingInputIteratorIllEEPS6_NSA_22TransformInputIteratorIb7NonZeroIaEPalEENS0_5tupleIJPlS6_EEENSJ_IJSD_SD_EEES6_SK_JS6_EEE10hipError_tPvRmT3_T4_T5_T6_T7_T9_mT8_P12ihipStream_tbDpT10_ENKUlT_T0_E_clISt17integral_constantIbLb0EES16_EEDaS11_S12_EUlS11_E_NS1_11comp_targetILNS1_3genE5ELNS1_11target_archE942ELNS1_3gpuE9ELNS1_3repE0EEENS1_30default_config_static_selectorELNS0_4arch9wavefront6targetE1EEEvT1_
	.p2align	8
	.type	_ZN7rocprim17ROCPRIM_400000_NS6detail17trampoline_kernelINS0_14default_configENS1_25partition_config_selectorILNS1_17partition_subalgoE5ElNS0_10empty_typeEbEEZZNS1_14partition_implILS5_5ELb0ES3_mN6hipcub16HIPCUB_304000_NS21CountingInputIteratorIllEEPS6_NSA_22TransformInputIteratorIb7NonZeroIaEPalEENS0_5tupleIJPlS6_EEENSJ_IJSD_SD_EEES6_SK_JS6_EEE10hipError_tPvRmT3_T4_T5_T6_T7_T9_mT8_P12ihipStream_tbDpT10_ENKUlT_T0_E_clISt17integral_constantIbLb0EES16_EEDaS11_S12_EUlS11_E_NS1_11comp_targetILNS1_3genE5ELNS1_11target_archE942ELNS1_3gpuE9ELNS1_3repE0EEENS1_30default_config_static_selectorELNS0_4arch9wavefront6targetE1EEEvT1_,@function
_ZN7rocprim17ROCPRIM_400000_NS6detail17trampoline_kernelINS0_14default_configENS1_25partition_config_selectorILNS1_17partition_subalgoE5ElNS0_10empty_typeEbEEZZNS1_14partition_implILS5_5ELb0ES3_mN6hipcub16HIPCUB_304000_NS21CountingInputIteratorIllEEPS6_NSA_22TransformInputIteratorIb7NonZeroIaEPalEENS0_5tupleIJPlS6_EEENSJ_IJSD_SD_EEES6_SK_JS6_EEE10hipError_tPvRmT3_T4_T5_T6_T7_T9_mT8_P12ihipStream_tbDpT10_ENKUlT_T0_E_clISt17integral_constantIbLb0EES16_EEDaS11_S12_EUlS11_E_NS1_11comp_targetILNS1_3genE5ELNS1_11target_archE942ELNS1_3gpuE9ELNS1_3repE0EEENS1_30default_config_static_selectorELNS0_4arch9wavefront6targetE1EEEvT1_: ; @_ZN7rocprim17ROCPRIM_400000_NS6detail17trampoline_kernelINS0_14default_configENS1_25partition_config_selectorILNS1_17partition_subalgoE5ElNS0_10empty_typeEbEEZZNS1_14partition_implILS5_5ELb0ES3_mN6hipcub16HIPCUB_304000_NS21CountingInputIteratorIllEEPS6_NSA_22TransformInputIteratorIb7NonZeroIaEPalEENS0_5tupleIJPlS6_EEENSJ_IJSD_SD_EEES6_SK_JS6_EEE10hipError_tPvRmT3_T4_T5_T6_T7_T9_mT8_P12ihipStream_tbDpT10_ENKUlT_T0_E_clISt17integral_constantIbLb0EES16_EEDaS11_S12_EUlS11_E_NS1_11comp_targetILNS1_3genE5ELNS1_11target_archE942ELNS1_3gpuE9ELNS1_3repE0EEENS1_30default_config_static_selectorELNS0_4arch9wavefront6targetE1EEEvT1_
; %bb.0:
	.section	.rodata,"a",@progbits
	.p2align	6, 0x0
	.amdhsa_kernel _ZN7rocprim17ROCPRIM_400000_NS6detail17trampoline_kernelINS0_14default_configENS1_25partition_config_selectorILNS1_17partition_subalgoE5ElNS0_10empty_typeEbEEZZNS1_14partition_implILS5_5ELb0ES3_mN6hipcub16HIPCUB_304000_NS21CountingInputIteratorIllEEPS6_NSA_22TransformInputIteratorIb7NonZeroIaEPalEENS0_5tupleIJPlS6_EEENSJ_IJSD_SD_EEES6_SK_JS6_EEE10hipError_tPvRmT3_T4_T5_T6_T7_T9_mT8_P12ihipStream_tbDpT10_ENKUlT_T0_E_clISt17integral_constantIbLb0EES16_EEDaS11_S12_EUlS11_E_NS1_11comp_targetILNS1_3genE5ELNS1_11target_archE942ELNS1_3gpuE9ELNS1_3repE0EEENS1_30default_config_static_selectorELNS0_4arch9wavefront6targetE1EEEvT1_
		.amdhsa_group_segment_fixed_size 0
		.amdhsa_private_segment_fixed_size 0
		.amdhsa_kernarg_size 120
		.amdhsa_user_sgpr_count 6
		.amdhsa_user_sgpr_private_segment_buffer 1
		.amdhsa_user_sgpr_dispatch_ptr 0
		.amdhsa_user_sgpr_queue_ptr 0
		.amdhsa_user_sgpr_kernarg_segment_ptr 1
		.amdhsa_user_sgpr_dispatch_id 0
		.amdhsa_user_sgpr_flat_scratch_init 0
		.amdhsa_user_sgpr_private_segment_size 0
		.amdhsa_uses_dynamic_stack 0
		.amdhsa_system_sgpr_private_segment_wavefront_offset 0
		.amdhsa_system_sgpr_workgroup_id_x 1
		.amdhsa_system_sgpr_workgroup_id_y 0
		.amdhsa_system_sgpr_workgroup_id_z 0
		.amdhsa_system_sgpr_workgroup_info 0
		.amdhsa_system_vgpr_workitem_id 0
		.amdhsa_next_free_vgpr 1
		.amdhsa_next_free_sgpr 0
		.amdhsa_reserve_vcc 0
		.amdhsa_reserve_flat_scratch 0
		.amdhsa_float_round_mode_32 0
		.amdhsa_float_round_mode_16_64 0
		.amdhsa_float_denorm_mode_32 3
		.amdhsa_float_denorm_mode_16_64 3
		.amdhsa_dx10_clamp 1
		.amdhsa_ieee_mode 1
		.amdhsa_fp16_overflow 0
		.amdhsa_exception_fp_ieee_invalid_op 0
		.amdhsa_exception_fp_denorm_src 0
		.amdhsa_exception_fp_ieee_div_zero 0
		.amdhsa_exception_fp_ieee_overflow 0
		.amdhsa_exception_fp_ieee_underflow 0
		.amdhsa_exception_fp_ieee_inexact 0
		.amdhsa_exception_int_div_zero 0
	.end_amdhsa_kernel
	.section	.text._ZN7rocprim17ROCPRIM_400000_NS6detail17trampoline_kernelINS0_14default_configENS1_25partition_config_selectorILNS1_17partition_subalgoE5ElNS0_10empty_typeEbEEZZNS1_14partition_implILS5_5ELb0ES3_mN6hipcub16HIPCUB_304000_NS21CountingInputIteratorIllEEPS6_NSA_22TransformInputIteratorIb7NonZeroIaEPalEENS0_5tupleIJPlS6_EEENSJ_IJSD_SD_EEES6_SK_JS6_EEE10hipError_tPvRmT3_T4_T5_T6_T7_T9_mT8_P12ihipStream_tbDpT10_ENKUlT_T0_E_clISt17integral_constantIbLb0EES16_EEDaS11_S12_EUlS11_E_NS1_11comp_targetILNS1_3genE5ELNS1_11target_archE942ELNS1_3gpuE9ELNS1_3repE0EEENS1_30default_config_static_selectorELNS0_4arch9wavefront6targetE1EEEvT1_,"axG",@progbits,_ZN7rocprim17ROCPRIM_400000_NS6detail17trampoline_kernelINS0_14default_configENS1_25partition_config_selectorILNS1_17partition_subalgoE5ElNS0_10empty_typeEbEEZZNS1_14partition_implILS5_5ELb0ES3_mN6hipcub16HIPCUB_304000_NS21CountingInputIteratorIllEEPS6_NSA_22TransformInputIteratorIb7NonZeroIaEPalEENS0_5tupleIJPlS6_EEENSJ_IJSD_SD_EEES6_SK_JS6_EEE10hipError_tPvRmT3_T4_T5_T6_T7_T9_mT8_P12ihipStream_tbDpT10_ENKUlT_T0_E_clISt17integral_constantIbLb0EES16_EEDaS11_S12_EUlS11_E_NS1_11comp_targetILNS1_3genE5ELNS1_11target_archE942ELNS1_3gpuE9ELNS1_3repE0EEENS1_30default_config_static_selectorELNS0_4arch9wavefront6targetE1EEEvT1_,comdat
.Lfunc_end38:
	.size	_ZN7rocprim17ROCPRIM_400000_NS6detail17trampoline_kernelINS0_14default_configENS1_25partition_config_selectorILNS1_17partition_subalgoE5ElNS0_10empty_typeEbEEZZNS1_14partition_implILS5_5ELb0ES3_mN6hipcub16HIPCUB_304000_NS21CountingInputIteratorIllEEPS6_NSA_22TransformInputIteratorIb7NonZeroIaEPalEENS0_5tupleIJPlS6_EEENSJ_IJSD_SD_EEES6_SK_JS6_EEE10hipError_tPvRmT3_T4_T5_T6_T7_T9_mT8_P12ihipStream_tbDpT10_ENKUlT_T0_E_clISt17integral_constantIbLb0EES16_EEDaS11_S12_EUlS11_E_NS1_11comp_targetILNS1_3genE5ELNS1_11target_archE942ELNS1_3gpuE9ELNS1_3repE0EEENS1_30default_config_static_selectorELNS0_4arch9wavefront6targetE1EEEvT1_, .Lfunc_end38-_ZN7rocprim17ROCPRIM_400000_NS6detail17trampoline_kernelINS0_14default_configENS1_25partition_config_selectorILNS1_17partition_subalgoE5ElNS0_10empty_typeEbEEZZNS1_14partition_implILS5_5ELb0ES3_mN6hipcub16HIPCUB_304000_NS21CountingInputIteratorIllEEPS6_NSA_22TransformInputIteratorIb7NonZeroIaEPalEENS0_5tupleIJPlS6_EEENSJ_IJSD_SD_EEES6_SK_JS6_EEE10hipError_tPvRmT3_T4_T5_T6_T7_T9_mT8_P12ihipStream_tbDpT10_ENKUlT_T0_E_clISt17integral_constantIbLb0EES16_EEDaS11_S12_EUlS11_E_NS1_11comp_targetILNS1_3genE5ELNS1_11target_archE942ELNS1_3gpuE9ELNS1_3repE0EEENS1_30default_config_static_selectorELNS0_4arch9wavefront6targetE1EEEvT1_
                                        ; -- End function
	.set _ZN7rocprim17ROCPRIM_400000_NS6detail17trampoline_kernelINS0_14default_configENS1_25partition_config_selectorILNS1_17partition_subalgoE5ElNS0_10empty_typeEbEEZZNS1_14partition_implILS5_5ELb0ES3_mN6hipcub16HIPCUB_304000_NS21CountingInputIteratorIllEEPS6_NSA_22TransformInputIteratorIb7NonZeroIaEPalEENS0_5tupleIJPlS6_EEENSJ_IJSD_SD_EEES6_SK_JS6_EEE10hipError_tPvRmT3_T4_T5_T6_T7_T9_mT8_P12ihipStream_tbDpT10_ENKUlT_T0_E_clISt17integral_constantIbLb0EES16_EEDaS11_S12_EUlS11_E_NS1_11comp_targetILNS1_3genE5ELNS1_11target_archE942ELNS1_3gpuE9ELNS1_3repE0EEENS1_30default_config_static_selectorELNS0_4arch9wavefront6targetE1EEEvT1_.num_vgpr, 0
	.set _ZN7rocprim17ROCPRIM_400000_NS6detail17trampoline_kernelINS0_14default_configENS1_25partition_config_selectorILNS1_17partition_subalgoE5ElNS0_10empty_typeEbEEZZNS1_14partition_implILS5_5ELb0ES3_mN6hipcub16HIPCUB_304000_NS21CountingInputIteratorIllEEPS6_NSA_22TransformInputIteratorIb7NonZeroIaEPalEENS0_5tupleIJPlS6_EEENSJ_IJSD_SD_EEES6_SK_JS6_EEE10hipError_tPvRmT3_T4_T5_T6_T7_T9_mT8_P12ihipStream_tbDpT10_ENKUlT_T0_E_clISt17integral_constantIbLb0EES16_EEDaS11_S12_EUlS11_E_NS1_11comp_targetILNS1_3genE5ELNS1_11target_archE942ELNS1_3gpuE9ELNS1_3repE0EEENS1_30default_config_static_selectorELNS0_4arch9wavefront6targetE1EEEvT1_.num_agpr, 0
	.set _ZN7rocprim17ROCPRIM_400000_NS6detail17trampoline_kernelINS0_14default_configENS1_25partition_config_selectorILNS1_17partition_subalgoE5ElNS0_10empty_typeEbEEZZNS1_14partition_implILS5_5ELb0ES3_mN6hipcub16HIPCUB_304000_NS21CountingInputIteratorIllEEPS6_NSA_22TransformInputIteratorIb7NonZeroIaEPalEENS0_5tupleIJPlS6_EEENSJ_IJSD_SD_EEES6_SK_JS6_EEE10hipError_tPvRmT3_T4_T5_T6_T7_T9_mT8_P12ihipStream_tbDpT10_ENKUlT_T0_E_clISt17integral_constantIbLb0EES16_EEDaS11_S12_EUlS11_E_NS1_11comp_targetILNS1_3genE5ELNS1_11target_archE942ELNS1_3gpuE9ELNS1_3repE0EEENS1_30default_config_static_selectorELNS0_4arch9wavefront6targetE1EEEvT1_.numbered_sgpr, 0
	.set _ZN7rocprim17ROCPRIM_400000_NS6detail17trampoline_kernelINS0_14default_configENS1_25partition_config_selectorILNS1_17partition_subalgoE5ElNS0_10empty_typeEbEEZZNS1_14partition_implILS5_5ELb0ES3_mN6hipcub16HIPCUB_304000_NS21CountingInputIteratorIllEEPS6_NSA_22TransformInputIteratorIb7NonZeroIaEPalEENS0_5tupleIJPlS6_EEENSJ_IJSD_SD_EEES6_SK_JS6_EEE10hipError_tPvRmT3_T4_T5_T6_T7_T9_mT8_P12ihipStream_tbDpT10_ENKUlT_T0_E_clISt17integral_constantIbLb0EES16_EEDaS11_S12_EUlS11_E_NS1_11comp_targetILNS1_3genE5ELNS1_11target_archE942ELNS1_3gpuE9ELNS1_3repE0EEENS1_30default_config_static_selectorELNS0_4arch9wavefront6targetE1EEEvT1_.num_named_barrier, 0
	.set _ZN7rocprim17ROCPRIM_400000_NS6detail17trampoline_kernelINS0_14default_configENS1_25partition_config_selectorILNS1_17partition_subalgoE5ElNS0_10empty_typeEbEEZZNS1_14partition_implILS5_5ELb0ES3_mN6hipcub16HIPCUB_304000_NS21CountingInputIteratorIllEEPS6_NSA_22TransformInputIteratorIb7NonZeroIaEPalEENS0_5tupleIJPlS6_EEENSJ_IJSD_SD_EEES6_SK_JS6_EEE10hipError_tPvRmT3_T4_T5_T6_T7_T9_mT8_P12ihipStream_tbDpT10_ENKUlT_T0_E_clISt17integral_constantIbLb0EES16_EEDaS11_S12_EUlS11_E_NS1_11comp_targetILNS1_3genE5ELNS1_11target_archE942ELNS1_3gpuE9ELNS1_3repE0EEENS1_30default_config_static_selectorELNS0_4arch9wavefront6targetE1EEEvT1_.private_seg_size, 0
	.set _ZN7rocprim17ROCPRIM_400000_NS6detail17trampoline_kernelINS0_14default_configENS1_25partition_config_selectorILNS1_17partition_subalgoE5ElNS0_10empty_typeEbEEZZNS1_14partition_implILS5_5ELb0ES3_mN6hipcub16HIPCUB_304000_NS21CountingInputIteratorIllEEPS6_NSA_22TransformInputIteratorIb7NonZeroIaEPalEENS0_5tupleIJPlS6_EEENSJ_IJSD_SD_EEES6_SK_JS6_EEE10hipError_tPvRmT3_T4_T5_T6_T7_T9_mT8_P12ihipStream_tbDpT10_ENKUlT_T0_E_clISt17integral_constantIbLb0EES16_EEDaS11_S12_EUlS11_E_NS1_11comp_targetILNS1_3genE5ELNS1_11target_archE942ELNS1_3gpuE9ELNS1_3repE0EEENS1_30default_config_static_selectorELNS0_4arch9wavefront6targetE1EEEvT1_.uses_vcc, 0
	.set _ZN7rocprim17ROCPRIM_400000_NS6detail17trampoline_kernelINS0_14default_configENS1_25partition_config_selectorILNS1_17partition_subalgoE5ElNS0_10empty_typeEbEEZZNS1_14partition_implILS5_5ELb0ES3_mN6hipcub16HIPCUB_304000_NS21CountingInputIteratorIllEEPS6_NSA_22TransformInputIteratorIb7NonZeroIaEPalEENS0_5tupleIJPlS6_EEENSJ_IJSD_SD_EEES6_SK_JS6_EEE10hipError_tPvRmT3_T4_T5_T6_T7_T9_mT8_P12ihipStream_tbDpT10_ENKUlT_T0_E_clISt17integral_constantIbLb0EES16_EEDaS11_S12_EUlS11_E_NS1_11comp_targetILNS1_3genE5ELNS1_11target_archE942ELNS1_3gpuE9ELNS1_3repE0EEENS1_30default_config_static_selectorELNS0_4arch9wavefront6targetE1EEEvT1_.uses_flat_scratch, 0
	.set _ZN7rocprim17ROCPRIM_400000_NS6detail17trampoline_kernelINS0_14default_configENS1_25partition_config_selectorILNS1_17partition_subalgoE5ElNS0_10empty_typeEbEEZZNS1_14partition_implILS5_5ELb0ES3_mN6hipcub16HIPCUB_304000_NS21CountingInputIteratorIllEEPS6_NSA_22TransformInputIteratorIb7NonZeroIaEPalEENS0_5tupleIJPlS6_EEENSJ_IJSD_SD_EEES6_SK_JS6_EEE10hipError_tPvRmT3_T4_T5_T6_T7_T9_mT8_P12ihipStream_tbDpT10_ENKUlT_T0_E_clISt17integral_constantIbLb0EES16_EEDaS11_S12_EUlS11_E_NS1_11comp_targetILNS1_3genE5ELNS1_11target_archE942ELNS1_3gpuE9ELNS1_3repE0EEENS1_30default_config_static_selectorELNS0_4arch9wavefront6targetE1EEEvT1_.has_dyn_sized_stack, 0
	.set _ZN7rocprim17ROCPRIM_400000_NS6detail17trampoline_kernelINS0_14default_configENS1_25partition_config_selectorILNS1_17partition_subalgoE5ElNS0_10empty_typeEbEEZZNS1_14partition_implILS5_5ELb0ES3_mN6hipcub16HIPCUB_304000_NS21CountingInputIteratorIllEEPS6_NSA_22TransformInputIteratorIb7NonZeroIaEPalEENS0_5tupleIJPlS6_EEENSJ_IJSD_SD_EEES6_SK_JS6_EEE10hipError_tPvRmT3_T4_T5_T6_T7_T9_mT8_P12ihipStream_tbDpT10_ENKUlT_T0_E_clISt17integral_constantIbLb0EES16_EEDaS11_S12_EUlS11_E_NS1_11comp_targetILNS1_3genE5ELNS1_11target_archE942ELNS1_3gpuE9ELNS1_3repE0EEENS1_30default_config_static_selectorELNS0_4arch9wavefront6targetE1EEEvT1_.has_recursion, 0
	.set _ZN7rocprim17ROCPRIM_400000_NS6detail17trampoline_kernelINS0_14default_configENS1_25partition_config_selectorILNS1_17partition_subalgoE5ElNS0_10empty_typeEbEEZZNS1_14partition_implILS5_5ELb0ES3_mN6hipcub16HIPCUB_304000_NS21CountingInputIteratorIllEEPS6_NSA_22TransformInputIteratorIb7NonZeroIaEPalEENS0_5tupleIJPlS6_EEENSJ_IJSD_SD_EEES6_SK_JS6_EEE10hipError_tPvRmT3_T4_T5_T6_T7_T9_mT8_P12ihipStream_tbDpT10_ENKUlT_T0_E_clISt17integral_constantIbLb0EES16_EEDaS11_S12_EUlS11_E_NS1_11comp_targetILNS1_3genE5ELNS1_11target_archE942ELNS1_3gpuE9ELNS1_3repE0EEENS1_30default_config_static_selectorELNS0_4arch9wavefront6targetE1EEEvT1_.has_indirect_call, 0
	.section	.AMDGPU.csdata,"",@progbits
; Kernel info:
; codeLenInByte = 0
; TotalNumSgprs: 4
; NumVgprs: 0
; ScratchSize: 0
; MemoryBound: 0
; FloatMode: 240
; IeeeMode: 1
; LDSByteSize: 0 bytes/workgroup (compile time only)
; SGPRBlocks: 0
; VGPRBlocks: 0
; NumSGPRsForWavesPerEU: 4
; NumVGPRsForWavesPerEU: 1
; Occupancy: 10
; WaveLimiterHint : 0
; COMPUTE_PGM_RSRC2:SCRATCH_EN: 0
; COMPUTE_PGM_RSRC2:USER_SGPR: 6
; COMPUTE_PGM_RSRC2:TRAP_HANDLER: 0
; COMPUTE_PGM_RSRC2:TGID_X_EN: 1
; COMPUTE_PGM_RSRC2:TGID_Y_EN: 0
; COMPUTE_PGM_RSRC2:TGID_Z_EN: 0
; COMPUTE_PGM_RSRC2:TIDIG_COMP_CNT: 0
	.section	.text._ZN7rocprim17ROCPRIM_400000_NS6detail17trampoline_kernelINS0_14default_configENS1_25partition_config_selectorILNS1_17partition_subalgoE5ElNS0_10empty_typeEbEEZZNS1_14partition_implILS5_5ELb0ES3_mN6hipcub16HIPCUB_304000_NS21CountingInputIteratorIllEEPS6_NSA_22TransformInputIteratorIb7NonZeroIaEPalEENS0_5tupleIJPlS6_EEENSJ_IJSD_SD_EEES6_SK_JS6_EEE10hipError_tPvRmT3_T4_T5_T6_T7_T9_mT8_P12ihipStream_tbDpT10_ENKUlT_T0_E_clISt17integral_constantIbLb0EES16_EEDaS11_S12_EUlS11_E_NS1_11comp_targetILNS1_3genE4ELNS1_11target_archE910ELNS1_3gpuE8ELNS1_3repE0EEENS1_30default_config_static_selectorELNS0_4arch9wavefront6targetE1EEEvT1_,"axG",@progbits,_ZN7rocprim17ROCPRIM_400000_NS6detail17trampoline_kernelINS0_14default_configENS1_25partition_config_selectorILNS1_17partition_subalgoE5ElNS0_10empty_typeEbEEZZNS1_14partition_implILS5_5ELb0ES3_mN6hipcub16HIPCUB_304000_NS21CountingInputIteratorIllEEPS6_NSA_22TransformInputIteratorIb7NonZeroIaEPalEENS0_5tupleIJPlS6_EEENSJ_IJSD_SD_EEES6_SK_JS6_EEE10hipError_tPvRmT3_T4_T5_T6_T7_T9_mT8_P12ihipStream_tbDpT10_ENKUlT_T0_E_clISt17integral_constantIbLb0EES16_EEDaS11_S12_EUlS11_E_NS1_11comp_targetILNS1_3genE4ELNS1_11target_archE910ELNS1_3gpuE8ELNS1_3repE0EEENS1_30default_config_static_selectorELNS0_4arch9wavefront6targetE1EEEvT1_,comdat
	.protected	_ZN7rocprim17ROCPRIM_400000_NS6detail17trampoline_kernelINS0_14default_configENS1_25partition_config_selectorILNS1_17partition_subalgoE5ElNS0_10empty_typeEbEEZZNS1_14partition_implILS5_5ELb0ES3_mN6hipcub16HIPCUB_304000_NS21CountingInputIteratorIllEEPS6_NSA_22TransformInputIteratorIb7NonZeroIaEPalEENS0_5tupleIJPlS6_EEENSJ_IJSD_SD_EEES6_SK_JS6_EEE10hipError_tPvRmT3_T4_T5_T6_T7_T9_mT8_P12ihipStream_tbDpT10_ENKUlT_T0_E_clISt17integral_constantIbLb0EES16_EEDaS11_S12_EUlS11_E_NS1_11comp_targetILNS1_3genE4ELNS1_11target_archE910ELNS1_3gpuE8ELNS1_3repE0EEENS1_30default_config_static_selectorELNS0_4arch9wavefront6targetE1EEEvT1_ ; -- Begin function _ZN7rocprim17ROCPRIM_400000_NS6detail17trampoline_kernelINS0_14default_configENS1_25partition_config_selectorILNS1_17partition_subalgoE5ElNS0_10empty_typeEbEEZZNS1_14partition_implILS5_5ELb0ES3_mN6hipcub16HIPCUB_304000_NS21CountingInputIteratorIllEEPS6_NSA_22TransformInputIteratorIb7NonZeroIaEPalEENS0_5tupleIJPlS6_EEENSJ_IJSD_SD_EEES6_SK_JS6_EEE10hipError_tPvRmT3_T4_T5_T6_T7_T9_mT8_P12ihipStream_tbDpT10_ENKUlT_T0_E_clISt17integral_constantIbLb0EES16_EEDaS11_S12_EUlS11_E_NS1_11comp_targetILNS1_3genE4ELNS1_11target_archE910ELNS1_3gpuE8ELNS1_3repE0EEENS1_30default_config_static_selectorELNS0_4arch9wavefront6targetE1EEEvT1_
	.globl	_ZN7rocprim17ROCPRIM_400000_NS6detail17trampoline_kernelINS0_14default_configENS1_25partition_config_selectorILNS1_17partition_subalgoE5ElNS0_10empty_typeEbEEZZNS1_14partition_implILS5_5ELb0ES3_mN6hipcub16HIPCUB_304000_NS21CountingInputIteratorIllEEPS6_NSA_22TransformInputIteratorIb7NonZeroIaEPalEENS0_5tupleIJPlS6_EEENSJ_IJSD_SD_EEES6_SK_JS6_EEE10hipError_tPvRmT3_T4_T5_T6_T7_T9_mT8_P12ihipStream_tbDpT10_ENKUlT_T0_E_clISt17integral_constantIbLb0EES16_EEDaS11_S12_EUlS11_E_NS1_11comp_targetILNS1_3genE4ELNS1_11target_archE910ELNS1_3gpuE8ELNS1_3repE0EEENS1_30default_config_static_selectorELNS0_4arch9wavefront6targetE1EEEvT1_
	.p2align	8
	.type	_ZN7rocprim17ROCPRIM_400000_NS6detail17trampoline_kernelINS0_14default_configENS1_25partition_config_selectorILNS1_17partition_subalgoE5ElNS0_10empty_typeEbEEZZNS1_14partition_implILS5_5ELb0ES3_mN6hipcub16HIPCUB_304000_NS21CountingInputIteratorIllEEPS6_NSA_22TransformInputIteratorIb7NonZeroIaEPalEENS0_5tupleIJPlS6_EEENSJ_IJSD_SD_EEES6_SK_JS6_EEE10hipError_tPvRmT3_T4_T5_T6_T7_T9_mT8_P12ihipStream_tbDpT10_ENKUlT_T0_E_clISt17integral_constantIbLb0EES16_EEDaS11_S12_EUlS11_E_NS1_11comp_targetILNS1_3genE4ELNS1_11target_archE910ELNS1_3gpuE8ELNS1_3repE0EEENS1_30default_config_static_selectorELNS0_4arch9wavefront6targetE1EEEvT1_,@function
_ZN7rocprim17ROCPRIM_400000_NS6detail17trampoline_kernelINS0_14default_configENS1_25partition_config_selectorILNS1_17partition_subalgoE5ElNS0_10empty_typeEbEEZZNS1_14partition_implILS5_5ELb0ES3_mN6hipcub16HIPCUB_304000_NS21CountingInputIteratorIllEEPS6_NSA_22TransformInputIteratorIb7NonZeroIaEPalEENS0_5tupleIJPlS6_EEENSJ_IJSD_SD_EEES6_SK_JS6_EEE10hipError_tPvRmT3_T4_T5_T6_T7_T9_mT8_P12ihipStream_tbDpT10_ENKUlT_T0_E_clISt17integral_constantIbLb0EES16_EEDaS11_S12_EUlS11_E_NS1_11comp_targetILNS1_3genE4ELNS1_11target_archE910ELNS1_3gpuE8ELNS1_3repE0EEENS1_30default_config_static_selectorELNS0_4arch9wavefront6targetE1EEEvT1_: ; @_ZN7rocprim17ROCPRIM_400000_NS6detail17trampoline_kernelINS0_14default_configENS1_25partition_config_selectorILNS1_17partition_subalgoE5ElNS0_10empty_typeEbEEZZNS1_14partition_implILS5_5ELb0ES3_mN6hipcub16HIPCUB_304000_NS21CountingInputIteratorIllEEPS6_NSA_22TransformInputIteratorIb7NonZeroIaEPalEENS0_5tupleIJPlS6_EEENSJ_IJSD_SD_EEES6_SK_JS6_EEE10hipError_tPvRmT3_T4_T5_T6_T7_T9_mT8_P12ihipStream_tbDpT10_ENKUlT_T0_E_clISt17integral_constantIbLb0EES16_EEDaS11_S12_EUlS11_E_NS1_11comp_targetILNS1_3genE4ELNS1_11target_archE910ELNS1_3gpuE8ELNS1_3repE0EEENS1_30default_config_static_selectorELNS0_4arch9wavefront6targetE1EEEvT1_
; %bb.0:
	.section	.rodata,"a",@progbits
	.p2align	6, 0x0
	.amdhsa_kernel _ZN7rocprim17ROCPRIM_400000_NS6detail17trampoline_kernelINS0_14default_configENS1_25partition_config_selectorILNS1_17partition_subalgoE5ElNS0_10empty_typeEbEEZZNS1_14partition_implILS5_5ELb0ES3_mN6hipcub16HIPCUB_304000_NS21CountingInputIteratorIllEEPS6_NSA_22TransformInputIteratorIb7NonZeroIaEPalEENS0_5tupleIJPlS6_EEENSJ_IJSD_SD_EEES6_SK_JS6_EEE10hipError_tPvRmT3_T4_T5_T6_T7_T9_mT8_P12ihipStream_tbDpT10_ENKUlT_T0_E_clISt17integral_constantIbLb0EES16_EEDaS11_S12_EUlS11_E_NS1_11comp_targetILNS1_3genE4ELNS1_11target_archE910ELNS1_3gpuE8ELNS1_3repE0EEENS1_30default_config_static_selectorELNS0_4arch9wavefront6targetE1EEEvT1_
		.amdhsa_group_segment_fixed_size 0
		.amdhsa_private_segment_fixed_size 0
		.amdhsa_kernarg_size 120
		.amdhsa_user_sgpr_count 6
		.amdhsa_user_sgpr_private_segment_buffer 1
		.amdhsa_user_sgpr_dispatch_ptr 0
		.amdhsa_user_sgpr_queue_ptr 0
		.amdhsa_user_sgpr_kernarg_segment_ptr 1
		.amdhsa_user_sgpr_dispatch_id 0
		.amdhsa_user_sgpr_flat_scratch_init 0
		.amdhsa_user_sgpr_private_segment_size 0
		.amdhsa_uses_dynamic_stack 0
		.amdhsa_system_sgpr_private_segment_wavefront_offset 0
		.amdhsa_system_sgpr_workgroup_id_x 1
		.amdhsa_system_sgpr_workgroup_id_y 0
		.amdhsa_system_sgpr_workgroup_id_z 0
		.amdhsa_system_sgpr_workgroup_info 0
		.amdhsa_system_vgpr_workitem_id 0
		.amdhsa_next_free_vgpr 1
		.amdhsa_next_free_sgpr 0
		.amdhsa_reserve_vcc 0
		.amdhsa_reserve_flat_scratch 0
		.amdhsa_float_round_mode_32 0
		.amdhsa_float_round_mode_16_64 0
		.amdhsa_float_denorm_mode_32 3
		.amdhsa_float_denorm_mode_16_64 3
		.amdhsa_dx10_clamp 1
		.amdhsa_ieee_mode 1
		.amdhsa_fp16_overflow 0
		.amdhsa_exception_fp_ieee_invalid_op 0
		.amdhsa_exception_fp_denorm_src 0
		.amdhsa_exception_fp_ieee_div_zero 0
		.amdhsa_exception_fp_ieee_overflow 0
		.amdhsa_exception_fp_ieee_underflow 0
		.amdhsa_exception_fp_ieee_inexact 0
		.amdhsa_exception_int_div_zero 0
	.end_amdhsa_kernel
	.section	.text._ZN7rocprim17ROCPRIM_400000_NS6detail17trampoline_kernelINS0_14default_configENS1_25partition_config_selectorILNS1_17partition_subalgoE5ElNS0_10empty_typeEbEEZZNS1_14partition_implILS5_5ELb0ES3_mN6hipcub16HIPCUB_304000_NS21CountingInputIteratorIllEEPS6_NSA_22TransformInputIteratorIb7NonZeroIaEPalEENS0_5tupleIJPlS6_EEENSJ_IJSD_SD_EEES6_SK_JS6_EEE10hipError_tPvRmT3_T4_T5_T6_T7_T9_mT8_P12ihipStream_tbDpT10_ENKUlT_T0_E_clISt17integral_constantIbLb0EES16_EEDaS11_S12_EUlS11_E_NS1_11comp_targetILNS1_3genE4ELNS1_11target_archE910ELNS1_3gpuE8ELNS1_3repE0EEENS1_30default_config_static_selectorELNS0_4arch9wavefront6targetE1EEEvT1_,"axG",@progbits,_ZN7rocprim17ROCPRIM_400000_NS6detail17trampoline_kernelINS0_14default_configENS1_25partition_config_selectorILNS1_17partition_subalgoE5ElNS0_10empty_typeEbEEZZNS1_14partition_implILS5_5ELb0ES3_mN6hipcub16HIPCUB_304000_NS21CountingInputIteratorIllEEPS6_NSA_22TransformInputIteratorIb7NonZeroIaEPalEENS0_5tupleIJPlS6_EEENSJ_IJSD_SD_EEES6_SK_JS6_EEE10hipError_tPvRmT3_T4_T5_T6_T7_T9_mT8_P12ihipStream_tbDpT10_ENKUlT_T0_E_clISt17integral_constantIbLb0EES16_EEDaS11_S12_EUlS11_E_NS1_11comp_targetILNS1_3genE4ELNS1_11target_archE910ELNS1_3gpuE8ELNS1_3repE0EEENS1_30default_config_static_selectorELNS0_4arch9wavefront6targetE1EEEvT1_,comdat
.Lfunc_end39:
	.size	_ZN7rocprim17ROCPRIM_400000_NS6detail17trampoline_kernelINS0_14default_configENS1_25partition_config_selectorILNS1_17partition_subalgoE5ElNS0_10empty_typeEbEEZZNS1_14partition_implILS5_5ELb0ES3_mN6hipcub16HIPCUB_304000_NS21CountingInputIteratorIllEEPS6_NSA_22TransformInputIteratorIb7NonZeroIaEPalEENS0_5tupleIJPlS6_EEENSJ_IJSD_SD_EEES6_SK_JS6_EEE10hipError_tPvRmT3_T4_T5_T6_T7_T9_mT8_P12ihipStream_tbDpT10_ENKUlT_T0_E_clISt17integral_constantIbLb0EES16_EEDaS11_S12_EUlS11_E_NS1_11comp_targetILNS1_3genE4ELNS1_11target_archE910ELNS1_3gpuE8ELNS1_3repE0EEENS1_30default_config_static_selectorELNS0_4arch9wavefront6targetE1EEEvT1_, .Lfunc_end39-_ZN7rocprim17ROCPRIM_400000_NS6detail17trampoline_kernelINS0_14default_configENS1_25partition_config_selectorILNS1_17partition_subalgoE5ElNS0_10empty_typeEbEEZZNS1_14partition_implILS5_5ELb0ES3_mN6hipcub16HIPCUB_304000_NS21CountingInputIteratorIllEEPS6_NSA_22TransformInputIteratorIb7NonZeroIaEPalEENS0_5tupleIJPlS6_EEENSJ_IJSD_SD_EEES6_SK_JS6_EEE10hipError_tPvRmT3_T4_T5_T6_T7_T9_mT8_P12ihipStream_tbDpT10_ENKUlT_T0_E_clISt17integral_constantIbLb0EES16_EEDaS11_S12_EUlS11_E_NS1_11comp_targetILNS1_3genE4ELNS1_11target_archE910ELNS1_3gpuE8ELNS1_3repE0EEENS1_30default_config_static_selectorELNS0_4arch9wavefront6targetE1EEEvT1_
                                        ; -- End function
	.set _ZN7rocprim17ROCPRIM_400000_NS6detail17trampoline_kernelINS0_14default_configENS1_25partition_config_selectorILNS1_17partition_subalgoE5ElNS0_10empty_typeEbEEZZNS1_14partition_implILS5_5ELb0ES3_mN6hipcub16HIPCUB_304000_NS21CountingInputIteratorIllEEPS6_NSA_22TransformInputIteratorIb7NonZeroIaEPalEENS0_5tupleIJPlS6_EEENSJ_IJSD_SD_EEES6_SK_JS6_EEE10hipError_tPvRmT3_T4_T5_T6_T7_T9_mT8_P12ihipStream_tbDpT10_ENKUlT_T0_E_clISt17integral_constantIbLb0EES16_EEDaS11_S12_EUlS11_E_NS1_11comp_targetILNS1_3genE4ELNS1_11target_archE910ELNS1_3gpuE8ELNS1_3repE0EEENS1_30default_config_static_selectorELNS0_4arch9wavefront6targetE1EEEvT1_.num_vgpr, 0
	.set _ZN7rocprim17ROCPRIM_400000_NS6detail17trampoline_kernelINS0_14default_configENS1_25partition_config_selectorILNS1_17partition_subalgoE5ElNS0_10empty_typeEbEEZZNS1_14partition_implILS5_5ELb0ES3_mN6hipcub16HIPCUB_304000_NS21CountingInputIteratorIllEEPS6_NSA_22TransformInputIteratorIb7NonZeroIaEPalEENS0_5tupleIJPlS6_EEENSJ_IJSD_SD_EEES6_SK_JS6_EEE10hipError_tPvRmT3_T4_T5_T6_T7_T9_mT8_P12ihipStream_tbDpT10_ENKUlT_T0_E_clISt17integral_constantIbLb0EES16_EEDaS11_S12_EUlS11_E_NS1_11comp_targetILNS1_3genE4ELNS1_11target_archE910ELNS1_3gpuE8ELNS1_3repE0EEENS1_30default_config_static_selectorELNS0_4arch9wavefront6targetE1EEEvT1_.num_agpr, 0
	.set _ZN7rocprim17ROCPRIM_400000_NS6detail17trampoline_kernelINS0_14default_configENS1_25partition_config_selectorILNS1_17partition_subalgoE5ElNS0_10empty_typeEbEEZZNS1_14partition_implILS5_5ELb0ES3_mN6hipcub16HIPCUB_304000_NS21CountingInputIteratorIllEEPS6_NSA_22TransformInputIteratorIb7NonZeroIaEPalEENS0_5tupleIJPlS6_EEENSJ_IJSD_SD_EEES6_SK_JS6_EEE10hipError_tPvRmT3_T4_T5_T6_T7_T9_mT8_P12ihipStream_tbDpT10_ENKUlT_T0_E_clISt17integral_constantIbLb0EES16_EEDaS11_S12_EUlS11_E_NS1_11comp_targetILNS1_3genE4ELNS1_11target_archE910ELNS1_3gpuE8ELNS1_3repE0EEENS1_30default_config_static_selectorELNS0_4arch9wavefront6targetE1EEEvT1_.numbered_sgpr, 0
	.set _ZN7rocprim17ROCPRIM_400000_NS6detail17trampoline_kernelINS0_14default_configENS1_25partition_config_selectorILNS1_17partition_subalgoE5ElNS0_10empty_typeEbEEZZNS1_14partition_implILS5_5ELb0ES3_mN6hipcub16HIPCUB_304000_NS21CountingInputIteratorIllEEPS6_NSA_22TransformInputIteratorIb7NonZeroIaEPalEENS0_5tupleIJPlS6_EEENSJ_IJSD_SD_EEES6_SK_JS6_EEE10hipError_tPvRmT3_T4_T5_T6_T7_T9_mT8_P12ihipStream_tbDpT10_ENKUlT_T0_E_clISt17integral_constantIbLb0EES16_EEDaS11_S12_EUlS11_E_NS1_11comp_targetILNS1_3genE4ELNS1_11target_archE910ELNS1_3gpuE8ELNS1_3repE0EEENS1_30default_config_static_selectorELNS0_4arch9wavefront6targetE1EEEvT1_.num_named_barrier, 0
	.set _ZN7rocprim17ROCPRIM_400000_NS6detail17trampoline_kernelINS0_14default_configENS1_25partition_config_selectorILNS1_17partition_subalgoE5ElNS0_10empty_typeEbEEZZNS1_14partition_implILS5_5ELb0ES3_mN6hipcub16HIPCUB_304000_NS21CountingInputIteratorIllEEPS6_NSA_22TransformInputIteratorIb7NonZeroIaEPalEENS0_5tupleIJPlS6_EEENSJ_IJSD_SD_EEES6_SK_JS6_EEE10hipError_tPvRmT3_T4_T5_T6_T7_T9_mT8_P12ihipStream_tbDpT10_ENKUlT_T0_E_clISt17integral_constantIbLb0EES16_EEDaS11_S12_EUlS11_E_NS1_11comp_targetILNS1_3genE4ELNS1_11target_archE910ELNS1_3gpuE8ELNS1_3repE0EEENS1_30default_config_static_selectorELNS0_4arch9wavefront6targetE1EEEvT1_.private_seg_size, 0
	.set _ZN7rocprim17ROCPRIM_400000_NS6detail17trampoline_kernelINS0_14default_configENS1_25partition_config_selectorILNS1_17partition_subalgoE5ElNS0_10empty_typeEbEEZZNS1_14partition_implILS5_5ELb0ES3_mN6hipcub16HIPCUB_304000_NS21CountingInputIteratorIllEEPS6_NSA_22TransformInputIteratorIb7NonZeroIaEPalEENS0_5tupleIJPlS6_EEENSJ_IJSD_SD_EEES6_SK_JS6_EEE10hipError_tPvRmT3_T4_T5_T6_T7_T9_mT8_P12ihipStream_tbDpT10_ENKUlT_T0_E_clISt17integral_constantIbLb0EES16_EEDaS11_S12_EUlS11_E_NS1_11comp_targetILNS1_3genE4ELNS1_11target_archE910ELNS1_3gpuE8ELNS1_3repE0EEENS1_30default_config_static_selectorELNS0_4arch9wavefront6targetE1EEEvT1_.uses_vcc, 0
	.set _ZN7rocprim17ROCPRIM_400000_NS6detail17trampoline_kernelINS0_14default_configENS1_25partition_config_selectorILNS1_17partition_subalgoE5ElNS0_10empty_typeEbEEZZNS1_14partition_implILS5_5ELb0ES3_mN6hipcub16HIPCUB_304000_NS21CountingInputIteratorIllEEPS6_NSA_22TransformInputIteratorIb7NonZeroIaEPalEENS0_5tupleIJPlS6_EEENSJ_IJSD_SD_EEES6_SK_JS6_EEE10hipError_tPvRmT3_T4_T5_T6_T7_T9_mT8_P12ihipStream_tbDpT10_ENKUlT_T0_E_clISt17integral_constantIbLb0EES16_EEDaS11_S12_EUlS11_E_NS1_11comp_targetILNS1_3genE4ELNS1_11target_archE910ELNS1_3gpuE8ELNS1_3repE0EEENS1_30default_config_static_selectorELNS0_4arch9wavefront6targetE1EEEvT1_.uses_flat_scratch, 0
	.set _ZN7rocprim17ROCPRIM_400000_NS6detail17trampoline_kernelINS0_14default_configENS1_25partition_config_selectorILNS1_17partition_subalgoE5ElNS0_10empty_typeEbEEZZNS1_14partition_implILS5_5ELb0ES3_mN6hipcub16HIPCUB_304000_NS21CountingInputIteratorIllEEPS6_NSA_22TransformInputIteratorIb7NonZeroIaEPalEENS0_5tupleIJPlS6_EEENSJ_IJSD_SD_EEES6_SK_JS6_EEE10hipError_tPvRmT3_T4_T5_T6_T7_T9_mT8_P12ihipStream_tbDpT10_ENKUlT_T0_E_clISt17integral_constantIbLb0EES16_EEDaS11_S12_EUlS11_E_NS1_11comp_targetILNS1_3genE4ELNS1_11target_archE910ELNS1_3gpuE8ELNS1_3repE0EEENS1_30default_config_static_selectorELNS0_4arch9wavefront6targetE1EEEvT1_.has_dyn_sized_stack, 0
	.set _ZN7rocprim17ROCPRIM_400000_NS6detail17trampoline_kernelINS0_14default_configENS1_25partition_config_selectorILNS1_17partition_subalgoE5ElNS0_10empty_typeEbEEZZNS1_14partition_implILS5_5ELb0ES3_mN6hipcub16HIPCUB_304000_NS21CountingInputIteratorIllEEPS6_NSA_22TransformInputIteratorIb7NonZeroIaEPalEENS0_5tupleIJPlS6_EEENSJ_IJSD_SD_EEES6_SK_JS6_EEE10hipError_tPvRmT3_T4_T5_T6_T7_T9_mT8_P12ihipStream_tbDpT10_ENKUlT_T0_E_clISt17integral_constantIbLb0EES16_EEDaS11_S12_EUlS11_E_NS1_11comp_targetILNS1_3genE4ELNS1_11target_archE910ELNS1_3gpuE8ELNS1_3repE0EEENS1_30default_config_static_selectorELNS0_4arch9wavefront6targetE1EEEvT1_.has_recursion, 0
	.set _ZN7rocprim17ROCPRIM_400000_NS6detail17trampoline_kernelINS0_14default_configENS1_25partition_config_selectorILNS1_17partition_subalgoE5ElNS0_10empty_typeEbEEZZNS1_14partition_implILS5_5ELb0ES3_mN6hipcub16HIPCUB_304000_NS21CountingInputIteratorIllEEPS6_NSA_22TransformInputIteratorIb7NonZeroIaEPalEENS0_5tupleIJPlS6_EEENSJ_IJSD_SD_EEES6_SK_JS6_EEE10hipError_tPvRmT3_T4_T5_T6_T7_T9_mT8_P12ihipStream_tbDpT10_ENKUlT_T0_E_clISt17integral_constantIbLb0EES16_EEDaS11_S12_EUlS11_E_NS1_11comp_targetILNS1_3genE4ELNS1_11target_archE910ELNS1_3gpuE8ELNS1_3repE0EEENS1_30default_config_static_selectorELNS0_4arch9wavefront6targetE1EEEvT1_.has_indirect_call, 0
	.section	.AMDGPU.csdata,"",@progbits
; Kernel info:
; codeLenInByte = 0
; TotalNumSgprs: 4
; NumVgprs: 0
; ScratchSize: 0
; MemoryBound: 0
; FloatMode: 240
; IeeeMode: 1
; LDSByteSize: 0 bytes/workgroup (compile time only)
; SGPRBlocks: 0
; VGPRBlocks: 0
; NumSGPRsForWavesPerEU: 4
; NumVGPRsForWavesPerEU: 1
; Occupancy: 10
; WaveLimiterHint : 0
; COMPUTE_PGM_RSRC2:SCRATCH_EN: 0
; COMPUTE_PGM_RSRC2:USER_SGPR: 6
; COMPUTE_PGM_RSRC2:TRAP_HANDLER: 0
; COMPUTE_PGM_RSRC2:TGID_X_EN: 1
; COMPUTE_PGM_RSRC2:TGID_Y_EN: 0
; COMPUTE_PGM_RSRC2:TGID_Z_EN: 0
; COMPUTE_PGM_RSRC2:TIDIG_COMP_CNT: 0
	.section	.text._ZN7rocprim17ROCPRIM_400000_NS6detail17trampoline_kernelINS0_14default_configENS1_25partition_config_selectorILNS1_17partition_subalgoE5ElNS0_10empty_typeEbEEZZNS1_14partition_implILS5_5ELb0ES3_mN6hipcub16HIPCUB_304000_NS21CountingInputIteratorIllEEPS6_NSA_22TransformInputIteratorIb7NonZeroIaEPalEENS0_5tupleIJPlS6_EEENSJ_IJSD_SD_EEES6_SK_JS6_EEE10hipError_tPvRmT3_T4_T5_T6_T7_T9_mT8_P12ihipStream_tbDpT10_ENKUlT_T0_E_clISt17integral_constantIbLb0EES16_EEDaS11_S12_EUlS11_E_NS1_11comp_targetILNS1_3genE3ELNS1_11target_archE908ELNS1_3gpuE7ELNS1_3repE0EEENS1_30default_config_static_selectorELNS0_4arch9wavefront6targetE1EEEvT1_,"axG",@progbits,_ZN7rocprim17ROCPRIM_400000_NS6detail17trampoline_kernelINS0_14default_configENS1_25partition_config_selectorILNS1_17partition_subalgoE5ElNS0_10empty_typeEbEEZZNS1_14partition_implILS5_5ELb0ES3_mN6hipcub16HIPCUB_304000_NS21CountingInputIteratorIllEEPS6_NSA_22TransformInputIteratorIb7NonZeroIaEPalEENS0_5tupleIJPlS6_EEENSJ_IJSD_SD_EEES6_SK_JS6_EEE10hipError_tPvRmT3_T4_T5_T6_T7_T9_mT8_P12ihipStream_tbDpT10_ENKUlT_T0_E_clISt17integral_constantIbLb0EES16_EEDaS11_S12_EUlS11_E_NS1_11comp_targetILNS1_3genE3ELNS1_11target_archE908ELNS1_3gpuE7ELNS1_3repE0EEENS1_30default_config_static_selectorELNS0_4arch9wavefront6targetE1EEEvT1_,comdat
	.protected	_ZN7rocprim17ROCPRIM_400000_NS6detail17trampoline_kernelINS0_14default_configENS1_25partition_config_selectorILNS1_17partition_subalgoE5ElNS0_10empty_typeEbEEZZNS1_14partition_implILS5_5ELb0ES3_mN6hipcub16HIPCUB_304000_NS21CountingInputIteratorIllEEPS6_NSA_22TransformInputIteratorIb7NonZeroIaEPalEENS0_5tupleIJPlS6_EEENSJ_IJSD_SD_EEES6_SK_JS6_EEE10hipError_tPvRmT3_T4_T5_T6_T7_T9_mT8_P12ihipStream_tbDpT10_ENKUlT_T0_E_clISt17integral_constantIbLb0EES16_EEDaS11_S12_EUlS11_E_NS1_11comp_targetILNS1_3genE3ELNS1_11target_archE908ELNS1_3gpuE7ELNS1_3repE0EEENS1_30default_config_static_selectorELNS0_4arch9wavefront6targetE1EEEvT1_ ; -- Begin function _ZN7rocprim17ROCPRIM_400000_NS6detail17trampoline_kernelINS0_14default_configENS1_25partition_config_selectorILNS1_17partition_subalgoE5ElNS0_10empty_typeEbEEZZNS1_14partition_implILS5_5ELb0ES3_mN6hipcub16HIPCUB_304000_NS21CountingInputIteratorIllEEPS6_NSA_22TransformInputIteratorIb7NonZeroIaEPalEENS0_5tupleIJPlS6_EEENSJ_IJSD_SD_EEES6_SK_JS6_EEE10hipError_tPvRmT3_T4_T5_T6_T7_T9_mT8_P12ihipStream_tbDpT10_ENKUlT_T0_E_clISt17integral_constantIbLb0EES16_EEDaS11_S12_EUlS11_E_NS1_11comp_targetILNS1_3genE3ELNS1_11target_archE908ELNS1_3gpuE7ELNS1_3repE0EEENS1_30default_config_static_selectorELNS0_4arch9wavefront6targetE1EEEvT1_
	.globl	_ZN7rocprim17ROCPRIM_400000_NS6detail17trampoline_kernelINS0_14default_configENS1_25partition_config_selectorILNS1_17partition_subalgoE5ElNS0_10empty_typeEbEEZZNS1_14partition_implILS5_5ELb0ES3_mN6hipcub16HIPCUB_304000_NS21CountingInputIteratorIllEEPS6_NSA_22TransformInputIteratorIb7NonZeroIaEPalEENS0_5tupleIJPlS6_EEENSJ_IJSD_SD_EEES6_SK_JS6_EEE10hipError_tPvRmT3_T4_T5_T6_T7_T9_mT8_P12ihipStream_tbDpT10_ENKUlT_T0_E_clISt17integral_constantIbLb0EES16_EEDaS11_S12_EUlS11_E_NS1_11comp_targetILNS1_3genE3ELNS1_11target_archE908ELNS1_3gpuE7ELNS1_3repE0EEENS1_30default_config_static_selectorELNS0_4arch9wavefront6targetE1EEEvT1_
	.p2align	8
	.type	_ZN7rocprim17ROCPRIM_400000_NS6detail17trampoline_kernelINS0_14default_configENS1_25partition_config_selectorILNS1_17partition_subalgoE5ElNS0_10empty_typeEbEEZZNS1_14partition_implILS5_5ELb0ES3_mN6hipcub16HIPCUB_304000_NS21CountingInputIteratorIllEEPS6_NSA_22TransformInputIteratorIb7NonZeroIaEPalEENS0_5tupleIJPlS6_EEENSJ_IJSD_SD_EEES6_SK_JS6_EEE10hipError_tPvRmT3_T4_T5_T6_T7_T9_mT8_P12ihipStream_tbDpT10_ENKUlT_T0_E_clISt17integral_constantIbLb0EES16_EEDaS11_S12_EUlS11_E_NS1_11comp_targetILNS1_3genE3ELNS1_11target_archE908ELNS1_3gpuE7ELNS1_3repE0EEENS1_30default_config_static_selectorELNS0_4arch9wavefront6targetE1EEEvT1_,@function
_ZN7rocprim17ROCPRIM_400000_NS6detail17trampoline_kernelINS0_14default_configENS1_25partition_config_selectorILNS1_17partition_subalgoE5ElNS0_10empty_typeEbEEZZNS1_14partition_implILS5_5ELb0ES3_mN6hipcub16HIPCUB_304000_NS21CountingInputIteratorIllEEPS6_NSA_22TransformInputIteratorIb7NonZeroIaEPalEENS0_5tupleIJPlS6_EEENSJ_IJSD_SD_EEES6_SK_JS6_EEE10hipError_tPvRmT3_T4_T5_T6_T7_T9_mT8_P12ihipStream_tbDpT10_ENKUlT_T0_E_clISt17integral_constantIbLb0EES16_EEDaS11_S12_EUlS11_E_NS1_11comp_targetILNS1_3genE3ELNS1_11target_archE908ELNS1_3gpuE7ELNS1_3repE0EEENS1_30default_config_static_selectorELNS0_4arch9wavefront6targetE1EEEvT1_: ; @_ZN7rocprim17ROCPRIM_400000_NS6detail17trampoline_kernelINS0_14default_configENS1_25partition_config_selectorILNS1_17partition_subalgoE5ElNS0_10empty_typeEbEEZZNS1_14partition_implILS5_5ELb0ES3_mN6hipcub16HIPCUB_304000_NS21CountingInputIteratorIllEEPS6_NSA_22TransformInputIteratorIb7NonZeroIaEPalEENS0_5tupleIJPlS6_EEENSJ_IJSD_SD_EEES6_SK_JS6_EEE10hipError_tPvRmT3_T4_T5_T6_T7_T9_mT8_P12ihipStream_tbDpT10_ENKUlT_T0_E_clISt17integral_constantIbLb0EES16_EEDaS11_S12_EUlS11_E_NS1_11comp_targetILNS1_3genE3ELNS1_11target_archE908ELNS1_3gpuE7ELNS1_3repE0EEENS1_30default_config_static_selectorELNS0_4arch9wavefront6targetE1EEEvT1_
; %bb.0:
	.section	.rodata,"a",@progbits
	.p2align	6, 0x0
	.amdhsa_kernel _ZN7rocprim17ROCPRIM_400000_NS6detail17trampoline_kernelINS0_14default_configENS1_25partition_config_selectorILNS1_17partition_subalgoE5ElNS0_10empty_typeEbEEZZNS1_14partition_implILS5_5ELb0ES3_mN6hipcub16HIPCUB_304000_NS21CountingInputIteratorIllEEPS6_NSA_22TransformInputIteratorIb7NonZeroIaEPalEENS0_5tupleIJPlS6_EEENSJ_IJSD_SD_EEES6_SK_JS6_EEE10hipError_tPvRmT3_T4_T5_T6_T7_T9_mT8_P12ihipStream_tbDpT10_ENKUlT_T0_E_clISt17integral_constantIbLb0EES16_EEDaS11_S12_EUlS11_E_NS1_11comp_targetILNS1_3genE3ELNS1_11target_archE908ELNS1_3gpuE7ELNS1_3repE0EEENS1_30default_config_static_selectorELNS0_4arch9wavefront6targetE1EEEvT1_
		.amdhsa_group_segment_fixed_size 0
		.amdhsa_private_segment_fixed_size 0
		.amdhsa_kernarg_size 120
		.amdhsa_user_sgpr_count 6
		.amdhsa_user_sgpr_private_segment_buffer 1
		.amdhsa_user_sgpr_dispatch_ptr 0
		.amdhsa_user_sgpr_queue_ptr 0
		.amdhsa_user_sgpr_kernarg_segment_ptr 1
		.amdhsa_user_sgpr_dispatch_id 0
		.amdhsa_user_sgpr_flat_scratch_init 0
		.amdhsa_user_sgpr_private_segment_size 0
		.amdhsa_uses_dynamic_stack 0
		.amdhsa_system_sgpr_private_segment_wavefront_offset 0
		.amdhsa_system_sgpr_workgroup_id_x 1
		.amdhsa_system_sgpr_workgroup_id_y 0
		.amdhsa_system_sgpr_workgroup_id_z 0
		.amdhsa_system_sgpr_workgroup_info 0
		.amdhsa_system_vgpr_workitem_id 0
		.amdhsa_next_free_vgpr 1
		.amdhsa_next_free_sgpr 0
		.amdhsa_reserve_vcc 0
		.amdhsa_reserve_flat_scratch 0
		.amdhsa_float_round_mode_32 0
		.amdhsa_float_round_mode_16_64 0
		.amdhsa_float_denorm_mode_32 3
		.amdhsa_float_denorm_mode_16_64 3
		.amdhsa_dx10_clamp 1
		.amdhsa_ieee_mode 1
		.amdhsa_fp16_overflow 0
		.amdhsa_exception_fp_ieee_invalid_op 0
		.amdhsa_exception_fp_denorm_src 0
		.amdhsa_exception_fp_ieee_div_zero 0
		.amdhsa_exception_fp_ieee_overflow 0
		.amdhsa_exception_fp_ieee_underflow 0
		.amdhsa_exception_fp_ieee_inexact 0
		.amdhsa_exception_int_div_zero 0
	.end_amdhsa_kernel
	.section	.text._ZN7rocprim17ROCPRIM_400000_NS6detail17trampoline_kernelINS0_14default_configENS1_25partition_config_selectorILNS1_17partition_subalgoE5ElNS0_10empty_typeEbEEZZNS1_14partition_implILS5_5ELb0ES3_mN6hipcub16HIPCUB_304000_NS21CountingInputIteratorIllEEPS6_NSA_22TransformInputIteratorIb7NonZeroIaEPalEENS0_5tupleIJPlS6_EEENSJ_IJSD_SD_EEES6_SK_JS6_EEE10hipError_tPvRmT3_T4_T5_T6_T7_T9_mT8_P12ihipStream_tbDpT10_ENKUlT_T0_E_clISt17integral_constantIbLb0EES16_EEDaS11_S12_EUlS11_E_NS1_11comp_targetILNS1_3genE3ELNS1_11target_archE908ELNS1_3gpuE7ELNS1_3repE0EEENS1_30default_config_static_selectorELNS0_4arch9wavefront6targetE1EEEvT1_,"axG",@progbits,_ZN7rocprim17ROCPRIM_400000_NS6detail17trampoline_kernelINS0_14default_configENS1_25partition_config_selectorILNS1_17partition_subalgoE5ElNS0_10empty_typeEbEEZZNS1_14partition_implILS5_5ELb0ES3_mN6hipcub16HIPCUB_304000_NS21CountingInputIteratorIllEEPS6_NSA_22TransformInputIteratorIb7NonZeroIaEPalEENS0_5tupleIJPlS6_EEENSJ_IJSD_SD_EEES6_SK_JS6_EEE10hipError_tPvRmT3_T4_T5_T6_T7_T9_mT8_P12ihipStream_tbDpT10_ENKUlT_T0_E_clISt17integral_constantIbLb0EES16_EEDaS11_S12_EUlS11_E_NS1_11comp_targetILNS1_3genE3ELNS1_11target_archE908ELNS1_3gpuE7ELNS1_3repE0EEENS1_30default_config_static_selectorELNS0_4arch9wavefront6targetE1EEEvT1_,comdat
.Lfunc_end40:
	.size	_ZN7rocprim17ROCPRIM_400000_NS6detail17trampoline_kernelINS0_14default_configENS1_25partition_config_selectorILNS1_17partition_subalgoE5ElNS0_10empty_typeEbEEZZNS1_14partition_implILS5_5ELb0ES3_mN6hipcub16HIPCUB_304000_NS21CountingInputIteratorIllEEPS6_NSA_22TransformInputIteratorIb7NonZeroIaEPalEENS0_5tupleIJPlS6_EEENSJ_IJSD_SD_EEES6_SK_JS6_EEE10hipError_tPvRmT3_T4_T5_T6_T7_T9_mT8_P12ihipStream_tbDpT10_ENKUlT_T0_E_clISt17integral_constantIbLb0EES16_EEDaS11_S12_EUlS11_E_NS1_11comp_targetILNS1_3genE3ELNS1_11target_archE908ELNS1_3gpuE7ELNS1_3repE0EEENS1_30default_config_static_selectorELNS0_4arch9wavefront6targetE1EEEvT1_, .Lfunc_end40-_ZN7rocprim17ROCPRIM_400000_NS6detail17trampoline_kernelINS0_14default_configENS1_25partition_config_selectorILNS1_17partition_subalgoE5ElNS0_10empty_typeEbEEZZNS1_14partition_implILS5_5ELb0ES3_mN6hipcub16HIPCUB_304000_NS21CountingInputIteratorIllEEPS6_NSA_22TransformInputIteratorIb7NonZeroIaEPalEENS0_5tupleIJPlS6_EEENSJ_IJSD_SD_EEES6_SK_JS6_EEE10hipError_tPvRmT3_T4_T5_T6_T7_T9_mT8_P12ihipStream_tbDpT10_ENKUlT_T0_E_clISt17integral_constantIbLb0EES16_EEDaS11_S12_EUlS11_E_NS1_11comp_targetILNS1_3genE3ELNS1_11target_archE908ELNS1_3gpuE7ELNS1_3repE0EEENS1_30default_config_static_selectorELNS0_4arch9wavefront6targetE1EEEvT1_
                                        ; -- End function
	.set _ZN7rocprim17ROCPRIM_400000_NS6detail17trampoline_kernelINS0_14default_configENS1_25partition_config_selectorILNS1_17partition_subalgoE5ElNS0_10empty_typeEbEEZZNS1_14partition_implILS5_5ELb0ES3_mN6hipcub16HIPCUB_304000_NS21CountingInputIteratorIllEEPS6_NSA_22TransformInputIteratorIb7NonZeroIaEPalEENS0_5tupleIJPlS6_EEENSJ_IJSD_SD_EEES6_SK_JS6_EEE10hipError_tPvRmT3_T4_T5_T6_T7_T9_mT8_P12ihipStream_tbDpT10_ENKUlT_T0_E_clISt17integral_constantIbLb0EES16_EEDaS11_S12_EUlS11_E_NS1_11comp_targetILNS1_3genE3ELNS1_11target_archE908ELNS1_3gpuE7ELNS1_3repE0EEENS1_30default_config_static_selectorELNS0_4arch9wavefront6targetE1EEEvT1_.num_vgpr, 0
	.set _ZN7rocprim17ROCPRIM_400000_NS6detail17trampoline_kernelINS0_14default_configENS1_25partition_config_selectorILNS1_17partition_subalgoE5ElNS0_10empty_typeEbEEZZNS1_14partition_implILS5_5ELb0ES3_mN6hipcub16HIPCUB_304000_NS21CountingInputIteratorIllEEPS6_NSA_22TransformInputIteratorIb7NonZeroIaEPalEENS0_5tupleIJPlS6_EEENSJ_IJSD_SD_EEES6_SK_JS6_EEE10hipError_tPvRmT3_T4_T5_T6_T7_T9_mT8_P12ihipStream_tbDpT10_ENKUlT_T0_E_clISt17integral_constantIbLb0EES16_EEDaS11_S12_EUlS11_E_NS1_11comp_targetILNS1_3genE3ELNS1_11target_archE908ELNS1_3gpuE7ELNS1_3repE0EEENS1_30default_config_static_selectorELNS0_4arch9wavefront6targetE1EEEvT1_.num_agpr, 0
	.set _ZN7rocprim17ROCPRIM_400000_NS6detail17trampoline_kernelINS0_14default_configENS1_25partition_config_selectorILNS1_17partition_subalgoE5ElNS0_10empty_typeEbEEZZNS1_14partition_implILS5_5ELb0ES3_mN6hipcub16HIPCUB_304000_NS21CountingInputIteratorIllEEPS6_NSA_22TransformInputIteratorIb7NonZeroIaEPalEENS0_5tupleIJPlS6_EEENSJ_IJSD_SD_EEES6_SK_JS6_EEE10hipError_tPvRmT3_T4_T5_T6_T7_T9_mT8_P12ihipStream_tbDpT10_ENKUlT_T0_E_clISt17integral_constantIbLb0EES16_EEDaS11_S12_EUlS11_E_NS1_11comp_targetILNS1_3genE3ELNS1_11target_archE908ELNS1_3gpuE7ELNS1_3repE0EEENS1_30default_config_static_selectorELNS0_4arch9wavefront6targetE1EEEvT1_.numbered_sgpr, 0
	.set _ZN7rocprim17ROCPRIM_400000_NS6detail17trampoline_kernelINS0_14default_configENS1_25partition_config_selectorILNS1_17partition_subalgoE5ElNS0_10empty_typeEbEEZZNS1_14partition_implILS5_5ELb0ES3_mN6hipcub16HIPCUB_304000_NS21CountingInputIteratorIllEEPS6_NSA_22TransformInputIteratorIb7NonZeroIaEPalEENS0_5tupleIJPlS6_EEENSJ_IJSD_SD_EEES6_SK_JS6_EEE10hipError_tPvRmT3_T4_T5_T6_T7_T9_mT8_P12ihipStream_tbDpT10_ENKUlT_T0_E_clISt17integral_constantIbLb0EES16_EEDaS11_S12_EUlS11_E_NS1_11comp_targetILNS1_3genE3ELNS1_11target_archE908ELNS1_3gpuE7ELNS1_3repE0EEENS1_30default_config_static_selectorELNS0_4arch9wavefront6targetE1EEEvT1_.num_named_barrier, 0
	.set _ZN7rocprim17ROCPRIM_400000_NS6detail17trampoline_kernelINS0_14default_configENS1_25partition_config_selectorILNS1_17partition_subalgoE5ElNS0_10empty_typeEbEEZZNS1_14partition_implILS5_5ELb0ES3_mN6hipcub16HIPCUB_304000_NS21CountingInputIteratorIllEEPS6_NSA_22TransformInputIteratorIb7NonZeroIaEPalEENS0_5tupleIJPlS6_EEENSJ_IJSD_SD_EEES6_SK_JS6_EEE10hipError_tPvRmT3_T4_T5_T6_T7_T9_mT8_P12ihipStream_tbDpT10_ENKUlT_T0_E_clISt17integral_constantIbLb0EES16_EEDaS11_S12_EUlS11_E_NS1_11comp_targetILNS1_3genE3ELNS1_11target_archE908ELNS1_3gpuE7ELNS1_3repE0EEENS1_30default_config_static_selectorELNS0_4arch9wavefront6targetE1EEEvT1_.private_seg_size, 0
	.set _ZN7rocprim17ROCPRIM_400000_NS6detail17trampoline_kernelINS0_14default_configENS1_25partition_config_selectorILNS1_17partition_subalgoE5ElNS0_10empty_typeEbEEZZNS1_14partition_implILS5_5ELb0ES3_mN6hipcub16HIPCUB_304000_NS21CountingInputIteratorIllEEPS6_NSA_22TransformInputIteratorIb7NonZeroIaEPalEENS0_5tupleIJPlS6_EEENSJ_IJSD_SD_EEES6_SK_JS6_EEE10hipError_tPvRmT3_T4_T5_T6_T7_T9_mT8_P12ihipStream_tbDpT10_ENKUlT_T0_E_clISt17integral_constantIbLb0EES16_EEDaS11_S12_EUlS11_E_NS1_11comp_targetILNS1_3genE3ELNS1_11target_archE908ELNS1_3gpuE7ELNS1_3repE0EEENS1_30default_config_static_selectorELNS0_4arch9wavefront6targetE1EEEvT1_.uses_vcc, 0
	.set _ZN7rocprim17ROCPRIM_400000_NS6detail17trampoline_kernelINS0_14default_configENS1_25partition_config_selectorILNS1_17partition_subalgoE5ElNS0_10empty_typeEbEEZZNS1_14partition_implILS5_5ELb0ES3_mN6hipcub16HIPCUB_304000_NS21CountingInputIteratorIllEEPS6_NSA_22TransformInputIteratorIb7NonZeroIaEPalEENS0_5tupleIJPlS6_EEENSJ_IJSD_SD_EEES6_SK_JS6_EEE10hipError_tPvRmT3_T4_T5_T6_T7_T9_mT8_P12ihipStream_tbDpT10_ENKUlT_T0_E_clISt17integral_constantIbLb0EES16_EEDaS11_S12_EUlS11_E_NS1_11comp_targetILNS1_3genE3ELNS1_11target_archE908ELNS1_3gpuE7ELNS1_3repE0EEENS1_30default_config_static_selectorELNS0_4arch9wavefront6targetE1EEEvT1_.uses_flat_scratch, 0
	.set _ZN7rocprim17ROCPRIM_400000_NS6detail17trampoline_kernelINS0_14default_configENS1_25partition_config_selectorILNS1_17partition_subalgoE5ElNS0_10empty_typeEbEEZZNS1_14partition_implILS5_5ELb0ES3_mN6hipcub16HIPCUB_304000_NS21CountingInputIteratorIllEEPS6_NSA_22TransformInputIteratorIb7NonZeroIaEPalEENS0_5tupleIJPlS6_EEENSJ_IJSD_SD_EEES6_SK_JS6_EEE10hipError_tPvRmT3_T4_T5_T6_T7_T9_mT8_P12ihipStream_tbDpT10_ENKUlT_T0_E_clISt17integral_constantIbLb0EES16_EEDaS11_S12_EUlS11_E_NS1_11comp_targetILNS1_3genE3ELNS1_11target_archE908ELNS1_3gpuE7ELNS1_3repE0EEENS1_30default_config_static_selectorELNS0_4arch9wavefront6targetE1EEEvT1_.has_dyn_sized_stack, 0
	.set _ZN7rocprim17ROCPRIM_400000_NS6detail17trampoline_kernelINS0_14default_configENS1_25partition_config_selectorILNS1_17partition_subalgoE5ElNS0_10empty_typeEbEEZZNS1_14partition_implILS5_5ELb0ES3_mN6hipcub16HIPCUB_304000_NS21CountingInputIteratorIllEEPS6_NSA_22TransformInputIteratorIb7NonZeroIaEPalEENS0_5tupleIJPlS6_EEENSJ_IJSD_SD_EEES6_SK_JS6_EEE10hipError_tPvRmT3_T4_T5_T6_T7_T9_mT8_P12ihipStream_tbDpT10_ENKUlT_T0_E_clISt17integral_constantIbLb0EES16_EEDaS11_S12_EUlS11_E_NS1_11comp_targetILNS1_3genE3ELNS1_11target_archE908ELNS1_3gpuE7ELNS1_3repE0EEENS1_30default_config_static_selectorELNS0_4arch9wavefront6targetE1EEEvT1_.has_recursion, 0
	.set _ZN7rocprim17ROCPRIM_400000_NS6detail17trampoline_kernelINS0_14default_configENS1_25partition_config_selectorILNS1_17partition_subalgoE5ElNS0_10empty_typeEbEEZZNS1_14partition_implILS5_5ELb0ES3_mN6hipcub16HIPCUB_304000_NS21CountingInputIteratorIllEEPS6_NSA_22TransformInputIteratorIb7NonZeroIaEPalEENS0_5tupleIJPlS6_EEENSJ_IJSD_SD_EEES6_SK_JS6_EEE10hipError_tPvRmT3_T4_T5_T6_T7_T9_mT8_P12ihipStream_tbDpT10_ENKUlT_T0_E_clISt17integral_constantIbLb0EES16_EEDaS11_S12_EUlS11_E_NS1_11comp_targetILNS1_3genE3ELNS1_11target_archE908ELNS1_3gpuE7ELNS1_3repE0EEENS1_30default_config_static_selectorELNS0_4arch9wavefront6targetE1EEEvT1_.has_indirect_call, 0
	.section	.AMDGPU.csdata,"",@progbits
; Kernel info:
; codeLenInByte = 0
; TotalNumSgprs: 4
; NumVgprs: 0
; ScratchSize: 0
; MemoryBound: 0
; FloatMode: 240
; IeeeMode: 1
; LDSByteSize: 0 bytes/workgroup (compile time only)
; SGPRBlocks: 0
; VGPRBlocks: 0
; NumSGPRsForWavesPerEU: 4
; NumVGPRsForWavesPerEU: 1
; Occupancy: 10
; WaveLimiterHint : 0
; COMPUTE_PGM_RSRC2:SCRATCH_EN: 0
; COMPUTE_PGM_RSRC2:USER_SGPR: 6
; COMPUTE_PGM_RSRC2:TRAP_HANDLER: 0
; COMPUTE_PGM_RSRC2:TGID_X_EN: 1
; COMPUTE_PGM_RSRC2:TGID_Y_EN: 0
; COMPUTE_PGM_RSRC2:TGID_Z_EN: 0
; COMPUTE_PGM_RSRC2:TIDIG_COMP_CNT: 0
	.section	.text._ZN7rocprim17ROCPRIM_400000_NS6detail17trampoline_kernelINS0_14default_configENS1_25partition_config_selectorILNS1_17partition_subalgoE5ElNS0_10empty_typeEbEEZZNS1_14partition_implILS5_5ELb0ES3_mN6hipcub16HIPCUB_304000_NS21CountingInputIteratorIllEEPS6_NSA_22TransformInputIteratorIb7NonZeroIaEPalEENS0_5tupleIJPlS6_EEENSJ_IJSD_SD_EEES6_SK_JS6_EEE10hipError_tPvRmT3_T4_T5_T6_T7_T9_mT8_P12ihipStream_tbDpT10_ENKUlT_T0_E_clISt17integral_constantIbLb0EES16_EEDaS11_S12_EUlS11_E_NS1_11comp_targetILNS1_3genE2ELNS1_11target_archE906ELNS1_3gpuE6ELNS1_3repE0EEENS1_30default_config_static_selectorELNS0_4arch9wavefront6targetE1EEEvT1_,"axG",@progbits,_ZN7rocprim17ROCPRIM_400000_NS6detail17trampoline_kernelINS0_14default_configENS1_25partition_config_selectorILNS1_17partition_subalgoE5ElNS0_10empty_typeEbEEZZNS1_14partition_implILS5_5ELb0ES3_mN6hipcub16HIPCUB_304000_NS21CountingInputIteratorIllEEPS6_NSA_22TransformInputIteratorIb7NonZeroIaEPalEENS0_5tupleIJPlS6_EEENSJ_IJSD_SD_EEES6_SK_JS6_EEE10hipError_tPvRmT3_T4_T5_T6_T7_T9_mT8_P12ihipStream_tbDpT10_ENKUlT_T0_E_clISt17integral_constantIbLb0EES16_EEDaS11_S12_EUlS11_E_NS1_11comp_targetILNS1_3genE2ELNS1_11target_archE906ELNS1_3gpuE6ELNS1_3repE0EEENS1_30default_config_static_selectorELNS0_4arch9wavefront6targetE1EEEvT1_,comdat
	.protected	_ZN7rocprim17ROCPRIM_400000_NS6detail17trampoline_kernelINS0_14default_configENS1_25partition_config_selectorILNS1_17partition_subalgoE5ElNS0_10empty_typeEbEEZZNS1_14partition_implILS5_5ELb0ES3_mN6hipcub16HIPCUB_304000_NS21CountingInputIteratorIllEEPS6_NSA_22TransformInputIteratorIb7NonZeroIaEPalEENS0_5tupleIJPlS6_EEENSJ_IJSD_SD_EEES6_SK_JS6_EEE10hipError_tPvRmT3_T4_T5_T6_T7_T9_mT8_P12ihipStream_tbDpT10_ENKUlT_T0_E_clISt17integral_constantIbLb0EES16_EEDaS11_S12_EUlS11_E_NS1_11comp_targetILNS1_3genE2ELNS1_11target_archE906ELNS1_3gpuE6ELNS1_3repE0EEENS1_30default_config_static_selectorELNS0_4arch9wavefront6targetE1EEEvT1_ ; -- Begin function _ZN7rocprim17ROCPRIM_400000_NS6detail17trampoline_kernelINS0_14default_configENS1_25partition_config_selectorILNS1_17partition_subalgoE5ElNS0_10empty_typeEbEEZZNS1_14partition_implILS5_5ELb0ES3_mN6hipcub16HIPCUB_304000_NS21CountingInputIteratorIllEEPS6_NSA_22TransformInputIteratorIb7NonZeroIaEPalEENS0_5tupleIJPlS6_EEENSJ_IJSD_SD_EEES6_SK_JS6_EEE10hipError_tPvRmT3_T4_T5_T6_T7_T9_mT8_P12ihipStream_tbDpT10_ENKUlT_T0_E_clISt17integral_constantIbLb0EES16_EEDaS11_S12_EUlS11_E_NS1_11comp_targetILNS1_3genE2ELNS1_11target_archE906ELNS1_3gpuE6ELNS1_3repE0EEENS1_30default_config_static_selectorELNS0_4arch9wavefront6targetE1EEEvT1_
	.globl	_ZN7rocprim17ROCPRIM_400000_NS6detail17trampoline_kernelINS0_14default_configENS1_25partition_config_selectorILNS1_17partition_subalgoE5ElNS0_10empty_typeEbEEZZNS1_14partition_implILS5_5ELb0ES3_mN6hipcub16HIPCUB_304000_NS21CountingInputIteratorIllEEPS6_NSA_22TransformInputIteratorIb7NonZeroIaEPalEENS0_5tupleIJPlS6_EEENSJ_IJSD_SD_EEES6_SK_JS6_EEE10hipError_tPvRmT3_T4_T5_T6_T7_T9_mT8_P12ihipStream_tbDpT10_ENKUlT_T0_E_clISt17integral_constantIbLb0EES16_EEDaS11_S12_EUlS11_E_NS1_11comp_targetILNS1_3genE2ELNS1_11target_archE906ELNS1_3gpuE6ELNS1_3repE0EEENS1_30default_config_static_selectorELNS0_4arch9wavefront6targetE1EEEvT1_
	.p2align	8
	.type	_ZN7rocprim17ROCPRIM_400000_NS6detail17trampoline_kernelINS0_14default_configENS1_25partition_config_selectorILNS1_17partition_subalgoE5ElNS0_10empty_typeEbEEZZNS1_14partition_implILS5_5ELb0ES3_mN6hipcub16HIPCUB_304000_NS21CountingInputIteratorIllEEPS6_NSA_22TransformInputIteratorIb7NonZeroIaEPalEENS0_5tupleIJPlS6_EEENSJ_IJSD_SD_EEES6_SK_JS6_EEE10hipError_tPvRmT3_T4_T5_T6_T7_T9_mT8_P12ihipStream_tbDpT10_ENKUlT_T0_E_clISt17integral_constantIbLb0EES16_EEDaS11_S12_EUlS11_E_NS1_11comp_targetILNS1_3genE2ELNS1_11target_archE906ELNS1_3gpuE6ELNS1_3repE0EEENS1_30default_config_static_selectorELNS0_4arch9wavefront6targetE1EEEvT1_,@function
_ZN7rocprim17ROCPRIM_400000_NS6detail17trampoline_kernelINS0_14default_configENS1_25partition_config_selectorILNS1_17partition_subalgoE5ElNS0_10empty_typeEbEEZZNS1_14partition_implILS5_5ELb0ES3_mN6hipcub16HIPCUB_304000_NS21CountingInputIteratorIllEEPS6_NSA_22TransformInputIteratorIb7NonZeroIaEPalEENS0_5tupleIJPlS6_EEENSJ_IJSD_SD_EEES6_SK_JS6_EEE10hipError_tPvRmT3_T4_T5_T6_T7_T9_mT8_P12ihipStream_tbDpT10_ENKUlT_T0_E_clISt17integral_constantIbLb0EES16_EEDaS11_S12_EUlS11_E_NS1_11comp_targetILNS1_3genE2ELNS1_11target_archE906ELNS1_3gpuE6ELNS1_3repE0EEENS1_30default_config_static_selectorELNS0_4arch9wavefront6targetE1EEEvT1_: ; @_ZN7rocprim17ROCPRIM_400000_NS6detail17trampoline_kernelINS0_14default_configENS1_25partition_config_selectorILNS1_17partition_subalgoE5ElNS0_10empty_typeEbEEZZNS1_14partition_implILS5_5ELb0ES3_mN6hipcub16HIPCUB_304000_NS21CountingInputIteratorIllEEPS6_NSA_22TransformInputIteratorIb7NonZeroIaEPalEENS0_5tupleIJPlS6_EEENSJ_IJSD_SD_EEES6_SK_JS6_EEE10hipError_tPvRmT3_T4_T5_T6_T7_T9_mT8_P12ihipStream_tbDpT10_ENKUlT_T0_E_clISt17integral_constantIbLb0EES16_EEDaS11_S12_EUlS11_E_NS1_11comp_targetILNS1_3genE2ELNS1_11target_archE906ELNS1_3gpuE6ELNS1_3repE0EEENS1_30default_config_static_selectorELNS0_4arch9wavefront6targetE1EEEvT1_
; %bb.0:
	s_load_dwordx4 s[0:3], s[4:5], 0x8
	s_load_dwordx2 s[8:9], s[4:5], 0x58
	s_load_dwordx4 s[12:15], s[4:5], 0x48
	s_load_dwordx2 s[18:19], s[4:5], 0x20
	s_load_dword s7, s[4:5], 0x70
	s_waitcnt lgkmcnt(0)
	s_add_u32 s21, s2, s0
	s_addc_u32 s22, s3, s1
	s_load_dwordx2 s[10:11], s[14:15], 0x0
	s_mul_i32 s20, s6, 0x700
	s_add_i32 s14, s7, -1
	s_mulk_i32 s7, 0x700
	s_add_u32 s0, s2, s7
	s_addc_u32 s1, s3, 0
	v_mov_b32_e32 v2, s1
	v_mov_b32_e32 v1, s0
	v_cmp_le_u64_e32 vcc, s[8:9], v[1:2]
	s_cmp_eq_u32 s6, s14
	s_cselect_b64 s[14:15], -1, 0
	s_and_b64 s[16:17], s[14:15], vcc
	s_xor_b64 s[16:17], s[16:17], -1
	s_mov_b64 s[0:1], -1
	s_and_b64 vcc, exec, s[16:17]
	s_cbranch_vccz .LBB41_2
; %bb.1:
	s_add_u32 s0, s21, s20
	s_addc_u32 s1, s22, 0
	v_mov_b32_e32 v2, s1
	v_add_co_u32_e32 v1, vcc, s0, v0
	v_addc_co_u32_e32 v2, vcc, 0, v2, vcc
	v_add_co_u32_e32 v3, vcc, 0x100, v1
	v_addc_co_u32_e32 v4, vcc, 0, v2, vcc
	v_add_co_u32_e32 v5, vcc, 0x200, v1
	v_addc_co_u32_e32 v6, vcc, 0, v2, vcc
	v_add_co_u32_e32 v7, vcc, 0x300, v1
	v_addc_co_u32_e32 v8, vcc, 0, v2, vcc
	v_add_co_u32_e32 v9, vcc, 0x400, v1
	v_addc_co_u32_e32 v10, vcc, 0, v2, vcc
	v_add_co_u32_e32 v11, vcc, 0x500, v1
	v_addc_co_u32_e32 v12, vcc, 0, v2, vcc
	v_add_co_u32_e32 v13, vcc, 0x600, v1
	v_lshlrev_b32_e32 v15, 3, v0
	v_addc_co_u32_e32 v14, vcc, 0, v2, vcc
	ds_write2st64_b64 v15, v[1:2], v[3:4] offset1:4
	ds_write2st64_b64 v15, v[5:6], v[7:8] offset0:8 offset1:12
	ds_write2st64_b64 v15, v[9:10], v[11:12] offset0:16 offset1:20
	ds_write_b64 v15, v[13:14] offset:12288
	s_waitcnt lgkmcnt(0)
	s_barrier
	s_mov_b64 s[0:1], 0
.LBB41_2:
	s_andn2_b64 vcc, exec, s[0:1]
	s_cbranch_vccnz .LBB41_4
; %bb.3:
	s_add_u32 s0, s21, s20
	s_addc_u32 s1, s22, 0
	v_mov_b32_e32 v2, s1
	v_add_co_u32_e32 v1, vcc, s0, v0
	v_addc_co_u32_e32 v2, vcc, 0, v2, vcc
	v_or_b32_e32 v3, 0x100, v0
	v_mov_b32_e32 v4, s1
	v_add_co_u32_e32 v3, vcc, s0, v3
	v_addc_co_u32_e32 v4, vcc, 0, v4, vcc
	v_or_b32_e32 v5, 0x200, v0
	;; [unrolled: 4-line block ×6, first 2 shown]
	v_mov_b32_e32 v14, s1
	v_add_co_u32_e32 v13, vcc, s0, v13
	v_lshlrev_b32_e32 v15, 3, v0
	v_addc_co_u32_e32 v14, vcc, 0, v14, vcc
	ds_write2st64_b64 v15, v[1:2], v[3:4] offset1:4
	ds_write2st64_b64 v15, v[5:6], v[7:8] offset0:8 offset1:12
	ds_write2st64_b64 v15, v[9:10], v[11:12] offset0:16 offset1:20
	ds_write_b64 v15, v[13:14] offset:12288
	s_waitcnt lgkmcnt(0)
	s_barrier
.LBB41_4:
	v_mul_u32_u24_e32 v1, 7, v0
	v_lshlrev_b32_e32 v13, 3, v1
	s_waitcnt lgkmcnt(0)
	ds_read_b64 v[21:22], v13 offset:48
	ds_read2_b64 v[1:4], v13 offset0:4 offset1:5
	ds_read2_b64 v[5:8], v13 offset0:2 offset1:3
	ds_read2_b64 v[9:12], v13 offset1:1
	s_add_u32 s0, s18, s2
	s_addc_u32 s1, s19, s3
	s_add_u32 s0, s0, s20
	s_addc_u32 s1, s1, 0
	s_mov_b64 s[20:21], -1
	s_and_b64 vcc, exec, s[16:17]
	s_waitcnt lgkmcnt(0)
	s_barrier
	s_cbranch_vccz .LBB41_6
; %bb.5:
	global_load_ubyte v14, v0, s[0:1]
	global_load_ubyte v15, v0, s[0:1] offset:256
	global_load_ubyte v16, v0, s[0:1] offset:512
	;; [unrolled: 1-line block ×6, first 2 shown]
	s_mov_b64 s[20:21], 0
	s_waitcnt vmcnt(6)
	v_cmp_ne_u16_e32 vcc, 0, v14
	v_cndmask_b32_e64 v14, 0, 1, vcc
	s_waitcnt vmcnt(5)
	v_cmp_ne_u16_e32 vcc, 0, v15
	v_cndmask_b32_e64 v15, 0, 1, vcc
	s_waitcnt vmcnt(4)
	v_cmp_ne_u16_e32 vcc, 0, v16
	v_cndmask_b32_e64 v16, 0, 1, vcc
	s_waitcnt vmcnt(3)
	v_cmp_ne_u16_e32 vcc, 0, v17
	v_cndmask_b32_e64 v17, 0, 1, vcc
	s_waitcnt vmcnt(2)
	v_cmp_ne_u16_e32 vcc, 0, v18
	v_cndmask_b32_e64 v18, 0, 1, vcc
	s_waitcnt vmcnt(1)
	v_cmp_ne_u16_e32 vcc, 0, v19
	v_cndmask_b32_e64 v19, 0, 1, vcc
	s_waitcnt vmcnt(0)
	v_cmp_ne_u16_e32 vcc, 0, v20
	v_cndmask_b32_e64 v20, 0, 1, vcc
	ds_write_b8 v0, v14
	ds_write_b8 v0, v15 offset:256
	ds_write_b8 v0, v16 offset:512
	;; [unrolled: 1-line block ×6, first 2 shown]
	s_waitcnt lgkmcnt(0)
	s_barrier
.LBB41_6:
	s_load_dwordx2 s[18:19], s[4:5], 0x68
	s_andn2_b64 vcc, exec, s[20:21]
	s_cbranch_vccnz .LBB41_22
; %bb.7:
	s_add_i32 s7, s7, s2
	s_sub_i32 s7, s8, s7
	s_addk_i32 s7, 0x700
	v_mov_b32_e32 v14, 0
	v_cmp_gt_u32_e32 vcc, s7, v0
	s_mov_b32 s8, 0
	v_mov_b32_e32 v16, v14
	v_mov_b32_e32 v15, v14
	s_and_saveexec_b64 s[2:3], vcc
	s_cbranch_execz .LBB41_9
; %bb.8:
	global_load_ubyte v14, v0, s[0:1]
	v_mov_b32_e32 v16, s8
	s_waitcnt vmcnt(0)
	v_cmp_ne_u16_e32 vcc, 0, v14
	v_cndmask_b32_e64 v14, 0, 1, vcc
	v_mov_b32_e32 v15, v14
.LBB41_9:
	s_or_b64 exec, exec, s[2:3]
	v_or_b32_e32 v17, 0x100, v0
	v_cmp_gt_u32_e32 vcc, s7, v17
	s_and_saveexec_b64 s[2:3], vcc
	s_cbranch_execz .LBB41_11
; %bb.10:
	global_load_ubyte v17, v0, s[0:1] offset:256
	v_mov_b32_e32 v19, 8
	s_movk_i32 s8, 0xff
	v_lshrrev_b32_e32 v18, 24, v14
	v_lshrrev_b32_sdwa v19, v19, v16 dst_sel:BYTE_1 dst_unused:UNUSED_PAD src0_sel:DWORD src1_sel:DWORD
	v_bfe_u32 v20, v16, 16, 8
	v_lshlrev_b16_e32 v18, 8, v18
	v_and_b32_sdwa v23, v14, s8 dst_sel:DWORD dst_unused:UNUSED_PAD src0_sel:WORD_1 src1_sel:DWORD
	v_or_b32_sdwa v16, v16, v19 dst_sel:DWORD dst_unused:UNUSED_PAD src0_sel:BYTE_0 src1_sel:DWORD
	v_or_b32_sdwa v18, v23, v18 dst_sel:WORD_1 dst_unused:UNUSED_PAD src0_sel:DWORD src1_sel:DWORD
	v_and_b32_e32 v16, 0xffff, v16
	v_lshl_or_b32 v16, v20, 16, v16
	s_waitcnt vmcnt(0)
	v_cmp_ne_u16_e32 vcc, 0, v17
	v_cndmask_b32_e64 v17, 0, 1, vcc
	v_lshlrev_b16_e32 v17, 8, v17
	v_or_b32_sdwa v14, v14, v17 dst_sel:DWORD dst_unused:UNUSED_PAD src0_sel:BYTE_0 src1_sel:DWORD
	v_or_b32_sdwa v14, v14, v18 dst_sel:DWORD dst_unused:UNUSED_PAD src0_sel:WORD_0 src1_sel:DWORD
.LBB41_11:
	s_or_b64 exec, exec, s[2:3]
	v_or_b32_e32 v17, 0x200, v0
	v_cmp_gt_u32_e32 vcc, s7, v17
	s_and_saveexec_b64 s[2:3], vcc
	s_cbranch_execz .LBB41_13
; %bb.12:
	global_load_ubyte v17, v0, s[0:1] offset:512
	v_mov_b32_e32 v18, 8
	v_lshrrev_b32_e32 v20, 24, v14
	v_lshrrev_b32_sdwa v18, v18, v16 dst_sel:BYTE_1 dst_unused:UNUSED_PAD src0_sel:DWORD src1_sel:DWORD
	v_bfe_u32 v19, v16, 16, 8
	s_mov_b32 s8, 0xc0c0104
	v_lshlrev_b16_e32 v20, 8, v20
	v_or_b32_sdwa v16, v16, v18 dst_sel:DWORD dst_unused:UNUSED_PAD src0_sel:BYTE_0 src1_sel:DWORD
	v_and_b32_e32 v16, 0xffff, v16
	v_perm_b32 v14, v14, v14, s8
	v_lshl_or_b32 v16, v19, 16, v16
	s_waitcnt vmcnt(0)
	v_cmp_ne_u16_e32 vcc, 0, v17
	v_cndmask_b32_e64 v17, 0, 1, vcc
	v_or_b32_sdwa v17, v17, v20 dst_sel:WORD_1 dst_unused:UNUSED_PAD src0_sel:DWORD src1_sel:DWORD
	v_or_b32_e32 v14, v14, v17
.LBB41_13:
	s_or_b64 exec, exec, s[2:3]
	v_or_b32_e32 v17, 0x300, v0
	v_cmp_gt_u32_e32 vcc, s7, v17
	s_and_saveexec_b64 s[2:3], vcc
	s_cbranch_execz .LBB41_15
; %bb.14:
	global_load_ubyte v17, v0, s[0:1] offset:768
	v_mov_b32_e32 v18, 8
	s_movk_i32 s8, 0xff
	v_lshrrev_b32_sdwa v18, v18, v16 dst_sel:BYTE_1 dst_unused:UNUSED_PAD src0_sel:DWORD src1_sel:DWORD
	v_bfe_u32 v19, v16, 16, 8
	s_mov_b32 s9, 0xc0c0104
	v_and_b32_sdwa v20, v14, s8 dst_sel:DWORD dst_unused:UNUSED_PAD src0_sel:WORD_1 src1_sel:DWORD
	v_or_b32_sdwa v16, v16, v18 dst_sel:DWORD dst_unused:UNUSED_PAD src0_sel:BYTE_0 src1_sel:DWORD
	v_and_b32_e32 v16, 0xffff, v16
	v_perm_b32 v14, v14, v14, s9
	v_lshl_or_b32 v16, v19, 16, v16
	s_waitcnt vmcnt(0)
	v_cmp_ne_u16_e32 vcc, 0, v17
	v_cndmask_b32_e64 v17, 0, 1, vcc
	v_lshlrev_b16_e32 v17, 8, v17
	v_or_b32_sdwa v17, v20, v17 dst_sel:WORD_1 dst_unused:UNUSED_PAD src0_sel:DWORD src1_sel:DWORD
	v_or_b32_e32 v14, v14, v17
.LBB41_15:
	s_or_b64 exec, exec, s[2:3]
	v_or_b32_e32 v17, 0x400, v0
	v_cmp_gt_u32_e32 vcc, s7, v17
	s_and_saveexec_b64 s[2:3], vcc
	s_cbranch_execz .LBB41_17
; %bb.16:
	global_load_ubyte v17, v0, s[0:1] offset:1024
	v_mov_b32_e32 v18, 8
	v_bfe_u32 v19, v16, 16, 8
	v_lshrrev_b32_sdwa v16, v18, v16 dst_sel:BYTE_1 dst_unused:UNUSED_PAD src0_sel:DWORD src1_sel:DWORD
	s_mov_b32 s8, 0x3020104
	v_perm_b32 v14, v14, v14, s8
	s_waitcnt vmcnt(0)
	v_cmp_ne_u16_e32 vcc, 0, v17
	v_cndmask_b32_e64 v17, 0, 1, vcc
	v_or_b32_e32 v16, v17, v16
	v_and_b32_e32 v16, 0xffff, v16
	v_lshl_or_b32 v16, v19, 16, v16
.LBB41_17:
	s_or_b64 exec, exec, s[2:3]
	v_or_b32_e32 v17, 0x500, v0
	v_cmp_gt_u32_e32 vcc, s7, v17
	s_and_saveexec_b64 s[2:3], vcc
	s_cbranch_execz .LBB41_19
; %bb.18:
	global_load_ubyte v17, v0, s[0:1] offset:1280
	v_bfe_u32 v18, v16, 16, 8
	s_mov_b32 s8, 0x3020104
	v_perm_b32 v14, v14, v14, s8
	s_waitcnt vmcnt(0)
	v_cmp_ne_u16_e32 vcc, 0, v17
	v_cndmask_b32_e64 v17, 0, 1, vcc
	v_lshlrev_b16_e32 v17, 8, v17
	v_or_b32_sdwa v16, v16, v17 dst_sel:DWORD dst_unused:UNUSED_PAD src0_sel:BYTE_0 src1_sel:DWORD
	v_and_b32_e32 v16, 0xffff, v16
	v_lshl_or_b32 v16, v18, 16, v16
.LBB41_19:
	s_or_b64 exec, exec, s[2:3]
	v_or_b32_e32 v17, 0x600, v0
	v_cmp_gt_u32_e32 vcc, s7, v17
	s_and_saveexec_b64 s[2:3], vcc
	s_cbranch_execz .LBB41_21
; %bb.20:
	global_load_ubyte v17, v0, s[0:1] offset:1536
	v_mov_b32_e32 v18, 8
	v_lshrrev_b32_sdwa v18, v18, v16 dst_sel:BYTE_1 dst_unused:UNUSED_PAD src0_sel:DWORD src1_sel:DWORD
	v_or_b32_sdwa v16, v16, v18 dst_sel:DWORD dst_unused:UNUSED_PAD src0_sel:BYTE_0 src1_sel:DWORD
	s_mov_b32 s0, 0x3020104
	v_and_b32_e32 v16, 0xffff, v16
	v_perm_b32 v14, v14, v14, s0
	s_waitcnt vmcnt(0)
	v_cmp_ne_u16_e32 vcc, 0, v17
	v_cndmask_b32_e64 v17, 0, 1, vcc
	v_lshl_or_b32 v16, v17, 16, v16
.LBB41_21:
	s_or_b64 exec, exec, s[2:3]
	ds_write_b8 v0, v15
	v_lshrrev_b32_e32 v15, 8, v14
	ds_write_b8 v0, v15 offset:256
	ds_write_b8_d16_hi v0, v14 offset:512
	v_lshrrev_b32_e32 v14, 24, v14
	ds_write_b8 v0, v14 offset:768
	ds_write_b8 v0, v16 offset:1024
	v_lshrrev_b32_e32 v14, 8, v16
	ds_write_b8 v0, v14 offset:1280
	ds_write_b8_d16_hi v0, v16 offset:1536
	s_waitcnt lgkmcnt(0)
	s_barrier
.LBB41_22:
	s_movk_i32 s0, 0xffcf
	v_mad_i32_i24 v43, v0, s0, v13
	s_waitcnt lgkmcnt(0)
	ds_read_u8 v13, v43
	ds_read_u8 v15, v43 offset:1
	ds_read_u8 v16, v43 offset:2
	ds_read_u8 v17, v43 offset:3
	ds_read_u8 v18, v43 offset:4
	ds_read_u8 v19, v43 offset:5
	ds_read_u8 v20, v43 offset:6
	s_waitcnt lgkmcnt(6)
	v_and_b32_e32 v41, 1, v13
	s_waitcnt lgkmcnt(5)
	v_and_b32_e32 v40, 1, v15
	;; [unrolled: 2-line block ×4, first 2 shown]
	v_add3_u32 v13, v40, v41, v39
	s_waitcnt lgkmcnt(2)
	v_and_b32_e32 v37, 1, v18
	v_add_co_u32_e32 v13, vcc, v13, v38
	v_addc_co_u32_e64 v15, s[0:1], 0, 0, vcc
	v_add_co_u32_e32 v13, vcc, v13, v37
	s_waitcnt lgkmcnt(1)
	v_and_b32_e32 v36, 1, v19
	v_addc_co_u32_e32 v15, vcc, 0, v15, vcc
	v_add_co_u32_e32 v13, vcc, v13, v36
	s_waitcnt lgkmcnt(0)
	v_and_b32_e32 v35, 1, v20
	v_addc_co_u32_e32 v15, vcc, 0, v15, vcc
	v_add_co_u32_e32 v23, vcc, v13, v35
	v_mbcnt_lo_u32_b32 v13, -1, 0
	v_mbcnt_hi_u32_b32 v42, -1, v13
	v_and_b32_e32 v44, 15, v42
	s_cmp_lg_u32 s6, 0
	v_mov_b32_e32 v14, 0
	v_addc_co_u32_e32 v24, vcc, 0, v15, vcc
	v_cmp_ne_u32_e64 s[0:1], 0, v44
	s_barrier
	s_cbranch_scc0 .LBB41_78
; %bb.23:
	v_mov_b32_e32 v15, v23
	v_mov_b32_dpp v13, v23 row_shr:1 row_mask:0xf bank_mask:0xf
	v_mov_b32_dpp v18, v14 row_shr:1 row_mask:0xf bank_mask:0xf
	v_mov_b32_e32 v17, v23
	v_mov_b32_e32 v16, v24
	s_and_saveexec_b64 s[2:3], s[0:1]
; %bb.24:
	v_add_co_u32_e32 v17, vcc, v23, v13
	v_addc_co_u32_e32 v14, vcc, 0, v24, vcc
	v_add_co_u32_e32 v13, vcc, 0, v17
	v_addc_co_u32_e32 v14, vcc, v18, v14, vcc
	v_mov_b32_e32 v16, v14
	v_mov_b32_e32 v15, v13
; %bb.25:
	s_or_b64 exec, exec, s[2:3]
	v_mov_b32_dpp v13, v17 row_shr:2 row_mask:0xf bank_mask:0xf
	v_mov_b32_dpp v18, v14 row_shr:2 row_mask:0xf bank_mask:0xf
	v_cmp_lt_u32_e32 vcc, 1, v44
	s_and_saveexec_b64 s[2:3], vcc
; %bb.26:
	v_add_co_u32_e32 v17, vcc, v15, v13
	v_addc_co_u32_e32 v14, vcc, 0, v16, vcc
	v_add_co_u32_e32 v13, vcc, 0, v17
	v_addc_co_u32_e32 v14, vcc, v18, v14, vcc
	v_mov_b32_e32 v16, v14
	v_mov_b32_e32 v15, v13
; %bb.27:
	s_or_b64 exec, exec, s[2:3]
	v_mov_b32_dpp v13, v17 row_shr:4 row_mask:0xf bank_mask:0xf
	v_mov_b32_dpp v18, v14 row_shr:4 row_mask:0xf bank_mask:0xf
	v_cmp_lt_u32_e32 vcc, 3, v44
	s_and_saveexec_b64 s[2:3], vcc
	;; [unrolled: 13-line block ×3, first 2 shown]
; %bb.30:
	v_add_co_u32_e32 v17, vcc, v15, v13
	v_addc_co_u32_e32 v14, vcc, 0, v16, vcc
	v_add_co_u32_e32 v13, vcc, 0, v17
	v_addc_co_u32_e32 v14, vcc, v18, v14, vcc
	v_mov_b32_e32 v16, v14
	v_mov_b32_e32 v15, v13
; %bb.31:
	s_or_b64 exec, exec, s[2:3]
	v_and_b32_e32 v19, 16, v42
	v_mov_b32_dpp v13, v17 row_bcast:15 row_mask:0xf bank_mask:0xf
	v_mov_b32_dpp v18, v14 row_bcast:15 row_mask:0xf bank_mask:0xf
	v_cmp_ne_u32_e32 vcc, 0, v19
	s_and_saveexec_b64 s[2:3], vcc
; %bb.32:
	v_add_co_u32_e32 v17, vcc, v15, v13
	v_addc_co_u32_e32 v14, vcc, 0, v16, vcc
	v_add_co_u32_e32 v13, vcc, 0, v17
	v_addc_co_u32_e32 v14, vcc, v18, v14, vcc
	v_mov_b32_e32 v16, v14
	v_mov_b32_e32 v15, v13
; %bb.33:
	s_or_b64 exec, exec, s[2:3]
	v_mov_b32_dpp v13, v17 row_bcast:31 row_mask:0xf bank_mask:0xf
	v_mov_b32_dpp v18, v14 row_bcast:31 row_mask:0xf bank_mask:0xf
	v_cmp_lt_u32_e32 vcc, 31, v42
	s_and_saveexec_b64 s[2:3], vcc
; %bb.34:
	v_add_co_u32_e32 v17, vcc, v15, v13
	v_addc_co_u32_e32 v14, vcc, 0, v16, vcc
	v_add_co_u32_e32 v13, vcc, 0, v17
	v_addc_co_u32_e32 v14, vcc, v18, v14, vcc
	v_mov_b32_e32 v16, v14
	v_mov_b32_e32 v15, v13
; %bb.35:
	s_or_b64 exec, exec, s[2:3]
	v_or_b32_e32 v18, 63, v0
	v_lshrrev_b32_e32 v13, 6, v0
	v_cmp_eq_u32_e32 vcc, v0, v18
	s_and_saveexec_b64 s[2:3], vcc
; %bb.36:
	v_lshlrev_b32_e32 v18, 3, v13
	ds_write_b64 v18, v[15:16]
; %bb.37:
	s_or_b64 exec, exec, s[2:3]
	v_cmp_gt_u32_e32 vcc, 4, v0
	s_waitcnt lgkmcnt(0)
	s_barrier
	s_and_saveexec_b64 s[2:3], vcc
	s_cbranch_execz .LBB41_41
; %bb.38:
	v_lshlrev_b32_e32 v18, 3, v0
	ds_read_b64 v[15:16], v18
	v_and_b32_e32 v19, 3, v42
	v_cmp_ne_u32_e32 vcc, 0, v19
	s_waitcnt lgkmcnt(0)
	v_mov_b32_dpp v26, v15 row_shr:1 row_mask:0xf bank_mask:0xf
	v_mov_b32_dpp v25, v16 row_shr:1 row_mask:0xf bank_mask:0xf
	v_mov_b32_e32 v20, v15
	s_and_saveexec_b64 s[8:9], vcc
; %bb.39:
	v_add_co_u32_e32 v20, vcc, v15, v26
	v_addc_co_u32_e32 v16, vcc, 0, v16, vcc
	v_add_co_u32_e32 v15, vcc, 0, v20
	v_addc_co_u32_e32 v16, vcc, v25, v16, vcc
; %bb.40:
	s_or_b64 exec, exec, s[8:9]
	v_mov_b32_dpp v20, v20 row_shr:2 row_mask:0xf bank_mask:0xf
	v_add_co_u32_e32 v20, vcc, v15, v20
	v_addc_co_u32_e32 v26, vcc, 0, v16, vcc
	v_mov_b32_dpp v25, v16 row_shr:2 row_mask:0xf bank_mask:0xf
	v_add_co_u32_e32 v20, vcc, 0, v20
	v_addc_co_u32_e32 v25, vcc, v26, v25, vcc
	v_cmp_lt_u32_e32 vcc, 1, v19
	v_cndmask_b32_e32 v16, v16, v25, vcc
	v_cndmask_b32_e32 v15, v15, v20, vcc
	ds_write_b64 v18, v[15:16]
.LBB41_41:
	s_or_b64 exec, exec, s[2:3]
	v_cmp_gt_u32_e32 vcc, 64, v0
	v_cmp_lt_u32_e64 s[2:3], 63, v0
	s_waitcnt lgkmcnt(0)
	s_barrier
                                        ; implicit-def: $vgpr25_vgpr26
	s_and_saveexec_b64 s[8:9], s[2:3]
	s_cbranch_execz .LBB41_43
; %bb.42:
	v_lshl_add_u32 v13, v13, 3, -8
	ds_read_b64 v[25:26], v13
	s_waitcnt lgkmcnt(0)
	v_add_co_u32_e64 v17, s[2:3], v17, v25
	v_addc_co_u32_e64 v14, s[2:3], v14, v26, s[2:3]
.LBB41_43:
	s_or_b64 exec, exec, s[8:9]
	v_subrev_co_u32_e64 v13, s[2:3], 1, v42
	v_and_b32_e32 v15, 64, v42
	v_cmp_lt_i32_e64 s[8:9], v13, v15
	v_cndmask_b32_e64 v13, v13, v42, s[8:9]
	v_lshlrev_b32_e32 v13, 2, v13
	ds_bpermute_b32 v33, v13, v17
	ds_bpermute_b32 v34, v13, v14
	s_and_saveexec_b64 s[8:9], vcc
	s_cbranch_execz .LBB41_83
; %bb.44:
	v_mov_b32_e32 v16, 0
	ds_read_b64 v[13:14], v16 offset:24
	s_and_saveexec_b64 s[20:21], s[2:3]
	s_cbranch_execz .LBB41_46
; %bb.45:
	s_add_i32 s22, s6, 64
	s_mov_b32 s23, 0
	s_lshl_b64 s[22:23], s[22:23], 4
	s_add_u32 s22, s18, s22
	s_addc_u32 s23, s19, s23
	v_mov_b32_e32 v17, s22
	v_mov_b32_e32 v15, 1
	;; [unrolled: 1-line block ×3, first 2 shown]
	s_waitcnt lgkmcnt(0)
	;;#ASMSTART
	global_store_dwordx4 v[17:18], v[13:16] off	
s_waitcnt vmcnt(0)
	;;#ASMEND
.LBB41_46:
	s_or_b64 exec, exec, s[20:21]
	v_xad_u32 v27, v42, -1, s6
	v_add_u32_e32 v15, 64, v27
	v_lshlrev_b64 v[17:18], 4, v[15:16]
	v_mov_b32_e32 v15, s19
	v_add_co_u32_e32 v28, vcc, s18, v17
	v_addc_co_u32_e32 v29, vcc, v15, v18, vcc
	;;#ASMSTART
	global_load_dwordx4 v[17:20], v[28:29] off glc	
s_waitcnt vmcnt(0)
	;;#ASMEND
	v_cmp_eq_u16_sdwa s[22:23], v19, v16 src0_sel:BYTE_0 src1_sel:DWORD
	s_and_saveexec_b64 s[20:21], s[22:23]
	s_cbranch_execz .LBB41_50
; %bb.47:
	s_mov_b64 s[22:23], 0
	v_mov_b32_e32 v15, 0
.LBB41_48:                              ; =>This Inner Loop Header: Depth=1
	;;#ASMSTART
	global_load_dwordx4 v[17:20], v[28:29] off glc	
s_waitcnt vmcnt(0)
	;;#ASMEND
	v_cmp_ne_u16_sdwa s[24:25], v19, v15 src0_sel:BYTE_0 src1_sel:DWORD
	s_or_b64 s[22:23], s[24:25], s[22:23]
	s_andn2_b64 exec, exec, s[22:23]
	s_cbranch_execnz .LBB41_48
; %bb.49:
	s_or_b64 exec, exec, s[22:23]
.LBB41_50:
	s_or_b64 exec, exec, s[20:21]
	v_and_b32_e32 v45, 63, v42
	v_mov_b32_e32 v15, 2
	v_lshlrev_b64 v[29:30], v42, -1
	v_cmp_ne_u32_e32 vcc, 63, v45
	v_cmp_eq_u16_sdwa s[20:21], v19, v15 src0_sel:BYTE_0 src1_sel:DWORD
	v_addc_co_u32_e32 v20, vcc, 0, v42, vcc
	v_and_b32_e32 v15, s21, v30
	v_lshlrev_b32_e32 v46, 2, v20
	v_or_b32_e32 v15, 0x80000000, v15
	ds_bpermute_b32 v28, v46, v17
	ds_bpermute_b32 v20, v46, v18
	v_and_b32_e32 v16, s20, v29
	v_ffbl_b32_e32 v15, v15
	v_add_u32_e32 v15, 32, v15
	v_ffbl_b32_e32 v16, v16
	v_min_u32_e32 v15, v16, v15
	v_cmp_lt_u32_e32 vcc, v45, v15
	v_mov_b32_e32 v16, v17
	s_and_saveexec_b64 s[20:21], vcc
	s_cbranch_execz .LBB41_52
; %bb.51:
	s_waitcnt lgkmcnt(1)
	v_add_co_u32_e32 v16, vcc, v17, v28
	v_addc_co_u32_e32 v18, vcc, 0, v18, vcc
	v_add_co_u32_e32 v17, vcc, 0, v16
	s_waitcnt lgkmcnt(0)
	v_addc_co_u32_e32 v18, vcc, v20, v18, vcc
.LBB41_52:
	s_or_b64 exec, exec, s[20:21]
	v_cmp_gt_u32_e32 vcc, 62, v45
	s_waitcnt lgkmcnt(0)
	v_cndmask_b32_e64 v20, 0, 2, vcc
	v_add_lshl_u32 v47, v20, v42, 2
	ds_bpermute_b32 v28, v47, v16
	ds_bpermute_b32 v20, v47, v18
	v_add_u32_e32 v48, 2, v45
	v_cmp_le_u32_e32 vcc, v48, v15
	s_and_saveexec_b64 s[20:21], vcc
	s_cbranch_execz .LBB41_54
; %bb.53:
	s_waitcnt lgkmcnt(1)
	v_add_co_u32_e32 v16, vcc, v17, v28
	v_addc_co_u32_e32 v18, vcc, 0, v18, vcc
	v_add_co_u32_e32 v17, vcc, 0, v16
	s_waitcnt lgkmcnt(0)
	v_addc_co_u32_e32 v18, vcc, v20, v18, vcc
.LBB41_54:
	s_or_b64 exec, exec, s[20:21]
	v_cmp_gt_u32_e32 vcc, 60, v45
	s_waitcnt lgkmcnt(0)
	v_cndmask_b32_e64 v20, 0, 4, vcc
	v_add_lshl_u32 v49, v20, v42, 2
	ds_bpermute_b32 v28, v49, v16
	ds_bpermute_b32 v20, v49, v18
	v_add_u32_e32 v50, 4, v45
	v_cmp_le_u32_e32 vcc, v50, v15
	s_and_saveexec_b64 s[20:21], vcc
	s_cbranch_execz .LBB41_56
; %bb.55:
	s_waitcnt lgkmcnt(1)
	v_add_co_u32_e32 v16, vcc, v17, v28
	v_addc_co_u32_e32 v18, vcc, 0, v18, vcc
	v_add_co_u32_e32 v17, vcc, 0, v16
	s_waitcnt lgkmcnt(0)
	v_addc_co_u32_e32 v18, vcc, v20, v18, vcc
.LBB41_56:
	s_or_b64 exec, exec, s[20:21]
	v_cmp_gt_u32_e32 vcc, 56, v45
	s_waitcnt lgkmcnt(0)
	v_cndmask_b32_e64 v20, 0, 8, vcc
	v_add_lshl_u32 v51, v20, v42, 2
	ds_bpermute_b32 v28, v51, v16
	ds_bpermute_b32 v20, v51, v18
	v_add_u32_e32 v52, 8, v45
	v_cmp_le_u32_e32 vcc, v52, v15
	s_and_saveexec_b64 s[20:21], vcc
	s_cbranch_execz .LBB41_58
; %bb.57:
	s_waitcnt lgkmcnt(1)
	v_add_co_u32_e32 v16, vcc, v17, v28
	v_addc_co_u32_e32 v18, vcc, 0, v18, vcc
	v_add_co_u32_e32 v17, vcc, 0, v16
	s_waitcnt lgkmcnt(0)
	v_addc_co_u32_e32 v18, vcc, v20, v18, vcc
.LBB41_58:
	s_or_b64 exec, exec, s[20:21]
	v_cmp_gt_u32_e32 vcc, 48, v45
	s_waitcnt lgkmcnt(0)
	v_cndmask_b32_e64 v20, 0, 16, vcc
	v_add_lshl_u32 v53, v20, v42, 2
	ds_bpermute_b32 v28, v53, v16
	ds_bpermute_b32 v20, v53, v18
	v_add_u32_e32 v54, 16, v45
	v_cmp_le_u32_e32 vcc, v54, v15
	s_and_saveexec_b64 s[20:21], vcc
	s_cbranch_execz .LBB41_60
; %bb.59:
	s_waitcnt lgkmcnt(1)
	v_add_co_u32_e32 v16, vcc, v17, v28
	v_addc_co_u32_e32 v18, vcc, 0, v18, vcc
	v_add_co_u32_e32 v17, vcc, 0, v16
	s_waitcnt lgkmcnt(0)
	v_addc_co_u32_e32 v18, vcc, v20, v18, vcc
.LBB41_60:
	s_or_b64 exec, exec, s[20:21]
	s_waitcnt lgkmcnt(0)
	v_mov_b32_e32 v20, 0x80
	v_lshl_or_b32 v55, v42, 2, v20
	ds_bpermute_b32 v16, v55, v16
	ds_bpermute_b32 v20, v55, v18
	v_add_u32_e32 v56, 32, v45
	v_mov_b32_e32 v28, 0
	v_mov_b32_e32 v57, 2
	s_waitcnt lgkmcnt(1)
	v_add_co_u32_e32 v16, vcc, v17, v16
	v_addc_co_u32_e32 v31, vcc, 0, v18, vcc
	v_add_co_u32_e32 v16, vcc, 0, v16
	s_waitcnt lgkmcnt(0)
	v_addc_co_u32_e32 v20, vcc, v31, v20, vcc
	v_cmp_gt_u32_e32 vcc, v56, v15
	v_cndmask_b32_e32 v18, v20, v18, vcc
	v_cndmask_b32_e32 v17, v16, v17, vcc
	s_branch .LBB41_63
.LBB41_61:                              ;   in Loop: Header=BB41_63 Depth=1
	s_or_b64 exec, exec, s[20:21]
	ds_bpermute_b32 v31, v55, v31
	s_waitcnt lgkmcnt(1)
	ds_bpermute_b32 v32, v55, v18
	v_subrev_u32_e32 v27, 64, v27
	s_mov_b64 s[20:21], 0
	s_waitcnt lgkmcnt(1)
	v_add_co_u32_e32 v31, vcc, v17, v31
	v_addc_co_u32_e32 v58, vcc, 0, v18, vcc
	v_add_co_u32_e32 v31, vcc, 0, v31
	s_waitcnt lgkmcnt(0)
	v_addc_co_u32_e32 v32, vcc, v58, v32, vcc
	v_cmp_gt_u32_e32 vcc, v56, v20
	v_cndmask_b32_e32 v17, v31, v17, vcc
	v_cndmask_b32_e32 v18, v32, v18, vcc
	v_add_co_u32_e32 v17, vcc, v17, v15
	v_addc_co_u32_e32 v18, vcc, v18, v16, vcc
.LBB41_62:                              ;   in Loop: Header=BB41_63 Depth=1
	s_and_b64 vcc, exec, s[20:21]
	s_cbranch_vccnz .LBB41_79
.LBB41_63:                              ; =>This Loop Header: Depth=1
                                        ;     Child Loop BB41_66 Depth 2
	v_mov_b32_e32 v15, v17
	v_cmp_ne_u16_sdwa s[20:21], v19, v57 src0_sel:BYTE_0 src1_sel:DWORD
	v_mov_b32_e32 v16, v18
	s_cmp_lg_u64 s[20:21], exec
	s_mov_b64 s[20:21], -1
                                        ; implicit-def: $vgpr17_vgpr18
                                        ; implicit-def: $vgpr19
	s_cbranch_scc1 .LBB41_62
; %bb.64:                               ;   in Loop: Header=BB41_63 Depth=1
	v_lshlrev_b64 v[17:18], 4, v[27:28]
	v_mov_b32_e32 v19, s19
	v_add_co_u32_e32 v31, vcc, s18, v17
	v_addc_co_u32_e32 v32, vcc, v19, v18, vcc
	;;#ASMSTART
	global_load_dwordx4 v[17:20], v[31:32] off glc	
s_waitcnt vmcnt(0)
	;;#ASMEND
	v_cmp_eq_u16_sdwa s[22:23], v19, v28 src0_sel:BYTE_0 src1_sel:DWORD
	s_and_saveexec_b64 s[20:21], s[22:23]
	s_cbranch_execz .LBB41_68
; %bb.65:                               ;   in Loop: Header=BB41_63 Depth=1
	s_mov_b64 s[22:23], 0
.LBB41_66:                              ;   Parent Loop BB41_63 Depth=1
                                        ; =>  This Inner Loop Header: Depth=2
	;;#ASMSTART
	global_load_dwordx4 v[17:20], v[31:32] off glc	
s_waitcnt vmcnt(0)
	;;#ASMEND
	v_cmp_ne_u16_sdwa s[24:25], v19, v28 src0_sel:BYTE_0 src1_sel:DWORD
	s_or_b64 s[22:23], s[24:25], s[22:23]
	s_andn2_b64 exec, exec, s[22:23]
	s_cbranch_execnz .LBB41_66
; %bb.67:                               ;   in Loop: Header=BB41_63 Depth=1
	s_or_b64 exec, exec, s[22:23]
.LBB41_68:                              ;   in Loop: Header=BB41_63 Depth=1
	s_or_b64 exec, exec, s[20:21]
	v_cmp_eq_u16_sdwa s[20:21], v19, v57 src0_sel:BYTE_0 src1_sel:DWORD
	v_and_b32_e32 v20, s21, v30
	v_or_b32_e32 v20, 0x80000000, v20
	ds_bpermute_b32 v58, v46, v17
	ds_bpermute_b32 v32, v46, v18
	v_and_b32_e32 v31, s20, v29
	v_ffbl_b32_e32 v20, v20
	v_add_u32_e32 v20, 32, v20
	v_ffbl_b32_e32 v31, v31
	v_min_u32_e32 v20, v31, v20
	v_cmp_lt_u32_e32 vcc, v45, v20
	v_mov_b32_e32 v31, v17
	s_and_saveexec_b64 s[20:21], vcc
	s_cbranch_execz .LBB41_70
; %bb.69:                               ;   in Loop: Header=BB41_63 Depth=1
	s_waitcnt lgkmcnt(1)
	v_add_co_u32_e32 v31, vcc, v17, v58
	v_addc_co_u32_e32 v18, vcc, 0, v18, vcc
	v_add_co_u32_e32 v17, vcc, 0, v31
	s_waitcnt lgkmcnt(0)
	v_addc_co_u32_e32 v18, vcc, v32, v18, vcc
.LBB41_70:                              ;   in Loop: Header=BB41_63 Depth=1
	s_or_b64 exec, exec, s[20:21]
	s_waitcnt lgkmcnt(1)
	ds_bpermute_b32 v58, v47, v31
	s_waitcnt lgkmcnt(1)
	ds_bpermute_b32 v32, v47, v18
	v_cmp_le_u32_e32 vcc, v48, v20
	s_and_saveexec_b64 s[20:21], vcc
	s_cbranch_execz .LBB41_72
; %bb.71:                               ;   in Loop: Header=BB41_63 Depth=1
	s_waitcnt lgkmcnt(1)
	v_add_co_u32_e32 v31, vcc, v17, v58
	v_addc_co_u32_e32 v18, vcc, 0, v18, vcc
	v_add_co_u32_e32 v17, vcc, 0, v31
	s_waitcnt lgkmcnt(0)
	v_addc_co_u32_e32 v18, vcc, v32, v18, vcc
.LBB41_72:                              ;   in Loop: Header=BB41_63 Depth=1
	s_or_b64 exec, exec, s[20:21]
	s_waitcnt lgkmcnt(1)
	ds_bpermute_b32 v58, v49, v31
	s_waitcnt lgkmcnt(1)
	ds_bpermute_b32 v32, v49, v18
	v_cmp_le_u32_e32 vcc, v50, v20
	;; [unrolled: 16-line block ×4, first 2 shown]
	s_and_saveexec_b64 s[20:21], vcc
	s_cbranch_execz .LBB41_61
; %bb.77:                               ;   in Loop: Header=BB41_63 Depth=1
	s_waitcnt lgkmcnt(1)
	v_add_co_u32_e32 v31, vcc, v17, v58
	v_addc_co_u32_e32 v18, vcc, 0, v18, vcc
	v_add_co_u32_e32 v17, vcc, 0, v31
	s_waitcnt lgkmcnt(0)
	v_addc_co_u32_e32 v18, vcc, v32, v18, vcc
	s_branch .LBB41_61
.LBB41_78:
                                        ; implicit-def: $vgpr19_vgpr20
                                        ; implicit-def: $vgpr17_vgpr18
                                        ; implicit-def: $vgpr25_vgpr26
                                        ; implicit-def: $vgpr27_vgpr28
                                        ; implicit-def: $vgpr29_vgpr30
                                        ; implicit-def: $vgpr31_vgpr32
                                        ; implicit-def: $vgpr33_vgpr34
                                        ; implicit-def: $vgpr15_vgpr16
	s_load_dwordx2 s[2:3], s[4:5], 0x30
	s_cbranch_execnz .LBB41_84
	s_branch .LBB41_105
.LBB41_79:
	s_and_saveexec_b64 s[20:21], s[2:3]
	s_cbranch_execz .LBB41_81
; %bb.80:
	s_add_i32 s6, s6, 64
	s_mov_b32 s7, 0
	s_lshl_b64 s[6:7], s[6:7], 4
	s_add_u32 s6, s18, s6
	s_addc_u32 s7, s19, s7
	v_add_co_u32_e32 v17, vcc, v15, v13
	v_mov_b32_e32 v28, s7
	v_addc_co_u32_e32 v18, vcc, v16, v14, vcc
	v_mov_b32_e32 v19, 2
	v_mov_b32_e32 v20, 0
	;; [unrolled: 1-line block ×3, first 2 shown]
	;;#ASMSTART
	global_store_dwordx4 v[27:28], v[17:20] off	
s_waitcnt vmcnt(0)
	;;#ASMEND
	ds_write_b128 v20, v[13:16] offset:14336
.LBB41_81:
	s_or_b64 exec, exec, s[20:21]
	v_cmp_eq_u32_e32 vcc, 0, v0
	s_and_b64 exec, exec, vcc
; %bb.82:
	v_mov_b32_e32 v13, 0
	ds_write_b64 v13, v[15:16] offset:24
.LBB41_83:
	s_or_b64 exec, exec, s[8:9]
	v_mov_b32_e32 v19, 0
	s_waitcnt lgkmcnt(0)
	s_barrier
	ds_read_b64 v[13:14], v19 offset:24
	v_cndmask_b32_e64 v15, v33, v25, s[2:3]
	v_cmp_ne_u32_e32 vcc, 0, v0
	v_cndmask_b32_e64 v16, v34, v26, s[2:3]
	v_cndmask_b32_e32 v15, 0, v15, vcc
	v_cndmask_b32_e32 v16, 0, v16, vcc
	s_waitcnt lgkmcnt(0)
	v_add_co_u32_e32 v33, vcc, v13, v15
	v_addc_co_u32_e32 v34, vcc, v14, v16, vcc
	v_add_co_u32_e32 v31, vcc, v33, v41
	v_addc_co_u32_e32 v32, vcc, 0, v34, vcc
	;; [unrolled: 2-line block ×5, first 2 shown]
	s_barrier
	ds_read_b128 v[13:16], v19 offset:14336
	v_add_co_u32_e32 v17, vcc, v25, v37
	v_addc_co_u32_e32 v18, vcc, 0, v26, vcc
	v_add_co_u32_e32 v19, vcc, v17, v36
	v_addc_co_u32_e32 v20, vcc, 0, v18, vcc
	s_load_dwordx2 s[2:3], s[4:5], 0x30
	s_branch .LBB41_105
.LBB41_84:
	s_waitcnt lgkmcnt(0)
	v_mov_b32_e32 v14, 0
	v_mov_b32_dpp v16, v23 row_shr:1 row_mask:0xf bank_mask:0xf
	v_mov_b32_e32 v15, v23
	v_mov_b32_dpp v13, v14 row_shr:1 row_mask:0xf bank_mask:0xf
	s_and_saveexec_b64 s[4:5], s[0:1]
; %bb.85:
	v_add_co_u32_e32 v15, vcc, v23, v16
	v_addc_co_u32_e32 v14, vcc, 0, v24, vcc
	v_add_co_u32_e32 v23, vcc, 0, v15
	v_addc_co_u32_e32 v24, vcc, v13, v14, vcc
	v_mov_b32_e32 v14, v24
; %bb.86:
	s_or_b64 exec, exec, s[4:5]
	v_mov_b32_dpp v13, v15 row_shr:2 row_mask:0xf bank_mask:0xf
	v_mov_b32_dpp v16, v14 row_shr:2 row_mask:0xf bank_mask:0xf
	v_cmp_lt_u32_e32 vcc, 1, v44
	s_and_saveexec_b64 s[0:1], vcc
; %bb.87:
	v_add_co_u32_e32 v15, vcc, v23, v13
	v_addc_co_u32_e32 v14, vcc, 0, v24, vcc
	v_add_co_u32_e32 v13, vcc, 0, v15
	v_addc_co_u32_e32 v14, vcc, v16, v14, vcc
	v_mov_b32_e32 v24, v14
	v_mov_b32_e32 v23, v13
; %bb.88:
	s_or_b64 exec, exec, s[0:1]
	v_mov_b32_dpp v13, v15 row_shr:4 row_mask:0xf bank_mask:0xf
	v_mov_b32_dpp v16, v14 row_shr:4 row_mask:0xf bank_mask:0xf
	v_cmp_lt_u32_e32 vcc, 3, v44
	s_and_saveexec_b64 s[0:1], vcc
; %bb.89:
	v_add_co_u32_e32 v15, vcc, v23, v13
	v_addc_co_u32_e32 v14, vcc, 0, v24, vcc
	v_add_co_u32_e32 v13, vcc, 0, v15
	v_addc_co_u32_e32 v14, vcc, v16, v14, vcc
	v_mov_b32_e32 v24, v14
	;; [unrolled: 13-line block ×3, first 2 shown]
	v_mov_b32_e32 v23, v13
; %bb.92:
	s_or_b64 exec, exec, s[0:1]
	v_and_b32_e32 v17, 16, v42
	v_mov_b32_dpp v16, v15 row_bcast:15 row_mask:0xf bank_mask:0xf
	v_mov_b32_dpp v13, v14 row_bcast:15 row_mask:0xf bank_mask:0xf
	v_cmp_ne_u32_e32 vcc, 0, v17
	s_and_saveexec_b64 s[0:1], vcc
; %bb.93:
	v_add_co_u32_e32 v15, vcc, v23, v16
	v_addc_co_u32_e32 v14, vcc, 0, v24, vcc
	v_add_co_u32_e32 v23, vcc, 0, v15
	v_addc_co_u32_e32 v24, vcc, v13, v14, vcc
	v_mov_b32_e32 v14, v24
; %bb.94:
	s_or_b64 exec, exec, s[0:1]
	v_mov_b32_dpp v13, v15 row_bcast:31 row_mask:0xf bank_mask:0xf
	v_add_co_u32_e32 v13, vcc, v23, v13
	v_addc_co_u32_e32 v15, vcc, 0, v24, vcc
	v_mov_b32_dpp v14, v14 row_bcast:31 row_mask:0xf bank_mask:0xf
	v_add_co_u32_e32 v13, vcc, 0, v13
	v_addc_co_u32_e32 v14, vcc, v15, v14, vcc
	v_cmp_lt_u32_e32 vcc, 31, v42
	v_or_b32_e32 v15, 63, v0
	v_cndmask_b32_e32 v14, v24, v14, vcc
	v_cndmask_b32_e32 v13, v23, v13, vcc
	v_lshrrev_b32_e32 v19, 6, v0
	v_cmp_eq_u32_e32 vcc, v0, v15
	s_and_saveexec_b64 s[0:1], vcc
; %bb.95:
	v_lshlrev_b32_e32 v15, 3, v19
	ds_write_b64 v15, v[13:14]
; %bb.96:
	s_or_b64 exec, exec, s[0:1]
	v_cmp_gt_u32_e32 vcc, 4, v0
	s_waitcnt lgkmcnt(0)
	s_barrier
	s_and_saveexec_b64 s[0:1], vcc
	s_cbranch_execz .LBB41_100
; %bb.97:
	v_add_u32_e32 v17, v43, v0
	ds_read_b64 v[15:16], v17
	v_and_b32_e32 v18, 3, v42
	v_cmp_ne_u32_e32 vcc, 0, v18
	s_waitcnt lgkmcnt(0)
	v_mov_b32_dpp v24, v15 row_shr:1 row_mask:0xf bank_mask:0xf
	v_mov_b32_dpp v23, v16 row_shr:1 row_mask:0xf bank_mask:0xf
	v_mov_b32_e32 v20, v15
	s_and_saveexec_b64 s[4:5], vcc
; %bb.98:
	v_add_co_u32_e32 v20, vcc, v15, v24
	v_addc_co_u32_e32 v16, vcc, 0, v16, vcc
	v_add_co_u32_e32 v15, vcc, 0, v20
	v_addc_co_u32_e32 v16, vcc, v23, v16, vcc
; %bb.99:
	s_or_b64 exec, exec, s[4:5]
	v_mov_b32_dpp v20, v20 row_shr:2 row_mask:0xf bank_mask:0xf
	v_add_co_u32_e32 v20, vcc, v15, v20
	v_addc_co_u32_e32 v24, vcc, 0, v16, vcc
	v_mov_b32_dpp v23, v16 row_shr:2 row_mask:0xf bank_mask:0xf
	v_add_co_u32_e32 v20, vcc, 0, v20
	v_addc_co_u32_e32 v23, vcc, v24, v23, vcc
	v_cmp_lt_u32_e32 vcc, 1, v18
	v_cndmask_b32_e32 v16, v16, v23, vcc
	v_cndmask_b32_e32 v15, v15, v20, vcc
	ds_write_b64 v17, v[15:16]
.LBB41_100:
	s_or_b64 exec, exec, s[0:1]
	v_mov_b32_e32 v17, 0
	v_mov_b32_e32 v18, 0
	v_cmp_lt_u32_e32 vcc, 63, v0
	s_waitcnt lgkmcnt(0)
	s_barrier
	s_and_saveexec_b64 s[0:1], vcc
; %bb.101:
	v_lshl_add_u32 v15, v19, 3, -8
	ds_read_b64 v[17:18], v15
; %bb.102:
	s_or_b64 exec, exec, s[0:1]
	s_waitcnt lgkmcnt(0)
	v_add_co_u32_e32 v13, vcc, v17, v13
	v_addc_co_u32_e32 v14, vcc, v18, v14, vcc
	v_subrev_co_u32_e32 v15, vcc, 1, v42
	v_and_b32_e32 v16, 64, v42
	v_cmp_lt_i32_e64 s[0:1], v15, v16
	v_cndmask_b32_e64 v15, v15, v42, s[0:1]
	v_lshlrev_b32_e32 v15, 2, v15
	v_mov_b32_e32 v16, 0
	ds_bpermute_b32 v19, v15, v13
	ds_bpermute_b32 v20, v15, v14
	ds_read_b64 v[13:14], v16 offset:24
	v_cmp_eq_u32_e64 s[0:1], 0, v0
	s_and_saveexec_b64 s[4:5], s[0:1]
	s_cbranch_execz .LBB41_104
; %bb.103:
	s_add_u32 s6, s18, 0x400
	s_addc_u32 s7, s19, 0
	v_mov_b32_e32 v24, s7
	v_mov_b32_e32 v15, 2
	;; [unrolled: 1-line block ×3, first 2 shown]
	s_waitcnt lgkmcnt(0)
	;;#ASMSTART
	global_store_dwordx4 v[23:24], v[13:16] off	
s_waitcnt vmcnt(0)
	;;#ASMEND
.LBB41_104:
	s_or_b64 exec, exec, s[4:5]
	s_waitcnt lgkmcnt(2)
	v_cndmask_b32_e32 v15, v19, v17, vcc
	s_waitcnt lgkmcnt(1)
	v_cndmask_b32_e32 v16, v20, v18, vcc
	v_cndmask_b32_e64 v33, v15, 0, s[0:1]
	v_cndmask_b32_e64 v34, v16, 0, s[0:1]
	v_add_co_u32_e32 v31, vcc, v33, v41
	v_addc_co_u32_e32 v32, vcc, 0, v34, vcc
	v_add_co_u32_e32 v29, vcc, v31, v40
	v_addc_co_u32_e32 v30, vcc, 0, v32, vcc
	;; [unrolled: 2-line block ×5, first 2 shown]
	v_add_co_u32_e32 v19, vcc, v17, v36
	v_mov_b32_e32 v15, 0
	v_addc_co_u32_e32 v20, vcc, 0, v18, vcc
	s_waitcnt lgkmcnt(0)
	s_barrier
	v_mov_b32_e32 v16, 0
.LBB41_105:
	s_mov_b64 s[0:1], 0x101
	s_waitcnt lgkmcnt(0)
	v_cmp_gt_u64_e32 vcc, s[0:1], v[13:14]
	s_mov_b64 s[4:5], -1
	v_cmp_eq_u32_e64 s[0:1], 1, v41
	s_cbranch_vccnz .LBB41_109
; %bb.106:
	s_and_b64 vcc, exec, s[4:5]
	s_cbranch_vccnz .LBB41_124
.LBB41_107:
	v_cmp_eq_u32_e32 vcc, 0, v0
	s_and_b64 s[0:1], vcc, s[14:15]
	s_and_saveexec_b64 s[2:3], s[0:1]
	s_cbranch_execnz .LBB41_135
.LBB41_108:
	s_endpgm
.LBB41_109:
	v_add_co_u32_e32 v23, vcc, v15, v13
	v_addc_co_u32_e32 v24, vcc, v16, v14, vcc
	v_cmp_lt_u64_e32 vcc, v[33:34], v[23:24]
	s_or_b64 s[4:5], s[16:17], vcc
	s_and_b64 s[4:5], s[4:5], s[0:1]
	s_and_saveexec_b64 s[0:1], s[4:5]
	s_cbranch_execz .LBB41_111
; %bb.110:
	s_lshl_b64 s[4:5], s[10:11], 3
	s_add_u32 s4, s2, s4
	v_lshlrev_b64 v[42:43], 3, v[33:34]
	s_addc_u32 s5, s3, s5
	v_mov_b32_e32 v34, s5
	v_add_co_u32_e32 v42, vcc, s4, v42
	v_addc_co_u32_e32 v43, vcc, v34, v43, vcc
	global_store_dwordx2 v[42:43], v[9:10], off
.LBB41_111:
	s_or_b64 exec, exec, s[0:1]
	v_cmp_lt_u64_e32 vcc, v[31:32], v[23:24]
	s_or_b64 s[0:1], s[16:17], vcc
	v_cmp_eq_u32_e32 vcc, 1, v40
	s_and_b64 s[4:5], s[0:1], vcc
	s_and_saveexec_b64 s[0:1], s[4:5]
	s_cbranch_execz .LBB41_113
; %bb.112:
	s_lshl_b64 s[4:5], s[10:11], 3
	s_add_u32 s4, s2, s4
	v_lshlrev_b64 v[42:43], 3, v[31:32]
	s_addc_u32 s5, s3, s5
	v_mov_b32_e32 v32, s5
	v_add_co_u32_e32 v42, vcc, s4, v42
	v_addc_co_u32_e32 v43, vcc, v32, v43, vcc
	global_store_dwordx2 v[42:43], v[11:12], off
.LBB41_113:
	s_or_b64 exec, exec, s[0:1]
	v_cmp_lt_u64_e32 vcc, v[29:30], v[23:24]
	s_or_b64 s[0:1], s[16:17], vcc
	v_cmp_eq_u32_e32 vcc, 1, v39
	s_and_b64 s[4:5], s[0:1], vcc
	;; [unrolled: 17-line block ×6, first 2 shown]
	s_and_saveexec_b64 s[0:1], s[4:5]
	s_cbranch_execz .LBB41_123
; %bb.122:
	s_lshl_b64 s[4:5], s[10:11], 3
	s_add_u32 s4, s2, s4
	v_lshlrev_b64 v[23:24], 3, v[19:20]
	s_addc_u32 s5, s3, s5
	v_mov_b32_e32 v18, s5
	v_add_co_u32_e32 v23, vcc, s4, v23
	v_addc_co_u32_e32 v24, vcc, v18, v24, vcc
	global_store_dwordx2 v[23:24], v[21:22], off
.LBB41_123:
	s_or_b64 exec, exec, s[0:1]
	s_branch .LBB41_107
.LBB41_124:
	v_cmp_eq_u32_e32 vcc, 1, v41
	s_and_saveexec_b64 s[0:1], vcc
	s_cbranch_execnz .LBB41_136
; %bb.125:
	s_or_b64 exec, exec, s[0:1]
	v_cmp_eq_u32_e32 vcc, 1, v40
	s_and_saveexec_b64 s[0:1], vcc
	s_cbranch_execnz .LBB41_137
.LBB41_126:
	s_or_b64 exec, exec, s[0:1]
	v_cmp_eq_u32_e32 vcc, 1, v39
	s_and_saveexec_b64 s[0:1], vcc
	s_cbranch_execnz .LBB41_138
.LBB41_127:
	s_or_b64 exec, exec, s[0:1]
	v_cmp_eq_u32_e32 vcc, 1, v38
	s_and_saveexec_b64 s[0:1], vcc
	s_cbranch_execnz .LBB41_139
.LBB41_128:
	s_or_b64 exec, exec, s[0:1]
	v_cmp_eq_u32_e32 vcc, 1, v37
	s_and_saveexec_b64 s[0:1], vcc
	s_cbranch_execnz .LBB41_140
.LBB41_129:
	s_or_b64 exec, exec, s[0:1]
	v_cmp_eq_u32_e32 vcc, 1, v36
	s_and_saveexec_b64 s[0:1], vcc
	s_cbranch_execnz .LBB41_141
.LBB41_130:
	s_or_b64 exec, exec, s[0:1]
	v_cmp_eq_u32_e32 vcc, 1, v35
	s_and_saveexec_b64 s[0:1], vcc
.LBB41_131:
	v_sub_u32_e32 v1, v19, v15
	v_lshlrev_b32_e32 v1, 3, v1
	ds_write_b64 v1, v[21:22]
.LBB41_132:
	s_or_b64 exec, exec, s[0:1]
	v_lshlrev_b64 v[4:5], 3, v[15:16]
	v_mov_b32_e32 v2, s3
	v_add_co_u32_e32 v4, vcc, s2, v4
	v_mov_b32_e32 v3, 0
	v_addc_co_u32_e32 v2, vcc, v2, v5, vcc
	s_lshl_b64 s[0:1], s[10:11], 3
	v_mov_b32_e32 v1, v3
	v_mov_b32_e32 v5, s1
	v_add_co_u32_e32 v6, vcc, s0, v4
	v_addc_co_u32_e32 v7, vcc, v2, v5, vcc
	v_mov_b32_e32 v5, v1
	v_or_b32_e32 v2, 0x100, v0
	s_mov_b64 s[2:3], 0
	v_mov_b32_e32 v4, v0
	s_waitcnt vmcnt(0) lgkmcnt(0)
	s_barrier
.LBB41_133:                             ; =>This Inner Loop Header: Depth=1
	v_lshlrev_b32_e32 v1, 3, v4
	ds_read_b64 v[10:11], v1
	v_lshlrev_b64 v[8:9], 3, v[4:5]
	v_cmp_le_u64_e32 vcc, v[13:14], v[2:3]
	v_mov_b32_e32 v5, v3
	v_add_co_u32_e64 v8, s[0:1], v6, v8
	v_mov_b32_e32 v4, v2
	v_add_u32_e32 v2, 0x100, v2
	v_addc_co_u32_e64 v9, s[0:1], v7, v9, s[0:1]
	s_or_b64 s[2:3], vcc, s[2:3]
	s_waitcnt lgkmcnt(0)
	global_store_dwordx2 v[8:9], v[10:11], off
	s_andn2_b64 exec, exec, s[2:3]
	s_cbranch_execnz .LBB41_133
; %bb.134:
	s_or_b64 exec, exec, s[2:3]
	v_cmp_eq_u32_e32 vcc, 0, v0
	s_and_b64 s[0:1], vcc, s[14:15]
	s_and_saveexec_b64 s[2:3], s[0:1]
	s_cbranch_execz .LBB41_108
.LBB41_135:
	v_add_co_u32_e32 v0, vcc, v15, v13
	v_addc_co_u32_e32 v1, vcc, v16, v14, vcc
	v_mov_b32_e32 v3, s11
	v_add_co_u32_e32 v0, vcc, s10, v0
	v_mov_b32_e32 v2, 0
	v_addc_co_u32_e32 v1, vcc, v1, v3, vcc
	global_store_dwordx2 v2, v[0:1], s[12:13]
	s_endpgm
.LBB41_136:
	v_sub_u32_e32 v18, v33, v15
	v_lshlrev_b32_e32 v18, 3, v18
	ds_write_b64 v18, v[9:10]
	s_or_b64 exec, exec, s[0:1]
	v_cmp_eq_u32_e32 vcc, 1, v40
	s_and_saveexec_b64 s[0:1], vcc
	s_cbranch_execz .LBB41_126
.LBB41_137:
	v_sub_u32_e32 v9, v31, v15
	v_lshlrev_b32_e32 v9, 3, v9
	ds_write_b64 v9, v[11:12]
	s_or_b64 exec, exec, s[0:1]
	v_cmp_eq_u32_e32 vcc, 1, v39
	s_and_saveexec_b64 s[0:1], vcc
	s_cbranch_execz .LBB41_127
.LBB41_138:
	v_sub_u32_e32 v9, v29, v15
	v_lshlrev_b32_e32 v9, 3, v9
	ds_write_b64 v9, v[5:6]
	s_or_b64 exec, exec, s[0:1]
	v_cmp_eq_u32_e32 vcc, 1, v38
	s_and_saveexec_b64 s[0:1], vcc
	s_cbranch_execz .LBB41_128
.LBB41_139:
	v_sub_u32_e32 v5, v27, v15
	v_lshlrev_b32_e32 v5, 3, v5
	ds_write_b64 v5, v[7:8]
	s_or_b64 exec, exec, s[0:1]
	v_cmp_eq_u32_e32 vcc, 1, v37
	s_and_saveexec_b64 s[0:1], vcc
	s_cbranch_execz .LBB41_129
.LBB41_140:
	v_sub_u32_e32 v5, v25, v15
	v_lshlrev_b32_e32 v5, 3, v5
	ds_write_b64 v5, v[1:2]
	s_or_b64 exec, exec, s[0:1]
	v_cmp_eq_u32_e32 vcc, 1, v36
	s_and_saveexec_b64 s[0:1], vcc
	s_cbranch_execz .LBB41_130
.LBB41_141:
	v_sub_u32_e32 v1, v17, v15
	v_lshlrev_b32_e32 v1, 3, v1
	ds_write_b64 v1, v[3:4]
	s_or_b64 exec, exec, s[0:1]
	v_cmp_eq_u32_e32 vcc, 1, v35
	s_and_saveexec_b64 s[0:1], vcc
	s_cbranch_execnz .LBB41_131
	s_branch .LBB41_132
	.section	.rodata,"a",@progbits
	.p2align	6, 0x0
	.amdhsa_kernel _ZN7rocprim17ROCPRIM_400000_NS6detail17trampoline_kernelINS0_14default_configENS1_25partition_config_selectorILNS1_17partition_subalgoE5ElNS0_10empty_typeEbEEZZNS1_14partition_implILS5_5ELb0ES3_mN6hipcub16HIPCUB_304000_NS21CountingInputIteratorIllEEPS6_NSA_22TransformInputIteratorIb7NonZeroIaEPalEENS0_5tupleIJPlS6_EEENSJ_IJSD_SD_EEES6_SK_JS6_EEE10hipError_tPvRmT3_T4_T5_T6_T7_T9_mT8_P12ihipStream_tbDpT10_ENKUlT_T0_E_clISt17integral_constantIbLb0EES16_EEDaS11_S12_EUlS11_E_NS1_11comp_targetILNS1_3genE2ELNS1_11target_archE906ELNS1_3gpuE6ELNS1_3repE0EEENS1_30default_config_static_selectorELNS0_4arch9wavefront6targetE1EEEvT1_
		.amdhsa_group_segment_fixed_size 14352
		.amdhsa_private_segment_fixed_size 0
		.amdhsa_kernarg_size 120
		.amdhsa_user_sgpr_count 6
		.amdhsa_user_sgpr_private_segment_buffer 1
		.amdhsa_user_sgpr_dispatch_ptr 0
		.amdhsa_user_sgpr_queue_ptr 0
		.amdhsa_user_sgpr_kernarg_segment_ptr 1
		.amdhsa_user_sgpr_dispatch_id 0
		.amdhsa_user_sgpr_flat_scratch_init 0
		.amdhsa_user_sgpr_private_segment_size 0
		.amdhsa_uses_dynamic_stack 0
		.amdhsa_system_sgpr_private_segment_wavefront_offset 0
		.amdhsa_system_sgpr_workgroup_id_x 1
		.amdhsa_system_sgpr_workgroup_id_y 0
		.amdhsa_system_sgpr_workgroup_id_z 0
		.amdhsa_system_sgpr_workgroup_info 0
		.amdhsa_system_vgpr_workitem_id 0
		.amdhsa_next_free_vgpr 59
		.amdhsa_next_free_sgpr 98
		.amdhsa_reserve_vcc 1
		.amdhsa_reserve_flat_scratch 0
		.amdhsa_float_round_mode_32 0
		.amdhsa_float_round_mode_16_64 0
		.amdhsa_float_denorm_mode_32 3
		.amdhsa_float_denorm_mode_16_64 3
		.amdhsa_dx10_clamp 1
		.amdhsa_ieee_mode 1
		.amdhsa_fp16_overflow 0
		.amdhsa_exception_fp_ieee_invalid_op 0
		.amdhsa_exception_fp_denorm_src 0
		.amdhsa_exception_fp_ieee_div_zero 0
		.amdhsa_exception_fp_ieee_overflow 0
		.amdhsa_exception_fp_ieee_underflow 0
		.amdhsa_exception_fp_ieee_inexact 0
		.amdhsa_exception_int_div_zero 0
	.end_amdhsa_kernel
	.section	.text._ZN7rocprim17ROCPRIM_400000_NS6detail17trampoline_kernelINS0_14default_configENS1_25partition_config_selectorILNS1_17partition_subalgoE5ElNS0_10empty_typeEbEEZZNS1_14partition_implILS5_5ELb0ES3_mN6hipcub16HIPCUB_304000_NS21CountingInputIteratorIllEEPS6_NSA_22TransformInputIteratorIb7NonZeroIaEPalEENS0_5tupleIJPlS6_EEENSJ_IJSD_SD_EEES6_SK_JS6_EEE10hipError_tPvRmT3_T4_T5_T6_T7_T9_mT8_P12ihipStream_tbDpT10_ENKUlT_T0_E_clISt17integral_constantIbLb0EES16_EEDaS11_S12_EUlS11_E_NS1_11comp_targetILNS1_3genE2ELNS1_11target_archE906ELNS1_3gpuE6ELNS1_3repE0EEENS1_30default_config_static_selectorELNS0_4arch9wavefront6targetE1EEEvT1_,"axG",@progbits,_ZN7rocprim17ROCPRIM_400000_NS6detail17trampoline_kernelINS0_14default_configENS1_25partition_config_selectorILNS1_17partition_subalgoE5ElNS0_10empty_typeEbEEZZNS1_14partition_implILS5_5ELb0ES3_mN6hipcub16HIPCUB_304000_NS21CountingInputIteratorIllEEPS6_NSA_22TransformInputIteratorIb7NonZeroIaEPalEENS0_5tupleIJPlS6_EEENSJ_IJSD_SD_EEES6_SK_JS6_EEE10hipError_tPvRmT3_T4_T5_T6_T7_T9_mT8_P12ihipStream_tbDpT10_ENKUlT_T0_E_clISt17integral_constantIbLb0EES16_EEDaS11_S12_EUlS11_E_NS1_11comp_targetILNS1_3genE2ELNS1_11target_archE906ELNS1_3gpuE6ELNS1_3repE0EEENS1_30default_config_static_selectorELNS0_4arch9wavefront6targetE1EEEvT1_,comdat
.Lfunc_end41:
	.size	_ZN7rocprim17ROCPRIM_400000_NS6detail17trampoline_kernelINS0_14default_configENS1_25partition_config_selectorILNS1_17partition_subalgoE5ElNS0_10empty_typeEbEEZZNS1_14partition_implILS5_5ELb0ES3_mN6hipcub16HIPCUB_304000_NS21CountingInputIteratorIllEEPS6_NSA_22TransformInputIteratorIb7NonZeroIaEPalEENS0_5tupleIJPlS6_EEENSJ_IJSD_SD_EEES6_SK_JS6_EEE10hipError_tPvRmT3_T4_T5_T6_T7_T9_mT8_P12ihipStream_tbDpT10_ENKUlT_T0_E_clISt17integral_constantIbLb0EES16_EEDaS11_S12_EUlS11_E_NS1_11comp_targetILNS1_3genE2ELNS1_11target_archE906ELNS1_3gpuE6ELNS1_3repE0EEENS1_30default_config_static_selectorELNS0_4arch9wavefront6targetE1EEEvT1_, .Lfunc_end41-_ZN7rocprim17ROCPRIM_400000_NS6detail17trampoline_kernelINS0_14default_configENS1_25partition_config_selectorILNS1_17partition_subalgoE5ElNS0_10empty_typeEbEEZZNS1_14partition_implILS5_5ELb0ES3_mN6hipcub16HIPCUB_304000_NS21CountingInputIteratorIllEEPS6_NSA_22TransformInputIteratorIb7NonZeroIaEPalEENS0_5tupleIJPlS6_EEENSJ_IJSD_SD_EEES6_SK_JS6_EEE10hipError_tPvRmT3_T4_T5_T6_T7_T9_mT8_P12ihipStream_tbDpT10_ENKUlT_T0_E_clISt17integral_constantIbLb0EES16_EEDaS11_S12_EUlS11_E_NS1_11comp_targetILNS1_3genE2ELNS1_11target_archE906ELNS1_3gpuE6ELNS1_3repE0EEENS1_30default_config_static_selectorELNS0_4arch9wavefront6targetE1EEEvT1_
                                        ; -- End function
	.set _ZN7rocprim17ROCPRIM_400000_NS6detail17trampoline_kernelINS0_14default_configENS1_25partition_config_selectorILNS1_17partition_subalgoE5ElNS0_10empty_typeEbEEZZNS1_14partition_implILS5_5ELb0ES3_mN6hipcub16HIPCUB_304000_NS21CountingInputIteratorIllEEPS6_NSA_22TransformInputIteratorIb7NonZeroIaEPalEENS0_5tupleIJPlS6_EEENSJ_IJSD_SD_EEES6_SK_JS6_EEE10hipError_tPvRmT3_T4_T5_T6_T7_T9_mT8_P12ihipStream_tbDpT10_ENKUlT_T0_E_clISt17integral_constantIbLb0EES16_EEDaS11_S12_EUlS11_E_NS1_11comp_targetILNS1_3genE2ELNS1_11target_archE906ELNS1_3gpuE6ELNS1_3repE0EEENS1_30default_config_static_selectorELNS0_4arch9wavefront6targetE1EEEvT1_.num_vgpr, 59
	.set _ZN7rocprim17ROCPRIM_400000_NS6detail17trampoline_kernelINS0_14default_configENS1_25partition_config_selectorILNS1_17partition_subalgoE5ElNS0_10empty_typeEbEEZZNS1_14partition_implILS5_5ELb0ES3_mN6hipcub16HIPCUB_304000_NS21CountingInputIteratorIllEEPS6_NSA_22TransformInputIteratorIb7NonZeroIaEPalEENS0_5tupleIJPlS6_EEENSJ_IJSD_SD_EEES6_SK_JS6_EEE10hipError_tPvRmT3_T4_T5_T6_T7_T9_mT8_P12ihipStream_tbDpT10_ENKUlT_T0_E_clISt17integral_constantIbLb0EES16_EEDaS11_S12_EUlS11_E_NS1_11comp_targetILNS1_3genE2ELNS1_11target_archE906ELNS1_3gpuE6ELNS1_3repE0EEENS1_30default_config_static_selectorELNS0_4arch9wavefront6targetE1EEEvT1_.num_agpr, 0
	.set _ZN7rocprim17ROCPRIM_400000_NS6detail17trampoline_kernelINS0_14default_configENS1_25partition_config_selectorILNS1_17partition_subalgoE5ElNS0_10empty_typeEbEEZZNS1_14partition_implILS5_5ELb0ES3_mN6hipcub16HIPCUB_304000_NS21CountingInputIteratorIllEEPS6_NSA_22TransformInputIteratorIb7NonZeroIaEPalEENS0_5tupleIJPlS6_EEENSJ_IJSD_SD_EEES6_SK_JS6_EEE10hipError_tPvRmT3_T4_T5_T6_T7_T9_mT8_P12ihipStream_tbDpT10_ENKUlT_T0_E_clISt17integral_constantIbLb0EES16_EEDaS11_S12_EUlS11_E_NS1_11comp_targetILNS1_3genE2ELNS1_11target_archE906ELNS1_3gpuE6ELNS1_3repE0EEENS1_30default_config_static_selectorELNS0_4arch9wavefront6targetE1EEEvT1_.numbered_sgpr, 26
	.set _ZN7rocprim17ROCPRIM_400000_NS6detail17trampoline_kernelINS0_14default_configENS1_25partition_config_selectorILNS1_17partition_subalgoE5ElNS0_10empty_typeEbEEZZNS1_14partition_implILS5_5ELb0ES3_mN6hipcub16HIPCUB_304000_NS21CountingInputIteratorIllEEPS6_NSA_22TransformInputIteratorIb7NonZeroIaEPalEENS0_5tupleIJPlS6_EEENSJ_IJSD_SD_EEES6_SK_JS6_EEE10hipError_tPvRmT3_T4_T5_T6_T7_T9_mT8_P12ihipStream_tbDpT10_ENKUlT_T0_E_clISt17integral_constantIbLb0EES16_EEDaS11_S12_EUlS11_E_NS1_11comp_targetILNS1_3genE2ELNS1_11target_archE906ELNS1_3gpuE6ELNS1_3repE0EEENS1_30default_config_static_selectorELNS0_4arch9wavefront6targetE1EEEvT1_.num_named_barrier, 0
	.set _ZN7rocprim17ROCPRIM_400000_NS6detail17trampoline_kernelINS0_14default_configENS1_25partition_config_selectorILNS1_17partition_subalgoE5ElNS0_10empty_typeEbEEZZNS1_14partition_implILS5_5ELb0ES3_mN6hipcub16HIPCUB_304000_NS21CountingInputIteratorIllEEPS6_NSA_22TransformInputIteratorIb7NonZeroIaEPalEENS0_5tupleIJPlS6_EEENSJ_IJSD_SD_EEES6_SK_JS6_EEE10hipError_tPvRmT3_T4_T5_T6_T7_T9_mT8_P12ihipStream_tbDpT10_ENKUlT_T0_E_clISt17integral_constantIbLb0EES16_EEDaS11_S12_EUlS11_E_NS1_11comp_targetILNS1_3genE2ELNS1_11target_archE906ELNS1_3gpuE6ELNS1_3repE0EEENS1_30default_config_static_selectorELNS0_4arch9wavefront6targetE1EEEvT1_.private_seg_size, 0
	.set _ZN7rocprim17ROCPRIM_400000_NS6detail17trampoline_kernelINS0_14default_configENS1_25partition_config_selectorILNS1_17partition_subalgoE5ElNS0_10empty_typeEbEEZZNS1_14partition_implILS5_5ELb0ES3_mN6hipcub16HIPCUB_304000_NS21CountingInputIteratorIllEEPS6_NSA_22TransformInputIteratorIb7NonZeroIaEPalEENS0_5tupleIJPlS6_EEENSJ_IJSD_SD_EEES6_SK_JS6_EEE10hipError_tPvRmT3_T4_T5_T6_T7_T9_mT8_P12ihipStream_tbDpT10_ENKUlT_T0_E_clISt17integral_constantIbLb0EES16_EEDaS11_S12_EUlS11_E_NS1_11comp_targetILNS1_3genE2ELNS1_11target_archE906ELNS1_3gpuE6ELNS1_3repE0EEENS1_30default_config_static_selectorELNS0_4arch9wavefront6targetE1EEEvT1_.uses_vcc, 1
	.set _ZN7rocprim17ROCPRIM_400000_NS6detail17trampoline_kernelINS0_14default_configENS1_25partition_config_selectorILNS1_17partition_subalgoE5ElNS0_10empty_typeEbEEZZNS1_14partition_implILS5_5ELb0ES3_mN6hipcub16HIPCUB_304000_NS21CountingInputIteratorIllEEPS6_NSA_22TransformInputIteratorIb7NonZeroIaEPalEENS0_5tupleIJPlS6_EEENSJ_IJSD_SD_EEES6_SK_JS6_EEE10hipError_tPvRmT3_T4_T5_T6_T7_T9_mT8_P12ihipStream_tbDpT10_ENKUlT_T0_E_clISt17integral_constantIbLb0EES16_EEDaS11_S12_EUlS11_E_NS1_11comp_targetILNS1_3genE2ELNS1_11target_archE906ELNS1_3gpuE6ELNS1_3repE0EEENS1_30default_config_static_selectorELNS0_4arch9wavefront6targetE1EEEvT1_.uses_flat_scratch, 0
	.set _ZN7rocprim17ROCPRIM_400000_NS6detail17trampoline_kernelINS0_14default_configENS1_25partition_config_selectorILNS1_17partition_subalgoE5ElNS0_10empty_typeEbEEZZNS1_14partition_implILS5_5ELb0ES3_mN6hipcub16HIPCUB_304000_NS21CountingInputIteratorIllEEPS6_NSA_22TransformInputIteratorIb7NonZeroIaEPalEENS0_5tupleIJPlS6_EEENSJ_IJSD_SD_EEES6_SK_JS6_EEE10hipError_tPvRmT3_T4_T5_T6_T7_T9_mT8_P12ihipStream_tbDpT10_ENKUlT_T0_E_clISt17integral_constantIbLb0EES16_EEDaS11_S12_EUlS11_E_NS1_11comp_targetILNS1_3genE2ELNS1_11target_archE906ELNS1_3gpuE6ELNS1_3repE0EEENS1_30default_config_static_selectorELNS0_4arch9wavefront6targetE1EEEvT1_.has_dyn_sized_stack, 0
	.set _ZN7rocprim17ROCPRIM_400000_NS6detail17trampoline_kernelINS0_14default_configENS1_25partition_config_selectorILNS1_17partition_subalgoE5ElNS0_10empty_typeEbEEZZNS1_14partition_implILS5_5ELb0ES3_mN6hipcub16HIPCUB_304000_NS21CountingInputIteratorIllEEPS6_NSA_22TransformInputIteratorIb7NonZeroIaEPalEENS0_5tupleIJPlS6_EEENSJ_IJSD_SD_EEES6_SK_JS6_EEE10hipError_tPvRmT3_T4_T5_T6_T7_T9_mT8_P12ihipStream_tbDpT10_ENKUlT_T0_E_clISt17integral_constantIbLb0EES16_EEDaS11_S12_EUlS11_E_NS1_11comp_targetILNS1_3genE2ELNS1_11target_archE906ELNS1_3gpuE6ELNS1_3repE0EEENS1_30default_config_static_selectorELNS0_4arch9wavefront6targetE1EEEvT1_.has_recursion, 0
	.set _ZN7rocprim17ROCPRIM_400000_NS6detail17trampoline_kernelINS0_14default_configENS1_25partition_config_selectorILNS1_17partition_subalgoE5ElNS0_10empty_typeEbEEZZNS1_14partition_implILS5_5ELb0ES3_mN6hipcub16HIPCUB_304000_NS21CountingInputIteratorIllEEPS6_NSA_22TransformInputIteratorIb7NonZeroIaEPalEENS0_5tupleIJPlS6_EEENSJ_IJSD_SD_EEES6_SK_JS6_EEE10hipError_tPvRmT3_T4_T5_T6_T7_T9_mT8_P12ihipStream_tbDpT10_ENKUlT_T0_E_clISt17integral_constantIbLb0EES16_EEDaS11_S12_EUlS11_E_NS1_11comp_targetILNS1_3genE2ELNS1_11target_archE906ELNS1_3gpuE6ELNS1_3repE0EEENS1_30default_config_static_selectorELNS0_4arch9wavefront6targetE1EEEvT1_.has_indirect_call, 0
	.section	.AMDGPU.csdata,"",@progbits
; Kernel info:
; codeLenInByte = 5880
; TotalNumSgprs: 30
; NumVgprs: 59
; ScratchSize: 0
; MemoryBound: 0
; FloatMode: 240
; IeeeMode: 1
; LDSByteSize: 14352 bytes/workgroup (compile time only)
; SGPRBlocks: 12
; VGPRBlocks: 14
; NumSGPRsForWavesPerEU: 102
; NumVGPRsForWavesPerEU: 59
; Occupancy: 4
; WaveLimiterHint : 1
; COMPUTE_PGM_RSRC2:SCRATCH_EN: 0
; COMPUTE_PGM_RSRC2:USER_SGPR: 6
; COMPUTE_PGM_RSRC2:TRAP_HANDLER: 0
; COMPUTE_PGM_RSRC2:TGID_X_EN: 1
; COMPUTE_PGM_RSRC2:TGID_Y_EN: 0
; COMPUTE_PGM_RSRC2:TGID_Z_EN: 0
; COMPUTE_PGM_RSRC2:TIDIG_COMP_CNT: 0
	.section	.text._ZN7rocprim17ROCPRIM_400000_NS6detail17trampoline_kernelINS0_14default_configENS1_25partition_config_selectorILNS1_17partition_subalgoE5ElNS0_10empty_typeEbEEZZNS1_14partition_implILS5_5ELb0ES3_mN6hipcub16HIPCUB_304000_NS21CountingInputIteratorIllEEPS6_NSA_22TransformInputIteratorIb7NonZeroIaEPalEENS0_5tupleIJPlS6_EEENSJ_IJSD_SD_EEES6_SK_JS6_EEE10hipError_tPvRmT3_T4_T5_T6_T7_T9_mT8_P12ihipStream_tbDpT10_ENKUlT_T0_E_clISt17integral_constantIbLb0EES16_EEDaS11_S12_EUlS11_E_NS1_11comp_targetILNS1_3genE10ELNS1_11target_archE1200ELNS1_3gpuE4ELNS1_3repE0EEENS1_30default_config_static_selectorELNS0_4arch9wavefront6targetE1EEEvT1_,"axG",@progbits,_ZN7rocprim17ROCPRIM_400000_NS6detail17trampoline_kernelINS0_14default_configENS1_25partition_config_selectorILNS1_17partition_subalgoE5ElNS0_10empty_typeEbEEZZNS1_14partition_implILS5_5ELb0ES3_mN6hipcub16HIPCUB_304000_NS21CountingInputIteratorIllEEPS6_NSA_22TransformInputIteratorIb7NonZeroIaEPalEENS0_5tupleIJPlS6_EEENSJ_IJSD_SD_EEES6_SK_JS6_EEE10hipError_tPvRmT3_T4_T5_T6_T7_T9_mT8_P12ihipStream_tbDpT10_ENKUlT_T0_E_clISt17integral_constantIbLb0EES16_EEDaS11_S12_EUlS11_E_NS1_11comp_targetILNS1_3genE10ELNS1_11target_archE1200ELNS1_3gpuE4ELNS1_3repE0EEENS1_30default_config_static_selectorELNS0_4arch9wavefront6targetE1EEEvT1_,comdat
	.protected	_ZN7rocprim17ROCPRIM_400000_NS6detail17trampoline_kernelINS0_14default_configENS1_25partition_config_selectorILNS1_17partition_subalgoE5ElNS0_10empty_typeEbEEZZNS1_14partition_implILS5_5ELb0ES3_mN6hipcub16HIPCUB_304000_NS21CountingInputIteratorIllEEPS6_NSA_22TransformInputIteratorIb7NonZeroIaEPalEENS0_5tupleIJPlS6_EEENSJ_IJSD_SD_EEES6_SK_JS6_EEE10hipError_tPvRmT3_T4_T5_T6_T7_T9_mT8_P12ihipStream_tbDpT10_ENKUlT_T0_E_clISt17integral_constantIbLb0EES16_EEDaS11_S12_EUlS11_E_NS1_11comp_targetILNS1_3genE10ELNS1_11target_archE1200ELNS1_3gpuE4ELNS1_3repE0EEENS1_30default_config_static_selectorELNS0_4arch9wavefront6targetE1EEEvT1_ ; -- Begin function _ZN7rocprim17ROCPRIM_400000_NS6detail17trampoline_kernelINS0_14default_configENS1_25partition_config_selectorILNS1_17partition_subalgoE5ElNS0_10empty_typeEbEEZZNS1_14partition_implILS5_5ELb0ES3_mN6hipcub16HIPCUB_304000_NS21CountingInputIteratorIllEEPS6_NSA_22TransformInputIteratorIb7NonZeroIaEPalEENS0_5tupleIJPlS6_EEENSJ_IJSD_SD_EEES6_SK_JS6_EEE10hipError_tPvRmT3_T4_T5_T6_T7_T9_mT8_P12ihipStream_tbDpT10_ENKUlT_T0_E_clISt17integral_constantIbLb0EES16_EEDaS11_S12_EUlS11_E_NS1_11comp_targetILNS1_3genE10ELNS1_11target_archE1200ELNS1_3gpuE4ELNS1_3repE0EEENS1_30default_config_static_selectorELNS0_4arch9wavefront6targetE1EEEvT1_
	.globl	_ZN7rocprim17ROCPRIM_400000_NS6detail17trampoline_kernelINS0_14default_configENS1_25partition_config_selectorILNS1_17partition_subalgoE5ElNS0_10empty_typeEbEEZZNS1_14partition_implILS5_5ELb0ES3_mN6hipcub16HIPCUB_304000_NS21CountingInputIteratorIllEEPS6_NSA_22TransformInputIteratorIb7NonZeroIaEPalEENS0_5tupleIJPlS6_EEENSJ_IJSD_SD_EEES6_SK_JS6_EEE10hipError_tPvRmT3_T4_T5_T6_T7_T9_mT8_P12ihipStream_tbDpT10_ENKUlT_T0_E_clISt17integral_constantIbLb0EES16_EEDaS11_S12_EUlS11_E_NS1_11comp_targetILNS1_3genE10ELNS1_11target_archE1200ELNS1_3gpuE4ELNS1_3repE0EEENS1_30default_config_static_selectorELNS0_4arch9wavefront6targetE1EEEvT1_
	.p2align	8
	.type	_ZN7rocprim17ROCPRIM_400000_NS6detail17trampoline_kernelINS0_14default_configENS1_25partition_config_selectorILNS1_17partition_subalgoE5ElNS0_10empty_typeEbEEZZNS1_14partition_implILS5_5ELb0ES3_mN6hipcub16HIPCUB_304000_NS21CountingInputIteratorIllEEPS6_NSA_22TransformInputIteratorIb7NonZeroIaEPalEENS0_5tupleIJPlS6_EEENSJ_IJSD_SD_EEES6_SK_JS6_EEE10hipError_tPvRmT3_T4_T5_T6_T7_T9_mT8_P12ihipStream_tbDpT10_ENKUlT_T0_E_clISt17integral_constantIbLb0EES16_EEDaS11_S12_EUlS11_E_NS1_11comp_targetILNS1_3genE10ELNS1_11target_archE1200ELNS1_3gpuE4ELNS1_3repE0EEENS1_30default_config_static_selectorELNS0_4arch9wavefront6targetE1EEEvT1_,@function
_ZN7rocprim17ROCPRIM_400000_NS6detail17trampoline_kernelINS0_14default_configENS1_25partition_config_selectorILNS1_17partition_subalgoE5ElNS0_10empty_typeEbEEZZNS1_14partition_implILS5_5ELb0ES3_mN6hipcub16HIPCUB_304000_NS21CountingInputIteratorIllEEPS6_NSA_22TransformInputIteratorIb7NonZeroIaEPalEENS0_5tupleIJPlS6_EEENSJ_IJSD_SD_EEES6_SK_JS6_EEE10hipError_tPvRmT3_T4_T5_T6_T7_T9_mT8_P12ihipStream_tbDpT10_ENKUlT_T0_E_clISt17integral_constantIbLb0EES16_EEDaS11_S12_EUlS11_E_NS1_11comp_targetILNS1_3genE10ELNS1_11target_archE1200ELNS1_3gpuE4ELNS1_3repE0EEENS1_30default_config_static_selectorELNS0_4arch9wavefront6targetE1EEEvT1_: ; @_ZN7rocprim17ROCPRIM_400000_NS6detail17trampoline_kernelINS0_14default_configENS1_25partition_config_selectorILNS1_17partition_subalgoE5ElNS0_10empty_typeEbEEZZNS1_14partition_implILS5_5ELb0ES3_mN6hipcub16HIPCUB_304000_NS21CountingInputIteratorIllEEPS6_NSA_22TransformInputIteratorIb7NonZeroIaEPalEENS0_5tupleIJPlS6_EEENSJ_IJSD_SD_EEES6_SK_JS6_EEE10hipError_tPvRmT3_T4_T5_T6_T7_T9_mT8_P12ihipStream_tbDpT10_ENKUlT_T0_E_clISt17integral_constantIbLb0EES16_EEDaS11_S12_EUlS11_E_NS1_11comp_targetILNS1_3genE10ELNS1_11target_archE1200ELNS1_3gpuE4ELNS1_3repE0EEENS1_30default_config_static_selectorELNS0_4arch9wavefront6targetE1EEEvT1_
; %bb.0:
	.section	.rodata,"a",@progbits
	.p2align	6, 0x0
	.amdhsa_kernel _ZN7rocprim17ROCPRIM_400000_NS6detail17trampoline_kernelINS0_14default_configENS1_25partition_config_selectorILNS1_17partition_subalgoE5ElNS0_10empty_typeEbEEZZNS1_14partition_implILS5_5ELb0ES3_mN6hipcub16HIPCUB_304000_NS21CountingInputIteratorIllEEPS6_NSA_22TransformInputIteratorIb7NonZeroIaEPalEENS0_5tupleIJPlS6_EEENSJ_IJSD_SD_EEES6_SK_JS6_EEE10hipError_tPvRmT3_T4_T5_T6_T7_T9_mT8_P12ihipStream_tbDpT10_ENKUlT_T0_E_clISt17integral_constantIbLb0EES16_EEDaS11_S12_EUlS11_E_NS1_11comp_targetILNS1_3genE10ELNS1_11target_archE1200ELNS1_3gpuE4ELNS1_3repE0EEENS1_30default_config_static_selectorELNS0_4arch9wavefront6targetE1EEEvT1_
		.amdhsa_group_segment_fixed_size 0
		.amdhsa_private_segment_fixed_size 0
		.amdhsa_kernarg_size 120
		.amdhsa_user_sgpr_count 6
		.amdhsa_user_sgpr_private_segment_buffer 1
		.amdhsa_user_sgpr_dispatch_ptr 0
		.amdhsa_user_sgpr_queue_ptr 0
		.amdhsa_user_sgpr_kernarg_segment_ptr 1
		.amdhsa_user_sgpr_dispatch_id 0
		.amdhsa_user_sgpr_flat_scratch_init 0
		.amdhsa_user_sgpr_private_segment_size 0
		.amdhsa_uses_dynamic_stack 0
		.amdhsa_system_sgpr_private_segment_wavefront_offset 0
		.amdhsa_system_sgpr_workgroup_id_x 1
		.amdhsa_system_sgpr_workgroup_id_y 0
		.amdhsa_system_sgpr_workgroup_id_z 0
		.amdhsa_system_sgpr_workgroup_info 0
		.amdhsa_system_vgpr_workitem_id 0
		.amdhsa_next_free_vgpr 1
		.amdhsa_next_free_sgpr 0
		.amdhsa_reserve_vcc 0
		.amdhsa_reserve_flat_scratch 0
		.amdhsa_float_round_mode_32 0
		.amdhsa_float_round_mode_16_64 0
		.amdhsa_float_denorm_mode_32 3
		.amdhsa_float_denorm_mode_16_64 3
		.amdhsa_dx10_clamp 1
		.amdhsa_ieee_mode 1
		.amdhsa_fp16_overflow 0
		.amdhsa_exception_fp_ieee_invalid_op 0
		.amdhsa_exception_fp_denorm_src 0
		.amdhsa_exception_fp_ieee_div_zero 0
		.amdhsa_exception_fp_ieee_overflow 0
		.amdhsa_exception_fp_ieee_underflow 0
		.amdhsa_exception_fp_ieee_inexact 0
		.amdhsa_exception_int_div_zero 0
	.end_amdhsa_kernel
	.section	.text._ZN7rocprim17ROCPRIM_400000_NS6detail17trampoline_kernelINS0_14default_configENS1_25partition_config_selectorILNS1_17partition_subalgoE5ElNS0_10empty_typeEbEEZZNS1_14partition_implILS5_5ELb0ES3_mN6hipcub16HIPCUB_304000_NS21CountingInputIteratorIllEEPS6_NSA_22TransformInputIteratorIb7NonZeroIaEPalEENS0_5tupleIJPlS6_EEENSJ_IJSD_SD_EEES6_SK_JS6_EEE10hipError_tPvRmT3_T4_T5_T6_T7_T9_mT8_P12ihipStream_tbDpT10_ENKUlT_T0_E_clISt17integral_constantIbLb0EES16_EEDaS11_S12_EUlS11_E_NS1_11comp_targetILNS1_3genE10ELNS1_11target_archE1200ELNS1_3gpuE4ELNS1_3repE0EEENS1_30default_config_static_selectorELNS0_4arch9wavefront6targetE1EEEvT1_,"axG",@progbits,_ZN7rocprim17ROCPRIM_400000_NS6detail17trampoline_kernelINS0_14default_configENS1_25partition_config_selectorILNS1_17partition_subalgoE5ElNS0_10empty_typeEbEEZZNS1_14partition_implILS5_5ELb0ES3_mN6hipcub16HIPCUB_304000_NS21CountingInputIteratorIllEEPS6_NSA_22TransformInputIteratorIb7NonZeroIaEPalEENS0_5tupleIJPlS6_EEENSJ_IJSD_SD_EEES6_SK_JS6_EEE10hipError_tPvRmT3_T4_T5_T6_T7_T9_mT8_P12ihipStream_tbDpT10_ENKUlT_T0_E_clISt17integral_constantIbLb0EES16_EEDaS11_S12_EUlS11_E_NS1_11comp_targetILNS1_3genE10ELNS1_11target_archE1200ELNS1_3gpuE4ELNS1_3repE0EEENS1_30default_config_static_selectorELNS0_4arch9wavefront6targetE1EEEvT1_,comdat
.Lfunc_end42:
	.size	_ZN7rocprim17ROCPRIM_400000_NS6detail17trampoline_kernelINS0_14default_configENS1_25partition_config_selectorILNS1_17partition_subalgoE5ElNS0_10empty_typeEbEEZZNS1_14partition_implILS5_5ELb0ES3_mN6hipcub16HIPCUB_304000_NS21CountingInputIteratorIllEEPS6_NSA_22TransformInputIteratorIb7NonZeroIaEPalEENS0_5tupleIJPlS6_EEENSJ_IJSD_SD_EEES6_SK_JS6_EEE10hipError_tPvRmT3_T4_T5_T6_T7_T9_mT8_P12ihipStream_tbDpT10_ENKUlT_T0_E_clISt17integral_constantIbLb0EES16_EEDaS11_S12_EUlS11_E_NS1_11comp_targetILNS1_3genE10ELNS1_11target_archE1200ELNS1_3gpuE4ELNS1_3repE0EEENS1_30default_config_static_selectorELNS0_4arch9wavefront6targetE1EEEvT1_, .Lfunc_end42-_ZN7rocprim17ROCPRIM_400000_NS6detail17trampoline_kernelINS0_14default_configENS1_25partition_config_selectorILNS1_17partition_subalgoE5ElNS0_10empty_typeEbEEZZNS1_14partition_implILS5_5ELb0ES3_mN6hipcub16HIPCUB_304000_NS21CountingInputIteratorIllEEPS6_NSA_22TransformInputIteratorIb7NonZeroIaEPalEENS0_5tupleIJPlS6_EEENSJ_IJSD_SD_EEES6_SK_JS6_EEE10hipError_tPvRmT3_T4_T5_T6_T7_T9_mT8_P12ihipStream_tbDpT10_ENKUlT_T0_E_clISt17integral_constantIbLb0EES16_EEDaS11_S12_EUlS11_E_NS1_11comp_targetILNS1_3genE10ELNS1_11target_archE1200ELNS1_3gpuE4ELNS1_3repE0EEENS1_30default_config_static_selectorELNS0_4arch9wavefront6targetE1EEEvT1_
                                        ; -- End function
	.set _ZN7rocprim17ROCPRIM_400000_NS6detail17trampoline_kernelINS0_14default_configENS1_25partition_config_selectorILNS1_17partition_subalgoE5ElNS0_10empty_typeEbEEZZNS1_14partition_implILS5_5ELb0ES3_mN6hipcub16HIPCUB_304000_NS21CountingInputIteratorIllEEPS6_NSA_22TransformInputIteratorIb7NonZeroIaEPalEENS0_5tupleIJPlS6_EEENSJ_IJSD_SD_EEES6_SK_JS6_EEE10hipError_tPvRmT3_T4_T5_T6_T7_T9_mT8_P12ihipStream_tbDpT10_ENKUlT_T0_E_clISt17integral_constantIbLb0EES16_EEDaS11_S12_EUlS11_E_NS1_11comp_targetILNS1_3genE10ELNS1_11target_archE1200ELNS1_3gpuE4ELNS1_3repE0EEENS1_30default_config_static_selectorELNS0_4arch9wavefront6targetE1EEEvT1_.num_vgpr, 0
	.set _ZN7rocprim17ROCPRIM_400000_NS6detail17trampoline_kernelINS0_14default_configENS1_25partition_config_selectorILNS1_17partition_subalgoE5ElNS0_10empty_typeEbEEZZNS1_14partition_implILS5_5ELb0ES3_mN6hipcub16HIPCUB_304000_NS21CountingInputIteratorIllEEPS6_NSA_22TransformInputIteratorIb7NonZeroIaEPalEENS0_5tupleIJPlS6_EEENSJ_IJSD_SD_EEES6_SK_JS6_EEE10hipError_tPvRmT3_T4_T5_T6_T7_T9_mT8_P12ihipStream_tbDpT10_ENKUlT_T0_E_clISt17integral_constantIbLb0EES16_EEDaS11_S12_EUlS11_E_NS1_11comp_targetILNS1_3genE10ELNS1_11target_archE1200ELNS1_3gpuE4ELNS1_3repE0EEENS1_30default_config_static_selectorELNS0_4arch9wavefront6targetE1EEEvT1_.num_agpr, 0
	.set _ZN7rocprim17ROCPRIM_400000_NS6detail17trampoline_kernelINS0_14default_configENS1_25partition_config_selectorILNS1_17partition_subalgoE5ElNS0_10empty_typeEbEEZZNS1_14partition_implILS5_5ELb0ES3_mN6hipcub16HIPCUB_304000_NS21CountingInputIteratorIllEEPS6_NSA_22TransformInputIteratorIb7NonZeroIaEPalEENS0_5tupleIJPlS6_EEENSJ_IJSD_SD_EEES6_SK_JS6_EEE10hipError_tPvRmT3_T4_T5_T6_T7_T9_mT8_P12ihipStream_tbDpT10_ENKUlT_T0_E_clISt17integral_constantIbLb0EES16_EEDaS11_S12_EUlS11_E_NS1_11comp_targetILNS1_3genE10ELNS1_11target_archE1200ELNS1_3gpuE4ELNS1_3repE0EEENS1_30default_config_static_selectorELNS0_4arch9wavefront6targetE1EEEvT1_.numbered_sgpr, 0
	.set _ZN7rocprim17ROCPRIM_400000_NS6detail17trampoline_kernelINS0_14default_configENS1_25partition_config_selectorILNS1_17partition_subalgoE5ElNS0_10empty_typeEbEEZZNS1_14partition_implILS5_5ELb0ES3_mN6hipcub16HIPCUB_304000_NS21CountingInputIteratorIllEEPS6_NSA_22TransformInputIteratorIb7NonZeroIaEPalEENS0_5tupleIJPlS6_EEENSJ_IJSD_SD_EEES6_SK_JS6_EEE10hipError_tPvRmT3_T4_T5_T6_T7_T9_mT8_P12ihipStream_tbDpT10_ENKUlT_T0_E_clISt17integral_constantIbLb0EES16_EEDaS11_S12_EUlS11_E_NS1_11comp_targetILNS1_3genE10ELNS1_11target_archE1200ELNS1_3gpuE4ELNS1_3repE0EEENS1_30default_config_static_selectorELNS0_4arch9wavefront6targetE1EEEvT1_.num_named_barrier, 0
	.set _ZN7rocprim17ROCPRIM_400000_NS6detail17trampoline_kernelINS0_14default_configENS1_25partition_config_selectorILNS1_17partition_subalgoE5ElNS0_10empty_typeEbEEZZNS1_14partition_implILS5_5ELb0ES3_mN6hipcub16HIPCUB_304000_NS21CountingInputIteratorIllEEPS6_NSA_22TransformInputIteratorIb7NonZeroIaEPalEENS0_5tupleIJPlS6_EEENSJ_IJSD_SD_EEES6_SK_JS6_EEE10hipError_tPvRmT3_T4_T5_T6_T7_T9_mT8_P12ihipStream_tbDpT10_ENKUlT_T0_E_clISt17integral_constantIbLb0EES16_EEDaS11_S12_EUlS11_E_NS1_11comp_targetILNS1_3genE10ELNS1_11target_archE1200ELNS1_3gpuE4ELNS1_3repE0EEENS1_30default_config_static_selectorELNS0_4arch9wavefront6targetE1EEEvT1_.private_seg_size, 0
	.set _ZN7rocprim17ROCPRIM_400000_NS6detail17trampoline_kernelINS0_14default_configENS1_25partition_config_selectorILNS1_17partition_subalgoE5ElNS0_10empty_typeEbEEZZNS1_14partition_implILS5_5ELb0ES3_mN6hipcub16HIPCUB_304000_NS21CountingInputIteratorIllEEPS6_NSA_22TransformInputIteratorIb7NonZeroIaEPalEENS0_5tupleIJPlS6_EEENSJ_IJSD_SD_EEES6_SK_JS6_EEE10hipError_tPvRmT3_T4_T5_T6_T7_T9_mT8_P12ihipStream_tbDpT10_ENKUlT_T0_E_clISt17integral_constantIbLb0EES16_EEDaS11_S12_EUlS11_E_NS1_11comp_targetILNS1_3genE10ELNS1_11target_archE1200ELNS1_3gpuE4ELNS1_3repE0EEENS1_30default_config_static_selectorELNS0_4arch9wavefront6targetE1EEEvT1_.uses_vcc, 0
	.set _ZN7rocprim17ROCPRIM_400000_NS6detail17trampoline_kernelINS0_14default_configENS1_25partition_config_selectorILNS1_17partition_subalgoE5ElNS0_10empty_typeEbEEZZNS1_14partition_implILS5_5ELb0ES3_mN6hipcub16HIPCUB_304000_NS21CountingInputIteratorIllEEPS6_NSA_22TransformInputIteratorIb7NonZeroIaEPalEENS0_5tupleIJPlS6_EEENSJ_IJSD_SD_EEES6_SK_JS6_EEE10hipError_tPvRmT3_T4_T5_T6_T7_T9_mT8_P12ihipStream_tbDpT10_ENKUlT_T0_E_clISt17integral_constantIbLb0EES16_EEDaS11_S12_EUlS11_E_NS1_11comp_targetILNS1_3genE10ELNS1_11target_archE1200ELNS1_3gpuE4ELNS1_3repE0EEENS1_30default_config_static_selectorELNS0_4arch9wavefront6targetE1EEEvT1_.uses_flat_scratch, 0
	.set _ZN7rocprim17ROCPRIM_400000_NS6detail17trampoline_kernelINS0_14default_configENS1_25partition_config_selectorILNS1_17partition_subalgoE5ElNS0_10empty_typeEbEEZZNS1_14partition_implILS5_5ELb0ES3_mN6hipcub16HIPCUB_304000_NS21CountingInputIteratorIllEEPS6_NSA_22TransformInputIteratorIb7NonZeroIaEPalEENS0_5tupleIJPlS6_EEENSJ_IJSD_SD_EEES6_SK_JS6_EEE10hipError_tPvRmT3_T4_T5_T6_T7_T9_mT8_P12ihipStream_tbDpT10_ENKUlT_T0_E_clISt17integral_constantIbLb0EES16_EEDaS11_S12_EUlS11_E_NS1_11comp_targetILNS1_3genE10ELNS1_11target_archE1200ELNS1_3gpuE4ELNS1_3repE0EEENS1_30default_config_static_selectorELNS0_4arch9wavefront6targetE1EEEvT1_.has_dyn_sized_stack, 0
	.set _ZN7rocprim17ROCPRIM_400000_NS6detail17trampoline_kernelINS0_14default_configENS1_25partition_config_selectorILNS1_17partition_subalgoE5ElNS0_10empty_typeEbEEZZNS1_14partition_implILS5_5ELb0ES3_mN6hipcub16HIPCUB_304000_NS21CountingInputIteratorIllEEPS6_NSA_22TransformInputIteratorIb7NonZeroIaEPalEENS0_5tupleIJPlS6_EEENSJ_IJSD_SD_EEES6_SK_JS6_EEE10hipError_tPvRmT3_T4_T5_T6_T7_T9_mT8_P12ihipStream_tbDpT10_ENKUlT_T0_E_clISt17integral_constantIbLb0EES16_EEDaS11_S12_EUlS11_E_NS1_11comp_targetILNS1_3genE10ELNS1_11target_archE1200ELNS1_3gpuE4ELNS1_3repE0EEENS1_30default_config_static_selectorELNS0_4arch9wavefront6targetE1EEEvT1_.has_recursion, 0
	.set _ZN7rocprim17ROCPRIM_400000_NS6detail17trampoline_kernelINS0_14default_configENS1_25partition_config_selectorILNS1_17partition_subalgoE5ElNS0_10empty_typeEbEEZZNS1_14partition_implILS5_5ELb0ES3_mN6hipcub16HIPCUB_304000_NS21CountingInputIteratorIllEEPS6_NSA_22TransformInputIteratorIb7NonZeroIaEPalEENS0_5tupleIJPlS6_EEENSJ_IJSD_SD_EEES6_SK_JS6_EEE10hipError_tPvRmT3_T4_T5_T6_T7_T9_mT8_P12ihipStream_tbDpT10_ENKUlT_T0_E_clISt17integral_constantIbLb0EES16_EEDaS11_S12_EUlS11_E_NS1_11comp_targetILNS1_3genE10ELNS1_11target_archE1200ELNS1_3gpuE4ELNS1_3repE0EEENS1_30default_config_static_selectorELNS0_4arch9wavefront6targetE1EEEvT1_.has_indirect_call, 0
	.section	.AMDGPU.csdata,"",@progbits
; Kernel info:
; codeLenInByte = 0
; TotalNumSgprs: 4
; NumVgprs: 0
; ScratchSize: 0
; MemoryBound: 0
; FloatMode: 240
; IeeeMode: 1
; LDSByteSize: 0 bytes/workgroup (compile time only)
; SGPRBlocks: 0
; VGPRBlocks: 0
; NumSGPRsForWavesPerEU: 4
; NumVGPRsForWavesPerEU: 1
; Occupancy: 10
; WaveLimiterHint : 0
; COMPUTE_PGM_RSRC2:SCRATCH_EN: 0
; COMPUTE_PGM_RSRC2:USER_SGPR: 6
; COMPUTE_PGM_RSRC2:TRAP_HANDLER: 0
; COMPUTE_PGM_RSRC2:TGID_X_EN: 1
; COMPUTE_PGM_RSRC2:TGID_Y_EN: 0
; COMPUTE_PGM_RSRC2:TGID_Z_EN: 0
; COMPUTE_PGM_RSRC2:TIDIG_COMP_CNT: 0
	.section	.text._ZN7rocprim17ROCPRIM_400000_NS6detail17trampoline_kernelINS0_14default_configENS1_25partition_config_selectorILNS1_17partition_subalgoE5ElNS0_10empty_typeEbEEZZNS1_14partition_implILS5_5ELb0ES3_mN6hipcub16HIPCUB_304000_NS21CountingInputIteratorIllEEPS6_NSA_22TransformInputIteratorIb7NonZeroIaEPalEENS0_5tupleIJPlS6_EEENSJ_IJSD_SD_EEES6_SK_JS6_EEE10hipError_tPvRmT3_T4_T5_T6_T7_T9_mT8_P12ihipStream_tbDpT10_ENKUlT_T0_E_clISt17integral_constantIbLb0EES16_EEDaS11_S12_EUlS11_E_NS1_11comp_targetILNS1_3genE9ELNS1_11target_archE1100ELNS1_3gpuE3ELNS1_3repE0EEENS1_30default_config_static_selectorELNS0_4arch9wavefront6targetE1EEEvT1_,"axG",@progbits,_ZN7rocprim17ROCPRIM_400000_NS6detail17trampoline_kernelINS0_14default_configENS1_25partition_config_selectorILNS1_17partition_subalgoE5ElNS0_10empty_typeEbEEZZNS1_14partition_implILS5_5ELb0ES3_mN6hipcub16HIPCUB_304000_NS21CountingInputIteratorIllEEPS6_NSA_22TransformInputIteratorIb7NonZeroIaEPalEENS0_5tupleIJPlS6_EEENSJ_IJSD_SD_EEES6_SK_JS6_EEE10hipError_tPvRmT3_T4_T5_T6_T7_T9_mT8_P12ihipStream_tbDpT10_ENKUlT_T0_E_clISt17integral_constantIbLb0EES16_EEDaS11_S12_EUlS11_E_NS1_11comp_targetILNS1_3genE9ELNS1_11target_archE1100ELNS1_3gpuE3ELNS1_3repE0EEENS1_30default_config_static_selectorELNS0_4arch9wavefront6targetE1EEEvT1_,comdat
	.protected	_ZN7rocprim17ROCPRIM_400000_NS6detail17trampoline_kernelINS0_14default_configENS1_25partition_config_selectorILNS1_17partition_subalgoE5ElNS0_10empty_typeEbEEZZNS1_14partition_implILS5_5ELb0ES3_mN6hipcub16HIPCUB_304000_NS21CountingInputIteratorIllEEPS6_NSA_22TransformInputIteratorIb7NonZeroIaEPalEENS0_5tupleIJPlS6_EEENSJ_IJSD_SD_EEES6_SK_JS6_EEE10hipError_tPvRmT3_T4_T5_T6_T7_T9_mT8_P12ihipStream_tbDpT10_ENKUlT_T0_E_clISt17integral_constantIbLb0EES16_EEDaS11_S12_EUlS11_E_NS1_11comp_targetILNS1_3genE9ELNS1_11target_archE1100ELNS1_3gpuE3ELNS1_3repE0EEENS1_30default_config_static_selectorELNS0_4arch9wavefront6targetE1EEEvT1_ ; -- Begin function _ZN7rocprim17ROCPRIM_400000_NS6detail17trampoline_kernelINS0_14default_configENS1_25partition_config_selectorILNS1_17partition_subalgoE5ElNS0_10empty_typeEbEEZZNS1_14partition_implILS5_5ELb0ES3_mN6hipcub16HIPCUB_304000_NS21CountingInputIteratorIllEEPS6_NSA_22TransformInputIteratorIb7NonZeroIaEPalEENS0_5tupleIJPlS6_EEENSJ_IJSD_SD_EEES6_SK_JS6_EEE10hipError_tPvRmT3_T4_T5_T6_T7_T9_mT8_P12ihipStream_tbDpT10_ENKUlT_T0_E_clISt17integral_constantIbLb0EES16_EEDaS11_S12_EUlS11_E_NS1_11comp_targetILNS1_3genE9ELNS1_11target_archE1100ELNS1_3gpuE3ELNS1_3repE0EEENS1_30default_config_static_selectorELNS0_4arch9wavefront6targetE1EEEvT1_
	.globl	_ZN7rocprim17ROCPRIM_400000_NS6detail17trampoline_kernelINS0_14default_configENS1_25partition_config_selectorILNS1_17partition_subalgoE5ElNS0_10empty_typeEbEEZZNS1_14partition_implILS5_5ELb0ES3_mN6hipcub16HIPCUB_304000_NS21CountingInputIteratorIllEEPS6_NSA_22TransformInputIteratorIb7NonZeroIaEPalEENS0_5tupleIJPlS6_EEENSJ_IJSD_SD_EEES6_SK_JS6_EEE10hipError_tPvRmT3_T4_T5_T6_T7_T9_mT8_P12ihipStream_tbDpT10_ENKUlT_T0_E_clISt17integral_constantIbLb0EES16_EEDaS11_S12_EUlS11_E_NS1_11comp_targetILNS1_3genE9ELNS1_11target_archE1100ELNS1_3gpuE3ELNS1_3repE0EEENS1_30default_config_static_selectorELNS0_4arch9wavefront6targetE1EEEvT1_
	.p2align	8
	.type	_ZN7rocprim17ROCPRIM_400000_NS6detail17trampoline_kernelINS0_14default_configENS1_25partition_config_selectorILNS1_17partition_subalgoE5ElNS0_10empty_typeEbEEZZNS1_14partition_implILS5_5ELb0ES3_mN6hipcub16HIPCUB_304000_NS21CountingInputIteratorIllEEPS6_NSA_22TransformInputIteratorIb7NonZeroIaEPalEENS0_5tupleIJPlS6_EEENSJ_IJSD_SD_EEES6_SK_JS6_EEE10hipError_tPvRmT3_T4_T5_T6_T7_T9_mT8_P12ihipStream_tbDpT10_ENKUlT_T0_E_clISt17integral_constantIbLb0EES16_EEDaS11_S12_EUlS11_E_NS1_11comp_targetILNS1_3genE9ELNS1_11target_archE1100ELNS1_3gpuE3ELNS1_3repE0EEENS1_30default_config_static_selectorELNS0_4arch9wavefront6targetE1EEEvT1_,@function
_ZN7rocprim17ROCPRIM_400000_NS6detail17trampoline_kernelINS0_14default_configENS1_25partition_config_selectorILNS1_17partition_subalgoE5ElNS0_10empty_typeEbEEZZNS1_14partition_implILS5_5ELb0ES3_mN6hipcub16HIPCUB_304000_NS21CountingInputIteratorIllEEPS6_NSA_22TransformInputIteratorIb7NonZeroIaEPalEENS0_5tupleIJPlS6_EEENSJ_IJSD_SD_EEES6_SK_JS6_EEE10hipError_tPvRmT3_T4_T5_T6_T7_T9_mT8_P12ihipStream_tbDpT10_ENKUlT_T0_E_clISt17integral_constantIbLb0EES16_EEDaS11_S12_EUlS11_E_NS1_11comp_targetILNS1_3genE9ELNS1_11target_archE1100ELNS1_3gpuE3ELNS1_3repE0EEENS1_30default_config_static_selectorELNS0_4arch9wavefront6targetE1EEEvT1_: ; @_ZN7rocprim17ROCPRIM_400000_NS6detail17trampoline_kernelINS0_14default_configENS1_25partition_config_selectorILNS1_17partition_subalgoE5ElNS0_10empty_typeEbEEZZNS1_14partition_implILS5_5ELb0ES3_mN6hipcub16HIPCUB_304000_NS21CountingInputIteratorIllEEPS6_NSA_22TransformInputIteratorIb7NonZeroIaEPalEENS0_5tupleIJPlS6_EEENSJ_IJSD_SD_EEES6_SK_JS6_EEE10hipError_tPvRmT3_T4_T5_T6_T7_T9_mT8_P12ihipStream_tbDpT10_ENKUlT_T0_E_clISt17integral_constantIbLb0EES16_EEDaS11_S12_EUlS11_E_NS1_11comp_targetILNS1_3genE9ELNS1_11target_archE1100ELNS1_3gpuE3ELNS1_3repE0EEENS1_30default_config_static_selectorELNS0_4arch9wavefront6targetE1EEEvT1_
; %bb.0:
	.section	.rodata,"a",@progbits
	.p2align	6, 0x0
	.amdhsa_kernel _ZN7rocprim17ROCPRIM_400000_NS6detail17trampoline_kernelINS0_14default_configENS1_25partition_config_selectorILNS1_17partition_subalgoE5ElNS0_10empty_typeEbEEZZNS1_14partition_implILS5_5ELb0ES3_mN6hipcub16HIPCUB_304000_NS21CountingInputIteratorIllEEPS6_NSA_22TransformInputIteratorIb7NonZeroIaEPalEENS0_5tupleIJPlS6_EEENSJ_IJSD_SD_EEES6_SK_JS6_EEE10hipError_tPvRmT3_T4_T5_T6_T7_T9_mT8_P12ihipStream_tbDpT10_ENKUlT_T0_E_clISt17integral_constantIbLb0EES16_EEDaS11_S12_EUlS11_E_NS1_11comp_targetILNS1_3genE9ELNS1_11target_archE1100ELNS1_3gpuE3ELNS1_3repE0EEENS1_30default_config_static_selectorELNS0_4arch9wavefront6targetE1EEEvT1_
		.amdhsa_group_segment_fixed_size 0
		.amdhsa_private_segment_fixed_size 0
		.amdhsa_kernarg_size 120
		.amdhsa_user_sgpr_count 6
		.amdhsa_user_sgpr_private_segment_buffer 1
		.amdhsa_user_sgpr_dispatch_ptr 0
		.amdhsa_user_sgpr_queue_ptr 0
		.amdhsa_user_sgpr_kernarg_segment_ptr 1
		.amdhsa_user_sgpr_dispatch_id 0
		.amdhsa_user_sgpr_flat_scratch_init 0
		.amdhsa_user_sgpr_private_segment_size 0
		.amdhsa_uses_dynamic_stack 0
		.amdhsa_system_sgpr_private_segment_wavefront_offset 0
		.amdhsa_system_sgpr_workgroup_id_x 1
		.amdhsa_system_sgpr_workgroup_id_y 0
		.amdhsa_system_sgpr_workgroup_id_z 0
		.amdhsa_system_sgpr_workgroup_info 0
		.amdhsa_system_vgpr_workitem_id 0
		.amdhsa_next_free_vgpr 1
		.amdhsa_next_free_sgpr 0
		.amdhsa_reserve_vcc 0
		.amdhsa_reserve_flat_scratch 0
		.amdhsa_float_round_mode_32 0
		.amdhsa_float_round_mode_16_64 0
		.amdhsa_float_denorm_mode_32 3
		.amdhsa_float_denorm_mode_16_64 3
		.amdhsa_dx10_clamp 1
		.amdhsa_ieee_mode 1
		.amdhsa_fp16_overflow 0
		.amdhsa_exception_fp_ieee_invalid_op 0
		.amdhsa_exception_fp_denorm_src 0
		.amdhsa_exception_fp_ieee_div_zero 0
		.amdhsa_exception_fp_ieee_overflow 0
		.amdhsa_exception_fp_ieee_underflow 0
		.amdhsa_exception_fp_ieee_inexact 0
		.amdhsa_exception_int_div_zero 0
	.end_amdhsa_kernel
	.section	.text._ZN7rocprim17ROCPRIM_400000_NS6detail17trampoline_kernelINS0_14default_configENS1_25partition_config_selectorILNS1_17partition_subalgoE5ElNS0_10empty_typeEbEEZZNS1_14partition_implILS5_5ELb0ES3_mN6hipcub16HIPCUB_304000_NS21CountingInputIteratorIllEEPS6_NSA_22TransformInputIteratorIb7NonZeroIaEPalEENS0_5tupleIJPlS6_EEENSJ_IJSD_SD_EEES6_SK_JS6_EEE10hipError_tPvRmT3_T4_T5_T6_T7_T9_mT8_P12ihipStream_tbDpT10_ENKUlT_T0_E_clISt17integral_constantIbLb0EES16_EEDaS11_S12_EUlS11_E_NS1_11comp_targetILNS1_3genE9ELNS1_11target_archE1100ELNS1_3gpuE3ELNS1_3repE0EEENS1_30default_config_static_selectorELNS0_4arch9wavefront6targetE1EEEvT1_,"axG",@progbits,_ZN7rocprim17ROCPRIM_400000_NS6detail17trampoline_kernelINS0_14default_configENS1_25partition_config_selectorILNS1_17partition_subalgoE5ElNS0_10empty_typeEbEEZZNS1_14partition_implILS5_5ELb0ES3_mN6hipcub16HIPCUB_304000_NS21CountingInputIteratorIllEEPS6_NSA_22TransformInputIteratorIb7NonZeroIaEPalEENS0_5tupleIJPlS6_EEENSJ_IJSD_SD_EEES6_SK_JS6_EEE10hipError_tPvRmT3_T4_T5_T6_T7_T9_mT8_P12ihipStream_tbDpT10_ENKUlT_T0_E_clISt17integral_constantIbLb0EES16_EEDaS11_S12_EUlS11_E_NS1_11comp_targetILNS1_3genE9ELNS1_11target_archE1100ELNS1_3gpuE3ELNS1_3repE0EEENS1_30default_config_static_selectorELNS0_4arch9wavefront6targetE1EEEvT1_,comdat
.Lfunc_end43:
	.size	_ZN7rocprim17ROCPRIM_400000_NS6detail17trampoline_kernelINS0_14default_configENS1_25partition_config_selectorILNS1_17partition_subalgoE5ElNS0_10empty_typeEbEEZZNS1_14partition_implILS5_5ELb0ES3_mN6hipcub16HIPCUB_304000_NS21CountingInputIteratorIllEEPS6_NSA_22TransformInputIteratorIb7NonZeroIaEPalEENS0_5tupleIJPlS6_EEENSJ_IJSD_SD_EEES6_SK_JS6_EEE10hipError_tPvRmT3_T4_T5_T6_T7_T9_mT8_P12ihipStream_tbDpT10_ENKUlT_T0_E_clISt17integral_constantIbLb0EES16_EEDaS11_S12_EUlS11_E_NS1_11comp_targetILNS1_3genE9ELNS1_11target_archE1100ELNS1_3gpuE3ELNS1_3repE0EEENS1_30default_config_static_selectorELNS0_4arch9wavefront6targetE1EEEvT1_, .Lfunc_end43-_ZN7rocprim17ROCPRIM_400000_NS6detail17trampoline_kernelINS0_14default_configENS1_25partition_config_selectorILNS1_17partition_subalgoE5ElNS0_10empty_typeEbEEZZNS1_14partition_implILS5_5ELb0ES3_mN6hipcub16HIPCUB_304000_NS21CountingInputIteratorIllEEPS6_NSA_22TransformInputIteratorIb7NonZeroIaEPalEENS0_5tupleIJPlS6_EEENSJ_IJSD_SD_EEES6_SK_JS6_EEE10hipError_tPvRmT3_T4_T5_T6_T7_T9_mT8_P12ihipStream_tbDpT10_ENKUlT_T0_E_clISt17integral_constantIbLb0EES16_EEDaS11_S12_EUlS11_E_NS1_11comp_targetILNS1_3genE9ELNS1_11target_archE1100ELNS1_3gpuE3ELNS1_3repE0EEENS1_30default_config_static_selectorELNS0_4arch9wavefront6targetE1EEEvT1_
                                        ; -- End function
	.set _ZN7rocprim17ROCPRIM_400000_NS6detail17trampoline_kernelINS0_14default_configENS1_25partition_config_selectorILNS1_17partition_subalgoE5ElNS0_10empty_typeEbEEZZNS1_14partition_implILS5_5ELb0ES3_mN6hipcub16HIPCUB_304000_NS21CountingInputIteratorIllEEPS6_NSA_22TransformInputIteratorIb7NonZeroIaEPalEENS0_5tupleIJPlS6_EEENSJ_IJSD_SD_EEES6_SK_JS6_EEE10hipError_tPvRmT3_T4_T5_T6_T7_T9_mT8_P12ihipStream_tbDpT10_ENKUlT_T0_E_clISt17integral_constantIbLb0EES16_EEDaS11_S12_EUlS11_E_NS1_11comp_targetILNS1_3genE9ELNS1_11target_archE1100ELNS1_3gpuE3ELNS1_3repE0EEENS1_30default_config_static_selectorELNS0_4arch9wavefront6targetE1EEEvT1_.num_vgpr, 0
	.set _ZN7rocprim17ROCPRIM_400000_NS6detail17trampoline_kernelINS0_14default_configENS1_25partition_config_selectorILNS1_17partition_subalgoE5ElNS0_10empty_typeEbEEZZNS1_14partition_implILS5_5ELb0ES3_mN6hipcub16HIPCUB_304000_NS21CountingInputIteratorIllEEPS6_NSA_22TransformInputIteratorIb7NonZeroIaEPalEENS0_5tupleIJPlS6_EEENSJ_IJSD_SD_EEES6_SK_JS6_EEE10hipError_tPvRmT3_T4_T5_T6_T7_T9_mT8_P12ihipStream_tbDpT10_ENKUlT_T0_E_clISt17integral_constantIbLb0EES16_EEDaS11_S12_EUlS11_E_NS1_11comp_targetILNS1_3genE9ELNS1_11target_archE1100ELNS1_3gpuE3ELNS1_3repE0EEENS1_30default_config_static_selectorELNS0_4arch9wavefront6targetE1EEEvT1_.num_agpr, 0
	.set _ZN7rocprim17ROCPRIM_400000_NS6detail17trampoline_kernelINS0_14default_configENS1_25partition_config_selectorILNS1_17partition_subalgoE5ElNS0_10empty_typeEbEEZZNS1_14partition_implILS5_5ELb0ES3_mN6hipcub16HIPCUB_304000_NS21CountingInputIteratorIllEEPS6_NSA_22TransformInputIteratorIb7NonZeroIaEPalEENS0_5tupleIJPlS6_EEENSJ_IJSD_SD_EEES6_SK_JS6_EEE10hipError_tPvRmT3_T4_T5_T6_T7_T9_mT8_P12ihipStream_tbDpT10_ENKUlT_T0_E_clISt17integral_constantIbLb0EES16_EEDaS11_S12_EUlS11_E_NS1_11comp_targetILNS1_3genE9ELNS1_11target_archE1100ELNS1_3gpuE3ELNS1_3repE0EEENS1_30default_config_static_selectorELNS0_4arch9wavefront6targetE1EEEvT1_.numbered_sgpr, 0
	.set _ZN7rocprim17ROCPRIM_400000_NS6detail17trampoline_kernelINS0_14default_configENS1_25partition_config_selectorILNS1_17partition_subalgoE5ElNS0_10empty_typeEbEEZZNS1_14partition_implILS5_5ELb0ES3_mN6hipcub16HIPCUB_304000_NS21CountingInputIteratorIllEEPS6_NSA_22TransformInputIteratorIb7NonZeroIaEPalEENS0_5tupleIJPlS6_EEENSJ_IJSD_SD_EEES6_SK_JS6_EEE10hipError_tPvRmT3_T4_T5_T6_T7_T9_mT8_P12ihipStream_tbDpT10_ENKUlT_T0_E_clISt17integral_constantIbLb0EES16_EEDaS11_S12_EUlS11_E_NS1_11comp_targetILNS1_3genE9ELNS1_11target_archE1100ELNS1_3gpuE3ELNS1_3repE0EEENS1_30default_config_static_selectorELNS0_4arch9wavefront6targetE1EEEvT1_.num_named_barrier, 0
	.set _ZN7rocprim17ROCPRIM_400000_NS6detail17trampoline_kernelINS0_14default_configENS1_25partition_config_selectorILNS1_17partition_subalgoE5ElNS0_10empty_typeEbEEZZNS1_14partition_implILS5_5ELb0ES3_mN6hipcub16HIPCUB_304000_NS21CountingInputIteratorIllEEPS6_NSA_22TransformInputIteratorIb7NonZeroIaEPalEENS0_5tupleIJPlS6_EEENSJ_IJSD_SD_EEES6_SK_JS6_EEE10hipError_tPvRmT3_T4_T5_T6_T7_T9_mT8_P12ihipStream_tbDpT10_ENKUlT_T0_E_clISt17integral_constantIbLb0EES16_EEDaS11_S12_EUlS11_E_NS1_11comp_targetILNS1_3genE9ELNS1_11target_archE1100ELNS1_3gpuE3ELNS1_3repE0EEENS1_30default_config_static_selectorELNS0_4arch9wavefront6targetE1EEEvT1_.private_seg_size, 0
	.set _ZN7rocprim17ROCPRIM_400000_NS6detail17trampoline_kernelINS0_14default_configENS1_25partition_config_selectorILNS1_17partition_subalgoE5ElNS0_10empty_typeEbEEZZNS1_14partition_implILS5_5ELb0ES3_mN6hipcub16HIPCUB_304000_NS21CountingInputIteratorIllEEPS6_NSA_22TransformInputIteratorIb7NonZeroIaEPalEENS0_5tupleIJPlS6_EEENSJ_IJSD_SD_EEES6_SK_JS6_EEE10hipError_tPvRmT3_T4_T5_T6_T7_T9_mT8_P12ihipStream_tbDpT10_ENKUlT_T0_E_clISt17integral_constantIbLb0EES16_EEDaS11_S12_EUlS11_E_NS1_11comp_targetILNS1_3genE9ELNS1_11target_archE1100ELNS1_3gpuE3ELNS1_3repE0EEENS1_30default_config_static_selectorELNS0_4arch9wavefront6targetE1EEEvT1_.uses_vcc, 0
	.set _ZN7rocprim17ROCPRIM_400000_NS6detail17trampoline_kernelINS0_14default_configENS1_25partition_config_selectorILNS1_17partition_subalgoE5ElNS0_10empty_typeEbEEZZNS1_14partition_implILS5_5ELb0ES3_mN6hipcub16HIPCUB_304000_NS21CountingInputIteratorIllEEPS6_NSA_22TransformInputIteratorIb7NonZeroIaEPalEENS0_5tupleIJPlS6_EEENSJ_IJSD_SD_EEES6_SK_JS6_EEE10hipError_tPvRmT3_T4_T5_T6_T7_T9_mT8_P12ihipStream_tbDpT10_ENKUlT_T0_E_clISt17integral_constantIbLb0EES16_EEDaS11_S12_EUlS11_E_NS1_11comp_targetILNS1_3genE9ELNS1_11target_archE1100ELNS1_3gpuE3ELNS1_3repE0EEENS1_30default_config_static_selectorELNS0_4arch9wavefront6targetE1EEEvT1_.uses_flat_scratch, 0
	.set _ZN7rocprim17ROCPRIM_400000_NS6detail17trampoline_kernelINS0_14default_configENS1_25partition_config_selectorILNS1_17partition_subalgoE5ElNS0_10empty_typeEbEEZZNS1_14partition_implILS5_5ELb0ES3_mN6hipcub16HIPCUB_304000_NS21CountingInputIteratorIllEEPS6_NSA_22TransformInputIteratorIb7NonZeroIaEPalEENS0_5tupleIJPlS6_EEENSJ_IJSD_SD_EEES6_SK_JS6_EEE10hipError_tPvRmT3_T4_T5_T6_T7_T9_mT8_P12ihipStream_tbDpT10_ENKUlT_T0_E_clISt17integral_constantIbLb0EES16_EEDaS11_S12_EUlS11_E_NS1_11comp_targetILNS1_3genE9ELNS1_11target_archE1100ELNS1_3gpuE3ELNS1_3repE0EEENS1_30default_config_static_selectorELNS0_4arch9wavefront6targetE1EEEvT1_.has_dyn_sized_stack, 0
	.set _ZN7rocprim17ROCPRIM_400000_NS6detail17trampoline_kernelINS0_14default_configENS1_25partition_config_selectorILNS1_17partition_subalgoE5ElNS0_10empty_typeEbEEZZNS1_14partition_implILS5_5ELb0ES3_mN6hipcub16HIPCUB_304000_NS21CountingInputIteratorIllEEPS6_NSA_22TransformInputIteratorIb7NonZeroIaEPalEENS0_5tupleIJPlS6_EEENSJ_IJSD_SD_EEES6_SK_JS6_EEE10hipError_tPvRmT3_T4_T5_T6_T7_T9_mT8_P12ihipStream_tbDpT10_ENKUlT_T0_E_clISt17integral_constantIbLb0EES16_EEDaS11_S12_EUlS11_E_NS1_11comp_targetILNS1_3genE9ELNS1_11target_archE1100ELNS1_3gpuE3ELNS1_3repE0EEENS1_30default_config_static_selectorELNS0_4arch9wavefront6targetE1EEEvT1_.has_recursion, 0
	.set _ZN7rocprim17ROCPRIM_400000_NS6detail17trampoline_kernelINS0_14default_configENS1_25partition_config_selectorILNS1_17partition_subalgoE5ElNS0_10empty_typeEbEEZZNS1_14partition_implILS5_5ELb0ES3_mN6hipcub16HIPCUB_304000_NS21CountingInputIteratorIllEEPS6_NSA_22TransformInputIteratorIb7NonZeroIaEPalEENS0_5tupleIJPlS6_EEENSJ_IJSD_SD_EEES6_SK_JS6_EEE10hipError_tPvRmT3_T4_T5_T6_T7_T9_mT8_P12ihipStream_tbDpT10_ENKUlT_T0_E_clISt17integral_constantIbLb0EES16_EEDaS11_S12_EUlS11_E_NS1_11comp_targetILNS1_3genE9ELNS1_11target_archE1100ELNS1_3gpuE3ELNS1_3repE0EEENS1_30default_config_static_selectorELNS0_4arch9wavefront6targetE1EEEvT1_.has_indirect_call, 0
	.section	.AMDGPU.csdata,"",@progbits
; Kernel info:
; codeLenInByte = 0
; TotalNumSgprs: 4
; NumVgprs: 0
; ScratchSize: 0
; MemoryBound: 0
; FloatMode: 240
; IeeeMode: 1
; LDSByteSize: 0 bytes/workgroup (compile time only)
; SGPRBlocks: 0
; VGPRBlocks: 0
; NumSGPRsForWavesPerEU: 4
; NumVGPRsForWavesPerEU: 1
; Occupancy: 10
; WaveLimiterHint : 0
; COMPUTE_PGM_RSRC2:SCRATCH_EN: 0
; COMPUTE_PGM_RSRC2:USER_SGPR: 6
; COMPUTE_PGM_RSRC2:TRAP_HANDLER: 0
; COMPUTE_PGM_RSRC2:TGID_X_EN: 1
; COMPUTE_PGM_RSRC2:TGID_Y_EN: 0
; COMPUTE_PGM_RSRC2:TGID_Z_EN: 0
; COMPUTE_PGM_RSRC2:TIDIG_COMP_CNT: 0
	.section	.text._ZN7rocprim17ROCPRIM_400000_NS6detail17trampoline_kernelINS0_14default_configENS1_25partition_config_selectorILNS1_17partition_subalgoE5ElNS0_10empty_typeEbEEZZNS1_14partition_implILS5_5ELb0ES3_mN6hipcub16HIPCUB_304000_NS21CountingInputIteratorIllEEPS6_NSA_22TransformInputIteratorIb7NonZeroIaEPalEENS0_5tupleIJPlS6_EEENSJ_IJSD_SD_EEES6_SK_JS6_EEE10hipError_tPvRmT3_T4_T5_T6_T7_T9_mT8_P12ihipStream_tbDpT10_ENKUlT_T0_E_clISt17integral_constantIbLb0EES16_EEDaS11_S12_EUlS11_E_NS1_11comp_targetILNS1_3genE8ELNS1_11target_archE1030ELNS1_3gpuE2ELNS1_3repE0EEENS1_30default_config_static_selectorELNS0_4arch9wavefront6targetE1EEEvT1_,"axG",@progbits,_ZN7rocprim17ROCPRIM_400000_NS6detail17trampoline_kernelINS0_14default_configENS1_25partition_config_selectorILNS1_17partition_subalgoE5ElNS0_10empty_typeEbEEZZNS1_14partition_implILS5_5ELb0ES3_mN6hipcub16HIPCUB_304000_NS21CountingInputIteratorIllEEPS6_NSA_22TransformInputIteratorIb7NonZeroIaEPalEENS0_5tupleIJPlS6_EEENSJ_IJSD_SD_EEES6_SK_JS6_EEE10hipError_tPvRmT3_T4_T5_T6_T7_T9_mT8_P12ihipStream_tbDpT10_ENKUlT_T0_E_clISt17integral_constantIbLb0EES16_EEDaS11_S12_EUlS11_E_NS1_11comp_targetILNS1_3genE8ELNS1_11target_archE1030ELNS1_3gpuE2ELNS1_3repE0EEENS1_30default_config_static_selectorELNS0_4arch9wavefront6targetE1EEEvT1_,comdat
	.protected	_ZN7rocprim17ROCPRIM_400000_NS6detail17trampoline_kernelINS0_14default_configENS1_25partition_config_selectorILNS1_17partition_subalgoE5ElNS0_10empty_typeEbEEZZNS1_14partition_implILS5_5ELb0ES3_mN6hipcub16HIPCUB_304000_NS21CountingInputIteratorIllEEPS6_NSA_22TransformInputIteratorIb7NonZeroIaEPalEENS0_5tupleIJPlS6_EEENSJ_IJSD_SD_EEES6_SK_JS6_EEE10hipError_tPvRmT3_T4_T5_T6_T7_T9_mT8_P12ihipStream_tbDpT10_ENKUlT_T0_E_clISt17integral_constantIbLb0EES16_EEDaS11_S12_EUlS11_E_NS1_11comp_targetILNS1_3genE8ELNS1_11target_archE1030ELNS1_3gpuE2ELNS1_3repE0EEENS1_30default_config_static_selectorELNS0_4arch9wavefront6targetE1EEEvT1_ ; -- Begin function _ZN7rocprim17ROCPRIM_400000_NS6detail17trampoline_kernelINS0_14default_configENS1_25partition_config_selectorILNS1_17partition_subalgoE5ElNS0_10empty_typeEbEEZZNS1_14partition_implILS5_5ELb0ES3_mN6hipcub16HIPCUB_304000_NS21CountingInputIteratorIllEEPS6_NSA_22TransformInputIteratorIb7NonZeroIaEPalEENS0_5tupleIJPlS6_EEENSJ_IJSD_SD_EEES6_SK_JS6_EEE10hipError_tPvRmT3_T4_T5_T6_T7_T9_mT8_P12ihipStream_tbDpT10_ENKUlT_T0_E_clISt17integral_constantIbLb0EES16_EEDaS11_S12_EUlS11_E_NS1_11comp_targetILNS1_3genE8ELNS1_11target_archE1030ELNS1_3gpuE2ELNS1_3repE0EEENS1_30default_config_static_selectorELNS0_4arch9wavefront6targetE1EEEvT1_
	.globl	_ZN7rocprim17ROCPRIM_400000_NS6detail17trampoline_kernelINS0_14default_configENS1_25partition_config_selectorILNS1_17partition_subalgoE5ElNS0_10empty_typeEbEEZZNS1_14partition_implILS5_5ELb0ES3_mN6hipcub16HIPCUB_304000_NS21CountingInputIteratorIllEEPS6_NSA_22TransformInputIteratorIb7NonZeroIaEPalEENS0_5tupleIJPlS6_EEENSJ_IJSD_SD_EEES6_SK_JS6_EEE10hipError_tPvRmT3_T4_T5_T6_T7_T9_mT8_P12ihipStream_tbDpT10_ENKUlT_T0_E_clISt17integral_constantIbLb0EES16_EEDaS11_S12_EUlS11_E_NS1_11comp_targetILNS1_3genE8ELNS1_11target_archE1030ELNS1_3gpuE2ELNS1_3repE0EEENS1_30default_config_static_selectorELNS0_4arch9wavefront6targetE1EEEvT1_
	.p2align	8
	.type	_ZN7rocprim17ROCPRIM_400000_NS6detail17trampoline_kernelINS0_14default_configENS1_25partition_config_selectorILNS1_17partition_subalgoE5ElNS0_10empty_typeEbEEZZNS1_14partition_implILS5_5ELb0ES3_mN6hipcub16HIPCUB_304000_NS21CountingInputIteratorIllEEPS6_NSA_22TransformInputIteratorIb7NonZeroIaEPalEENS0_5tupleIJPlS6_EEENSJ_IJSD_SD_EEES6_SK_JS6_EEE10hipError_tPvRmT3_T4_T5_T6_T7_T9_mT8_P12ihipStream_tbDpT10_ENKUlT_T0_E_clISt17integral_constantIbLb0EES16_EEDaS11_S12_EUlS11_E_NS1_11comp_targetILNS1_3genE8ELNS1_11target_archE1030ELNS1_3gpuE2ELNS1_3repE0EEENS1_30default_config_static_selectorELNS0_4arch9wavefront6targetE1EEEvT1_,@function
_ZN7rocprim17ROCPRIM_400000_NS6detail17trampoline_kernelINS0_14default_configENS1_25partition_config_selectorILNS1_17partition_subalgoE5ElNS0_10empty_typeEbEEZZNS1_14partition_implILS5_5ELb0ES3_mN6hipcub16HIPCUB_304000_NS21CountingInputIteratorIllEEPS6_NSA_22TransformInputIteratorIb7NonZeroIaEPalEENS0_5tupleIJPlS6_EEENSJ_IJSD_SD_EEES6_SK_JS6_EEE10hipError_tPvRmT3_T4_T5_T6_T7_T9_mT8_P12ihipStream_tbDpT10_ENKUlT_T0_E_clISt17integral_constantIbLb0EES16_EEDaS11_S12_EUlS11_E_NS1_11comp_targetILNS1_3genE8ELNS1_11target_archE1030ELNS1_3gpuE2ELNS1_3repE0EEENS1_30default_config_static_selectorELNS0_4arch9wavefront6targetE1EEEvT1_: ; @_ZN7rocprim17ROCPRIM_400000_NS6detail17trampoline_kernelINS0_14default_configENS1_25partition_config_selectorILNS1_17partition_subalgoE5ElNS0_10empty_typeEbEEZZNS1_14partition_implILS5_5ELb0ES3_mN6hipcub16HIPCUB_304000_NS21CountingInputIteratorIllEEPS6_NSA_22TransformInputIteratorIb7NonZeroIaEPalEENS0_5tupleIJPlS6_EEENSJ_IJSD_SD_EEES6_SK_JS6_EEE10hipError_tPvRmT3_T4_T5_T6_T7_T9_mT8_P12ihipStream_tbDpT10_ENKUlT_T0_E_clISt17integral_constantIbLb0EES16_EEDaS11_S12_EUlS11_E_NS1_11comp_targetILNS1_3genE8ELNS1_11target_archE1030ELNS1_3gpuE2ELNS1_3repE0EEENS1_30default_config_static_selectorELNS0_4arch9wavefront6targetE1EEEvT1_
; %bb.0:
	.section	.rodata,"a",@progbits
	.p2align	6, 0x0
	.amdhsa_kernel _ZN7rocprim17ROCPRIM_400000_NS6detail17trampoline_kernelINS0_14default_configENS1_25partition_config_selectorILNS1_17partition_subalgoE5ElNS0_10empty_typeEbEEZZNS1_14partition_implILS5_5ELb0ES3_mN6hipcub16HIPCUB_304000_NS21CountingInputIteratorIllEEPS6_NSA_22TransformInputIteratorIb7NonZeroIaEPalEENS0_5tupleIJPlS6_EEENSJ_IJSD_SD_EEES6_SK_JS6_EEE10hipError_tPvRmT3_T4_T5_T6_T7_T9_mT8_P12ihipStream_tbDpT10_ENKUlT_T0_E_clISt17integral_constantIbLb0EES16_EEDaS11_S12_EUlS11_E_NS1_11comp_targetILNS1_3genE8ELNS1_11target_archE1030ELNS1_3gpuE2ELNS1_3repE0EEENS1_30default_config_static_selectorELNS0_4arch9wavefront6targetE1EEEvT1_
		.amdhsa_group_segment_fixed_size 0
		.amdhsa_private_segment_fixed_size 0
		.amdhsa_kernarg_size 120
		.amdhsa_user_sgpr_count 6
		.amdhsa_user_sgpr_private_segment_buffer 1
		.amdhsa_user_sgpr_dispatch_ptr 0
		.amdhsa_user_sgpr_queue_ptr 0
		.amdhsa_user_sgpr_kernarg_segment_ptr 1
		.amdhsa_user_sgpr_dispatch_id 0
		.amdhsa_user_sgpr_flat_scratch_init 0
		.amdhsa_user_sgpr_private_segment_size 0
		.amdhsa_uses_dynamic_stack 0
		.amdhsa_system_sgpr_private_segment_wavefront_offset 0
		.amdhsa_system_sgpr_workgroup_id_x 1
		.amdhsa_system_sgpr_workgroup_id_y 0
		.amdhsa_system_sgpr_workgroup_id_z 0
		.amdhsa_system_sgpr_workgroup_info 0
		.amdhsa_system_vgpr_workitem_id 0
		.amdhsa_next_free_vgpr 1
		.amdhsa_next_free_sgpr 0
		.amdhsa_reserve_vcc 0
		.amdhsa_reserve_flat_scratch 0
		.amdhsa_float_round_mode_32 0
		.amdhsa_float_round_mode_16_64 0
		.amdhsa_float_denorm_mode_32 3
		.amdhsa_float_denorm_mode_16_64 3
		.amdhsa_dx10_clamp 1
		.amdhsa_ieee_mode 1
		.amdhsa_fp16_overflow 0
		.amdhsa_exception_fp_ieee_invalid_op 0
		.amdhsa_exception_fp_denorm_src 0
		.amdhsa_exception_fp_ieee_div_zero 0
		.amdhsa_exception_fp_ieee_overflow 0
		.amdhsa_exception_fp_ieee_underflow 0
		.amdhsa_exception_fp_ieee_inexact 0
		.amdhsa_exception_int_div_zero 0
	.end_amdhsa_kernel
	.section	.text._ZN7rocprim17ROCPRIM_400000_NS6detail17trampoline_kernelINS0_14default_configENS1_25partition_config_selectorILNS1_17partition_subalgoE5ElNS0_10empty_typeEbEEZZNS1_14partition_implILS5_5ELb0ES3_mN6hipcub16HIPCUB_304000_NS21CountingInputIteratorIllEEPS6_NSA_22TransformInputIteratorIb7NonZeroIaEPalEENS0_5tupleIJPlS6_EEENSJ_IJSD_SD_EEES6_SK_JS6_EEE10hipError_tPvRmT3_T4_T5_T6_T7_T9_mT8_P12ihipStream_tbDpT10_ENKUlT_T0_E_clISt17integral_constantIbLb0EES16_EEDaS11_S12_EUlS11_E_NS1_11comp_targetILNS1_3genE8ELNS1_11target_archE1030ELNS1_3gpuE2ELNS1_3repE0EEENS1_30default_config_static_selectorELNS0_4arch9wavefront6targetE1EEEvT1_,"axG",@progbits,_ZN7rocprim17ROCPRIM_400000_NS6detail17trampoline_kernelINS0_14default_configENS1_25partition_config_selectorILNS1_17partition_subalgoE5ElNS0_10empty_typeEbEEZZNS1_14partition_implILS5_5ELb0ES3_mN6hipcub16HIPCUB_304000_NS21CountingInputIteratorIllEEPS6_NSA_22TransformInputIteratorIb7NonZeroIaEPalEENS0_5tupleIJPlS6_EEENSJ_IJSD_SD_EEES6_SK_JS6_EEE10hipError_tPvRmT3_T4_T5_T6_T7_T9_mT8_P12ihipStream_tbDpT10_ENKUlT_T0_E_clISt17integral_constantIbLb0EES16_EEDaS11_S12_EUlS11_E_NS1_11comp_targetILNS1_3genE8ELNS1_11target_archE1030ELNS1_3gpuE2ELNS1_3repE0EEENS1_30default_config_static_selectorELNS0_4arch9wavefront6targetE1EEEvT1_,comdat
.Lfunc_end44:
	.size	_ZN7rocprim17ROCPRIM_400000_NS6detail17trampoline_kernelINS0_14default_configENS1_25partition_config_selectorILNS1_17partition_subalgoE5ElNS0_10empty_typeEbEEZZNS1_14partition_implILS5_5ELb0ES3_mN6hipcub16HIPCUB_304000_NS21CountingInputIteratorIllEEPS6_NSA_22TransformInputIteratorIb7NonZeroIaEPalEENS0_5tupleIJPlS6_EEENSJ_IJSD_SD_EEES6_SK_JS6_EEE10hipError_tPvRmT3_T4_T5_T6_T7_T9_mT8_P12ihipStream_tbDpT10_ENKUlT_T0_E_clISt17integral_constantIbLb0EES16_EEDaS11_S12_EUlS11_E_NS1_11comp_targetILNS1_3genE8ELNS1_11target_archE1030ELNS1_3gpuE2ELNS1_3repE0EEENS1_30default_config_static_selectorELNS0_4arch9wavefront6targetE1EEEvT1_, .Lfunc_end44-_ZN7rocprim17ROCPRIM_400000_NS6detail17trampoline_kernelINS0_14default_configENS1_25partition_config_selectorILNS1_17partition_subalgoE5ElNS0_10empty_typeEbEEZZNS1_14partition_implILS5_5ELb0ES3_mN6hipcub16HIPCUB_304000_NS21CountingInputIteratorIllEEPS6_NSA_22TransformInputIteratorIb7NonZeroIaEPalEENS0_5tupleIJPlS6_EEENSJ_IJSD_SD_EEES6_SK_JS6_EEE10hipError_tPvRmT3_T4_T5_T6_T7_T9_mT8_P12ihipStream_tbDpT10_ENKUlT_T0_E_clISt17integral_constantIbLb0EES16_EEDaS11_S12_EUlS11_E_NS1_11comp_targetILNS1_3genE8ELNS1_11target_archE1030ELNS1_3gpuE2ELNS1_3repE0EEENS1_30default_config_static_selectorELNS0_4arch9wavefront6targetE1EEEvT1_
                                        ; -- End function
	.set _ZN7rocprim17ROCPRIM_400000_NS6detail17trampoline_kernelINS0_14default_configENS1_25partition_config_selectorILNS1_17partition_subalgoE5ElNS0_10empty_typeEbEEZZNS1_14partition_implILS5_5ELb0ES3_mN6hipcub16HIPCUB_304000_NS21CountingInputIteratorIllEEPS6_NSA_22TransformInputIteratorIb7NonZeroIaEPalEENS0_5tupleIJPlS6_EEENSJ_IJSD_SD_EEES6_SK_JS6_EEE10hipError_tPvRmT3_T4_T5_T6_T7_T9_mT8_P12ihipStream_tbDpT10_ENKUlT_T0_E_clISt17integral_constantIbLb0EES16_EEDaS11_S12_EUlS11_E_NS1_11comp_targetILNS1_3genE8ELNS1_11target_archE1030ELNS1_3gpuE2ELNS1_3repE0EEENS1_30default_config_static_selectorELNS0_4arch9wavefront6targetE1EEEvT1_.num_vgpr, 0
	.set _ZN7rocprim17ROCPRIM_400000_NS6detail17trampoline_kernelINS0_14default_configENS1_25partition_config_selectorILNS1_17partition_subalgoE5ElNS0_10empty_typeEbEEZZNS1_14partition_implILS5_5ELb0ES3_mN6hipcub16HIPCUB_304000_NS21CountingInputIteratorIllEEPS6_NSA_22TransformInputIteratorIb7NonZeroIaEPalEENS0_5tupleIJPlS6_EEENSJ_IJSD_SD_EEES6_SK_JS6_EEE10hipError_tPvRmT3_T4_T5_T6_T7_T9_mT8_P12ihipStream_tbDpT10_ENKUlT_T0_E_clISt17integral_constantIbLb0EES16_EEDaS11_S12_EUlS11_E_NS1_11comp_targetILNS1_3genE8ELNS1_11target_archE1030ELNS1_3gpuE2ELNS1_3repE0EEENS1_30default_config_static_selectorELNS0_4arch9wavefront6targetE1EEEvT1_.num_agpr, 0
	.set _ZN7rocprim17ROCPRIM_400000_NS6detail17trampoline_kernelINS0_14default_configENS1_25partition_config_selectorILNS1_17partition_subalgoE5ElNS0_10empty_typeEbEEZZNS1_14partition_implILS5_5ELb0ES3_mN6hipcub16HIPCUB_304000_NS21CountingInputIteratorIllEEPS6_NSA_22TransformInputIteratorIb7NonZeroIaEPalEENS0_5tupleIJPlS6_EEENSJ_IJSD_SD_EEES6_SK_JS6_EEE10hipError_tPvRmT3_T4_T5_T6_T7_T9_mT8_P12ihipStream_tbDpT10_ENKUlT_T0_E_clISt17integral_constantIbLb0EES16_EEDaS11_S12_EUlS11_E_NS1_11comp_targetILNS1_3genE8ELNS1_11target_archE1030ELNS1_3gpuE2ELNS1_3repE0EEENS1_30default_config_static_selectorELNS0_4arch9wavefront6targetE1EEEvT1_.numbered_sgpr, 0
	.set _ZN7rocprim17ROCPRIM_400000_NS6detail17trampoline_kernelINS0_14default_configENS1_25partition_config_selectorILNS1_17partition_subalgoE5ElNS0_10empty_typeEbEEZZNS1_14partition_implILS5_5ELb0ES3_mN6hipcub16HIPCUB_304000_NS21CountingInputIteratorIllEEPS6_NSA_22TransformInputIteratorIb7NonZeroIaEPalEENS0_5tupleIJPlS6_EEENSJ_IJSD_SD_EEES6_SK_JS6_EEE10hipError_tPvRmT3_T4_T5_T6_T7_T9_mT8_P12ihipStream_tbDpT10_ENKUlT_T0_E_clISt17integral_constantIbLb0EES16_EEDaS11_S12_EUlS11_E_NS1_11comp_targetILNS1_3genE8ELNS1_11target_archE1030ELNS1_3gpuE2ELNS1_3repE0EEENS1_30default_config_static_selectorELNS0_4arch9wavefront6targetE1EEEvT1_.num_named_barrier, 0
	.set _ZN7rocprim17ROCPRIM_400000_NS6detail17trampoline_kernelINS0_14default_configENS1_25partition_config_selectorILNS1_17partition_subalgoE5ElNS0_10empty_typeEbEEZZNS1_14partition_implILS5_5ELb0ES3_mN6hipcub16HIPCUB_304000_NS21CountingInputIteratorIllEEPS6_NSA_22TransformInputIteratorIb7NonZeroIaEPalEENS0_5tupleIJPlS6_EEENSJ_IJSD_SD_EEES6_SK_JS6_EEE10hipError_tPvRmT3_T4_T5_T6_T7_T9_mT8_P12ihipStream_tbDpT10_ENKUlT_T0_E_clISt17integral_constantIbLb0EES16_EEDaS11_S12_EUlS11_E_NS1_11comp_targetILNS1_3genE8ELNS1_11target_archE1030ELNS1_3gpuE2ELNS1_3repE0EEENS1_30default_config_static_selectorELNS0_4arch9wavefront6targetE1EEEvT1_.private_seg_size, 0
	.set _ZN7rocprim17ROCPRIM_400000_NS6detail17trampoline_kernelINS0_14default_configENS1_25partition_config_selectorILNS1_17partition_subalgoE5ElNS0_10empty_typeEbEEZZNS1_14partition_implILS5_5ELb0ES3_mN6hipcub16HIPCUB_304000_NS21CountingInputIteratorIllEEPS6_NSA_22TransformInputIteratorIb7NonZeroIaEPalEENS0_5tupleIJPlS6_EEENSJ_IJSD_SD_EEES6_SK_JS6_EEE10hipError_tPvRmT3_T4_T5_T6_T7_T9_mT8_P12ihipStream_tbDpT10_ENKUlT_T0_E_clISt17integral_constantIbLb0EES16_EEDaS11_S12_EUlS11_E_NS1_11comp_targetILNS1_3genE8ELNS1_11target_archE1030ELNS1_3gpuE2ELNS1_3repE0EEENS1_30default_config_static_selectorELNS0_4arch9wavefront6targetE1EEEvT1_.uses_vcc, 0
	.set _ZN7rocprim17ROCPRIM_400000_NS6detail17trampoline_kernelINS0_14default_configENS1_25partition_config_selectorILNS1_17partition_subalgoE5ElNS0_10empty_typeEbEEZZNS1_14partition_implILS5_5ELb0ES3_mN6hipcub16HIPCUB_304000_NS21CountingInputIteratorIllEEPS6_NSA_22TransformInputIteratorIb7NonZeroIaEPalEENS0_5tupleIJPlS6_EEENSJ_IJSD_SD_EEES6_SK_JS6_EEE10hipError_tPvRmT3_T4_T5_T6_T7_T9_mT8_P12ihipStream_tbDpT10_ENKUlT_T0_E_clISt17integral_constantIbLb0EES16_EEDaS11_S12_EUlS11_E_NS1_11comp_targetILNS1_3genE8ELNS1_11target_archE1030ELNS1_3gpuE2ELNS1_3repE0EEENS1_30default_config_static_selectorELNS0_4arch9wavefront6targetE1EEEvT1_.uses_flat_scratch, 0
	.set _ZN7rocprim17ROCPRIM_400000_NS6detail17trampoline_kernelINS0_14default_configENS1_25partition_config_selectorILNS1_17partition_subalgoE5ElNS0_10empty_typeEbEEZZNS1_14partition_implILS5_5ELb0ES3_mN6hipcub16HIPCUB_304000_NS21CountingInputIteratorIllEEPS6_NSA_22TransformInputIteratorIb7NonZeroIaEPalEENS0_5tupleIJPlS6_EEENSJ_IJSD_SD_EEES6_SK_JS6_EEE10hipError_tPvRmT3_T4_T5_T6_T7_T9_mT8_P12ihipStream_tbDpT10_ENKUlT_T0_E_clISt17integral_constantIbLb0EES16_EEDaS11_S12_EUlS11_E_NS1_11comp_targetILNS1_3genE8ELNS1_11target_archE1030ELNS1_3gpuE2ELNS1_3repE0EEENS1_30default_config_static_selectorELNS0_4arch9wavefront6targetE1EEEvT1_.has_dyn_sized_stack, 0
	.set _ZN7rocprim17ROCPRIM_400000_NS6detail17trampoline_kernelINS0_14default_configENS1_25partition_config_selectorILNS1_17partition_subalgoE5ElNS0_10empty_typeEbEEZZNS1_14partition_implILS5_5ELb0ES3_mN6hipcub16HIPCUB_304000_NS21CountingInputIteratorIllEEPS6_NSA_22TransformInputIteratorIb7NonZeroIaEPalEENS0_5tupleIJPlS6_EEENSJ_IJSD_SD_EEES6_SK_JS6_EEE10hipError_tPvRmT3_T4_T5_T6_T7_T9_mT8_P12ihipStream_tbDpT10_ENKUlT_T0_E_clISt17integral_constantIbLb0EES16_EEDaS11_S12_EUlS11_E_NS1_11comp_targetILNS1_3genE8ELNS1_11target_archE1030ELNS1_3gpuE2ELNS1_3repE0EEENS1_30default_config_static_selectorELNS0_4arch9wavefront6targetE1EEEvT1_.has_recursion, 0
	.set _ZN7rocprim17ROCPRIM_400000_NS6detail17trampoline_kernelINS0_14default_configENS1_25partition_config_selectorILNS1_17partition_subalgoE5ElNS0_10empty_typeEbEEZZNS1_14partition_implILS5_5ELb0ES3_mN6hipcub16HIPCUB_304000_NS21CountingInputIteratorIllEEPS6_NSA_22TransformInputIteratorIb7NonZeroIaEPalEENS0_5tupleIJPlS6_EEENSJ_IJSD_SD_EEES6_SK_JS6_EEE10hipError_tPvRmT3_T4_T5_T6_T7_T9_mT8_P12ihipStream_tbDpT10_ENKUlT_T0_E_clISt17integral_constantIbLb0EES16_EEDaS11_S12_EUlS11_E_NS1_11comp_targetILNS1_3genE8ELNS1_11target_archE1030ELNS1_3gpuE2ELNS1_3repE0EEENS1_30default_config_static_selectorELNS0_4arch9wavefront6targetE1EEEvT1_.has_indirect_call, 0
	.section	.AMDGPU.csdata,"",@progbits
; Kernel info:
; codeLenInByte = 0
; TotalNumSgprs: 4
; NumVgprs: 0
; ScratchSize: 0
; MemoryBound: 0
; FloatMode: 240
; IeeeMode: 1
; LDSByteSize: 0 bytes/workgroup (compile time only)
; SGPRBlocks: 0
; VGPRBlocks: 0
; NumSGPRsForWavesPerEU: 4
; NumVGPRsForWavesPerEU: 1
; Occupancy: 10
; WaveLimiterHint : 0
; COMPUTE_PGM_RSRC2:SCRATCH_EN: 0
; COMPUTE_PGM_RSRC2:USER_SGPR: 6
; COMPUTE_PGM_RSRC2:TRAP_HANDLER: 0
; COMPUTE_PGM_RSRC2:TGID_X_EN: 1
; COMPUTE_PGM_RSRC2:TGID_Y_EN: 0
; COMPUTE_PGM_RSRC2:TGID_Z_EN: 0
; COMPUTE_PGM_RSRC2:TIDIG_COMP_CNT: 0
	.section	.text._ZN7rocprim17ROCPRIM_400000_NS6detail17trampoline_kernelINS0_14default_configENS1_25transform_config_selectorImLb1EEEZNS1_14transform_implILb1ES3_S5_PmPlNS0_8identityIvEEEE10hipError_tT2_T3_mT4_P12ihipStream_tbEUlT_E_NS1_11comp_targetILNS1_3genE0ELNS1_11target_archE4294967295ELNS1_3gpuE0ELNS1_3repE0EEENS1_30default_config_static_selectorELNS0_4arch9wavefront6targetE1EEEvT1_,"axG",@progbits,_ZN7rocprim17ROCPRIM_400000_NS6detail17trampoline_kernelINS0_14default_configENS1_25transform_config_selectorImLb1EEEZNS1_14transform_implILb1ES3_S5_PmPlNS0_8identityIvEEEE10hipError_tT2_T3_mT4_P12ihipStream_tbEUlT_E_NS1_11comp_targetILNS1_3genE0ELNS1_11target_archE4294967295ELNS1_3gpuE0ELNS1_3repE0EEENS1_30default_config_static_selectorELNS0_4arch9wavefront6targetE1EEEvT1_,comdat
	.protected	_ZN7rocprim17ROCPRIM_400000_NS6detail17trampoline_kernelINS0_14default_configENS1_25transform_config_selectorImLb1EEEZNS1_14transform_implILb1ES3_S5_PmPlNS0_8identityIvEEEE10hipError_tT2_T3_mT4_P12ihipStream_tbEUlT_E_NS1_11comp_targetILNS1_3genE0ELNS1_11target_archE4294967295ELNS1_3gpuE0ELNS1_3repE0EEENS1_30default_config_static_selectorELNS0_4arch9wavefront6targetE1EEEvT1_ ; -- Begin function _ZN7rocprim17ROCPRIM_400000_NS6detail17trampoline_kernelINS0_14default_configENS1_25transform_config_selectorImLb1EEEZNS1_14transform_implILb1ES3_S5_PmPlNS0_8identityIvEEEE10hipError_tT2_T3_mT4_P12ihipStream_tbEUlT_E_NS1_11comp_targetILNS1_3genE0ELNS1_11target_archE4294967295ELNS1_3gpuE0ELNS1_3repE0EEENS1_30default_config_static_selectorELNS0_4arch9wavefront6targetE1EEEvT1_
	.globl	_ZN7rocprim17ROCPRIM_400000_NS6detail17trampoline_kernelINS0_14default_configENS1_25transform_config_selectorImLb1EEEZNS1_14transform_implILb1ES3_S5_PmPlNS0_8identityIvEEEE10hipError_tT2_T3_mT4_P12ihipStream_tbEUlT_E_NS1_11comp_targetILNS1_3genE0ELNS1_11target_archE4294967295ELNS1_3gpuE0ELNS1_3repE0EEENS1_30default_config_static_selectorELNS0_4arch9wavefront6targetE1EEEvT1_
	.p2align	8
	.type	_ZN7rocprim17ROCPRIM_400000_NS6detail17trampoline_kernelINS0_14default_configENS1_25transform_config_selectorImLb1EEEZNS1_14transform_implILb1ES3_S5_PmPlNS0_8identityIvEEEE10hipError_tT2_T3_mT4_P12ihipStream_tbEUlT_E_NS1_11comp_targetILNS1_3genE0ELNS1_11target_archE4294967295ELNS1_3gpuE0ELNS1_3repE0EEENS1_30default_config_static_selectorELNS0_4arch9wavefront6targetE1EEEvT1_,@function
_ZN7rocprim17ROCPRIM_400000_NS6detail17trampoline_kernelINS0_14default_configENS1_25transform_config_selectorImLb1EEEZNS1_14transform_implILb1ES3_S5_PmPlNS0_8identityIvEEEE10hipError_tT2_T3_mT4_P12ihipStream_tbEUlT_E_NS1_11comp_targetILNS1_3genE0ELNS1_11target_archE4294967295ELNS1_3gpuE0ELNS1_3repE0EEENS1_30default_config_static_selectorELNS0_4arch9wavefront6targetE1EEEvT1_: ; @_ZN7rocprim17ROCPRIM_400000_NS6detail17trampoline_kernelINS0_14default_configENS1_25transform_config_selectorImLb1EEEZNS1_14transform_implILb1ES3_S5_PmPlNS0_8identityIvEEEE10hipError_tT2_T3_mT4_P12ihipStream_tbEUlT_E_NS1_11comp_targetILNS1_3genE0ELNS1_11target_archE4294967295ELNS1_3gpuE0ELNS1_3repE0EEENS1_30default_config_static_selectorELNS0_4arch9wavefront6targetE1EEEvT1_
; %bb.0:
	.section	.rodata,"a",@progbits
	.p2align	6, 0x0
	.amdhsa_kernel _ZN7rocprim17ROCPRIM_400000_NS6detail17trampoline_kernelINS0_14default_configENS1_25transform_config_selectorImLb1EEEZNS1_14transform_implILb1ES3_S5_PmPlNS0_8identityIvEEEE10hipError_tT2_T3_mT4_P12ihipStream_tbEUlT_E_NS1_11comp_targetILNS1_3genE0ELNS1_11target_archE4294967295ELNS1_3gpuE0ELNS1_3repE0EEENS1_30default_config_static_selectorELNS0_4arch9wavefront6targetE1EEEvT1_
		.amdhsa_group_segment_fixed_size 0
		.amdhsa_private_segment_fixed_size 0
		.amdhsa_kernarg_size 40
		.amdhsa_user_sgpr_count 6
		.amdhsa_user_sgpr_private_segment_buffer 1
		.amdhsa_user_sgpr_dispatch_ptr 0
		.amdhsa_user_sgpr_queue_ptr 0
		.amdhsa_user_sgpr_kernarg_segment_ptr 1
		.amdhsa_user_sgpr_dispatch_id 0
		.amdhsa_user_sgpr_flat_scratch_init 0
		.amdhsa_user_sgpr_private_segment_size 0
		.amdhsa_uses_dynamic_stack 0
		.amdhsa_system_sgpr_private_segment_wavefront_offset 0
		.amdhsa_system_sgpr_workgroup_id_x 1
		.amdhsa_system_sgpr_workgroup_id_y 0
		.amdhsa_system_sgpr_workgroup_id_z 0
		.amdhsa_system_sgpr_workgroup_info 0
		.amdhsa_system_vgpr_workitem_id 0
		.amdhsa_next_free_vgpr 1
		.amdhsa_next_free_sgpr 0
		.amdhsa_reserve_vcc 0
		.amdhsa_reserve_flat_scratch 0
		.amdhsa_float_round_mode_32 0
		.amdhsa_float_round_mode_16_64 0
		.amdhsa_float_denorm_mode_32 3
		.amdhsa_float_denorm_mode_16_64 3
		.amdhsa_dx10_clamp 1
		.amdhsa_ieee_mode 1
		.amdhsa_fp16_overflow 0
		.amdhsa_exception_fp_ieee_invalid_op 0
		.amdhsa_exception_fp_denorm_src 0
		.amdhsa_exception_fp_ieee_div_zero 0
		.amdhsa_exception_fp_ieee_overflow 0
		.amdhsa_exception_fp_ieee_underflow 0
		.amdhsa_exception_fp_ieee_inexact 0
		.amdhsa_exception_int_div_zero 0
	.end_amdhsa_kernel
	.section	.text._ZN7rocprim17ROCPRIM_400000_NS6detail17trampoline_kernelINS0_14default_configENS1_25transform_config_selectorImLb1EEEZNS1_14transform_implILb1ES3_S5_PmPlNS0_8identityIvEEEE10hipError_tT2_T3_mT4_P12ihipStream_tbEUlT_E_NS1_11comp_targetILNS1_3genE0ELNS1_11target_archE4294967295ELNS1_3gpuE0ELNS1_3repE0EEENS1_30default_config_static_selectorELNS0_4arch9wavefront6targetE1EEEvT1_,"axG",@progbits,_ZN7rocprim17ROCPRIM_400000_NS6detail17trampoline_kernelINS0_14default_configENS1_25transform_config_selectorImLb1EEEZNS1_14transform_implILb1ES3_S5_PmPlNS0_8identityIvEEEE10hipError_tT2_T3_mT4_P12ihipStream_tbEUlT_E_NS1_11comp_targetILNS1_3genE0ELNS1_11target_archE4294967295ELNS1_3gpuE0ELNS1_3repE0EEENS1_30default_config_static_selectorELNS0_4arch9wavefront6targetE1EEEvT1_,comdat
.Lfunc_end45:
	.size	_ZN7rocprim17ROCPRIM_400000_NS6detail17trampoline_kernelINS0_14default_configENS1_25transform_config_selectorImLb1EEEZNS1_14transform_implILb1ES3_S5_PmPlNS0_8identityIvEEEE10hipError_tT2_T3_mT4_P12ihipStream_tbEUlT_E_NS1_11comp_targetILNS1_3genE0ELNS1_11target_archE4294967295ELNS1_3gpuE0ELNS1_3repE0EEENS1_30default_config_static_selectorELNS0_4arch9wavefront6targetE1EEEvT1_, .Lfunc_end45-_ZN7rocprim17ROCPRIM_400000_NS6detail17trampoline_kernelINS0_14default_configENS1_25transform_config_selectorImLb1EEEZNS1_14transform_implILb1ES3_S5_PmPlNS0_8identityIvEEEE10hipError_tT2_T3_mT4_P12ihipStream_tbEUlT_E_NS1_11comp_targetILNS1_3genE0ELNS1_11target_archE4294967295ELNS1_3gpuE0ELNS1_3repE0EEENS1_30default_config_static_selectorELNS0_4arch9wavefront6targetE1EEEvT1_
                                        ; -- End function
	.set _ZN7rocprim17ROCPRIM_400000_NS6detail17trampoline_kernelINS0_14default_configENS1_25transform_config_selectorImLb1EEEZNS1_14transform_implILb1ES3_S5_PmPlNS0_8identityIvEEEE10hipError_tT2_T3_mT4_P12ihipStream_tbEUlT_E_NS1_11comp_targetILNS1_3genE0ELNS1_11target_archE4294967295ELNS1_3gpuE0ELNS1_3repE0EEENS1_30default_config_static_selectorELNS0_4arch9wavefront6targetE1EEEvT1_.num_vgpr, 0
	.set _ZN7rocprim17ROCPRIM_400000_NS6detail17trampoline_kernelINS0_14default_configENS1_25transform_config_selectorImLb1EEEZNS1_14transform_implILb1ES3_S5_PmPlNS0_8identityIvEEEE10hipError_tT2_T3_mT4_P12ihipStream_tbEUlT_E_NS1_11comp_targetILNS1_3genE0ELNS1_11target_archE4294967295ELNS1_3gpuE0ELNS1_3repE0EEENS1_30default_config_static_selectorELNS0_4arch9wavefront6targetE1EEEvT1_.num_agpr, 0
	.set _ZN7rocprim17ROCPRIM_400000_NS6detail17trampoline_kernelINS0_14default_configENS1_25transform_config_selectorImLb1EEEZNS1_14transform_implILb1ES3_S5_PmPlNS0_8identityIvEEEE10hipError_tT2_T3_mT4_P12ihipStream_tbEUlT_E_NS1_11comp_targetILNS1_3genE0ELNS1_11target_archE4294967295ELNS1_3gpuE0ELNS1_3repE0EEENS1_30default_config_static_selectorELNS0_4arch9wavefront6targetE1EEEvT1_.numbered_sgpr, 0
	.set _ZN7rocprim17ROCPRIM_400000_NS6detail17trampoline_kernelINS0_14default_configENS1_25transform_config_selectorImLb1EEEZNS1_14transform_implILb1ES3_S5_PmPlNS0_8identityIvEEEE10hipError_tT2_T3_mT4_P12ihipStream_tbEUlT_E_NS1_11comp_targetILNS1_3genE0ELNS1_11target_archE4294967295ELNS1_3gpuE0ELNS1_3repE0EEENS1_30default_config_static_selectorELNS0_4arch9wavefront6targetE1EEEvT1_.num_named_barrier, 0
	.set _ZN7rocprim17ROCPRIM_400000_NS6detail17trampoline_kernelINS0_14default_configENS1_25transform_config_selectorImLb1EEEZNS1_14transform_implILb1ES3_S5_PmPlNS0_8identityIvEEEE10hipError_tT2_T3_mT4_P12ihipStream_tbEUlT_E_NS1_11comp_targetILNS1_3genE0ELNS1_11target_archE4294967295ELNS1_3gpuE0ELNS1_3repE0EEENS1_30default_config_static_selectorELNS0_4arch9wavefront6targetE1EEEvT1_.private_seg_size, 0
	.set _ZN7rocprim17ROCPRIM_400000_NS6detail17trampoline_kernelINS0_14default_configENS1_25transform_config_selectorImLb1EEEZNS1_14transform_implILb1ES3_S5_PmPlNS0_8identityIvEEEE10hipError_tT2_T3_mT4_P12ihipStream_tbEUlT_E_NS1_11comp_targetILNS1_3genE0ELNS1_11target_archE4294967295ELNS1_3gpuE0ELNS1_3repE0EEENS1_30default_config_static_selectorELNS0_4arch9wavefront6targetE1EEEvT1_.uses_vcc, 0
	.set _ZN7rocprim17ROCPRIM_400000_NS6detail17trampoline_kernelINS0_14default_configENS1_25transform_config_selectorImLb1EEEZNS1_14transform_implILb1ES3_S5_PmPlNS0_8identityIvEEEE10hipError_tT2_T3_mT4_P12ihipStream_tbEUlT_E_NS1_11comp_targetILNS1_3genE0ELNS1_11target_archE4294967295ELNS1_3gpuE0ELNS1_3repE0EEENS1_30default_config_static_selectorELNS0_4arch9wavefront6targetE1EEEvT1_.uses_flat_scratch, 0
	.set _ZN7rocprim17ROCPRIM_400000_NS6detail17trampoline_kernelINS0_14default_configENS1_25transform_config_selectorImLb1EEEZNS1_14transform_implILb1ES3_S5_PmPlNS0_8identityIvEEEE10hipError_tT2_T3_mT4_P12ihipStream_tbEUlT_E_NS1_11comp_targetILNS1_3genE0ELNS1_11target_archE4294967295ELNS1_3gpuE0ELNS1_3repE0EEENS1_30default_config_static_selectorELNS0_4arch9wavefront6targetE1EEEvT1_.has_dyn_sized_stack, 0
	.set _ZN7rocprim17ROCPRIM_400000_NS6detail17trampoline_kernelINS0_14default_configENS1_25transform_config_selectorImLb1EEEZNS1_14transform_implILb1ES3_S5_PmPlNS0_8identityIvEEEE10hipError_tT2_T3_mT4_P12ihipStream_tbEUlT_E_NS1_11comp_targetILNS1_3genE0ELNS1_11target_archE4294967295ELNS1_3gpuE0ELNS1_3repE0EEENS1_30default_config_static_selectorELNS0_4arch9wavefront6targetE1EEEvT1_.has_recursion, 0
	.set _ZN7rocprim17ROCPRIM_400000_NS6detail17trampoline_kernelINS0_14default_configENS1_25transform_config_selectorImLb1EEEZNS1_14transform_implILb1ES3_S5_PmPlNS0_8identityIvEEEE10hipError_tT2_T3_mT4_P12ihipStream_tbEUlT_E_NS1_11comp_targetILNS1_3genE0ELNS1_11target_archE4294967295ELNS1_3gpuE0ELNS1_3repE0EEENS1_30default_config_static_selectorELNS0_4arch9wavefront6targetE1EEEvT1_.has_indirect_call, 0
	.section	.AMDGPU.csdata,"",@progbits
; Kernel info:
; codeLenInByte = 0
; TotalNumSgprs: 4
; NumVgprs: 0
; ScratchSize: 0
; MemoryBound: 0
; FloatMode: 240
; IeeeMode: 1
; LDSByteSize: 0 bytes/workgroup (compile time only)
; SGPRBlocks: 0
; VGPRBlocks: 0
; NumSGPRsForWavesPerEU: 4
; NumVGPRsForWavesPerEU: 1
; Occupancy: 10
; WaveLimiterHint : 0
; COMPUTE_PGM_RSRC2:SCRATCH_EN: 0
; COMPUTE_PGM_RSRC2:USER_SGPR: 6
; COMPUTE_PGM_RSRC2:TRAP_HANDLER: 0
; COMPUTE_PGM_RSRC2:TGID_X_EN: 1
; COMPUTE_PGM_RSRC2:TGID_Y_EN: 0
; COMPUTE_PGM_RSRC2:TGID_Z_EN: 0
; COMPUTE_PGM_RSRC2:TIDIG_COMP_CNT: 0
	.section	.text._ZN7rocprim17ROCPRIM_400000_NS6detail17trampoline_kernelINS0_14default_configENS1_25transform_config_selectorImLb1EEEZNS1_14transform_implILb1ES3_S5_PmPlNS0_8identityIvEEEE10hipError_tT2_T3_mT4_P12ihipStream_tbEUlT_E_NS1_11comp_targetILNS1_3genE10ELNS1_11target_archE1201ELNS1_3gpuE5ELNS1_3repE0EEENS1_30default_config_static_selectorELNS0_4arch9wavefront6targetE1EEEvT1_,"axG",@progbits,_ZN7rocprim17ROCPRIM_400000_NS6detail17trampoline_kernelINS0_14default_configENS1_25transform_config_selectorImLb1EEEZNS1_14transform_implILb1ES3_S5_PmPlNS0_8identityIvEEEE10hipError_tT2_T3_mT4_P12ihipStream_tbEUlT_E_NS1_11comp_targetILNS1_3genE10ELNS1_11target_archE1201ELNS1_3gpuE5ELNS1_3repE0EEENS1_30default_config_static_selectorELNS0_4arch9wavefront6targetE1EEEvT1_,comdat
	.protected	_ZN7rocprim17ROCPRIM_400000_NS6detail17trampoline_kernelINS0_14default_configENS1_25transform_config_selectorImLb1EEEZNS1_14transform_implILb1ES3_S5_PmPlNS0_8identityIvEEEE10hipError_tT2_T3_mT4_P12ihipStream_tbEUlT_E_NS1_11comp_targetILNS1_3genE10ELNS1_11target_archE1201ELNS1_3gpuE5ELNS1_3repE0EEENS1_30default_config_static_selectorELNS0_4arch9wavefront6targetE1EEEvT1_ ; -- Begin function _ZN7rocprim17ROCPRIM_400000_NS6detail17trampoline_kernelINS0_14default_configENS1_25transform_config_selectorImLb1EEEZNS1_14transform_implILb1ES3_S5_PmPlNS0_8identityIvEEEE10hipError_tT2_T3_mT4_P12ihipStream_tbEUlT_E_NS1_11comp_targetILNS1_3genE10ELNS1_11target_archE1201ELNS1_3gpuE5ELNS1_3repE0EEENS1_30default_config_static_selectorELNS0_4arch9wavefront6targetE1EEEvT1_
	.globl	_ZN7rocprim17ROCPRIM_400000_NS6detail17trampoline_kernelINS0_14default_configENS1_25transform_config_selectorImLb1EEEZNS1_14transform_implILb1ES3_S5_PmPlNS0_8identityIvEEEE10hipError_tT2_T3_mT4_P12ihipStream_tbEUlT_E_NS1_11comp_targetILNS1_3genE10ELNS1_11target_archE1201ELNS1_3gpuE5ELNS1_3repE0EEENS1_30default_config_static_selectorELNS0_4arch9wavefront6targetE1EEEvT1_
	.p2align	8
	.type	_ZN7rocprim17ROCPRIM_400000_NS6detail17trampoline_kernelINS0_14default_configENS1_25transform_config_selectorImLb1EEEZNS1_14transform_implILb1ES3_S5_PmPlNS0_8identityIvEEEE10hipError_tT2_T3_mT4_P12ihipStream_tbEUlT_E_NS1_11comp_targetILNS1_3genE10ELNS1_11target_archE1201ELNS1_3gpuE5ELNS1_3repE0EEENS1_30default_config_static_selectorELNS0_4arch9wavefront6targetE1EEEvT1_,@function
_ZN7rocprim17ROCPRIM_400000_NS6detail17trampoline_kernelINS0_14default_configENS1_25transform_config_selectorImLb1EEEZNS1_14transform_implILb1ES3_S5_PmPlNS0_8identityIvEEEE10hipError_tT2_T3_mT4_P12ihipStream_tbEUlT_E_NS1_11comp_targetILNS1_3genE10ELNS1_11target_archE1201ELNS1_3gpuE5ELNS1_3repE0EEENS1_30default_config_static_selectorELNS0_4arch9wavefront6targetE1EEEvT1_: ; @_ZN7rocprim17ROCPRIM_400000_NS6detail17trampoline_kernelINS0_14default_configENS1_25transform_config_selectorImLb1EEEZNS1_14transform_implILb1ES3_S5_PmPlNS0_8identityIvEEEE10hipError_tT2_T3_mT4_P12ihipStream_tbEUlT_E_NS1_11comp_targetILNS1_3genE10ELNS1_11target_archE1201ELNS1_3gpuE5ELNS1_3repE0EEENS1_30default_config_static_selectorELNS0_4arch9wavefront6targetE1EEEvT1_
; %bb.0:
	.section	.rodata,"a",@progbits
	.p2align	6, 0x0
	.amdhsa_kernel _ZN7rocprim17ROCPRIM_400000_NS6detail17trampoline_kernelINS0_14default_configENS1_25transform_config_selectorImLb1EEEZNS1_14transform_implILb1ES3_S5_PmPlNS0_8identityIvEEEE10hipError_tT2_T3_mT4_P12ihipStream_tbEUlT_E_NS1_11comp_targetILNS1_3genE10ELNS1_11target_archE1201ELNS1_3gpuE5ELNS1_3repE0EEENS1_30default_config_static_selectorELNS0_4arch9wavefront6targetE1EEEvT1_
		.amdhsa_group_segment_fixed_size 0
		.amdhsa_private_segment_fixed_size 0
		.amdhsa_kernarg_size 40
		.amdhsa_user_sgpr_count 6
		.amdhsa_user_sgpr_private_segment_buffer 1
		.amdhsa_user_sgpr_dispatch_ptr 0
		.amdhsa_user_sgpr_queue_ptr 0
		.amdhsa_user_sgpr_kernarg_segment_ptr 1
		.amdhsa_user_sgpr_dispatch_id 0
		.amdhsa_user_sgpr_flat_scratch_init 0
		.amdhsa_user_sgpr_private_segment_size 0
		.amdhsa_uses_dynamic_stack 0
		.amdhsa_system_sgpr_private_segment_wavefront_offset 0
		.amdhsa_system_sgpr_workgroup_id_x 1
		.amdhsa_system_sgpr_workgroup_id_y 0
		.amdhsa_system_sgpr_workgroup_id_z 0
		.amdhsa_system_sgpr_workgroup_info 0
		.amdhsa_system_vgpr_workitem_id 0
		.amdhsa_next_free_vgpr 1
		.amdhsa_next_free_sgpr 0
		.amdhsa_reserve_vcc 0
		.amdhsa_reserve_flat_scratch 0
		.amdhsa_float_round_mode_32 0
		.amdhsa_float_round_mode_16_64 0
		.amdhsa_float_denorm_mode_32 3
		.amdhsa_float_denorm_mode_16_64 3
		.amdhsa_dx10_clamp 1
		.amdhsa_ieee_mode 1
		.amdhsa_fp16_overflow 0
		.amdhsa_exception_fp_ieee_invalid_op 0
		.amdhsa_exception_fp_denorm_src 0
		.amdhsa_exception_fp_ieee_div_zero 0
		.amdhsa_exception_fp_ieee_overflow 0
		.amdhsa_exception_fp_ieee_underflow 0
		.amdhsa_exception_fp_ieee_inexact 0
		.amdhsa_exception_int_div_zero 0
	.end_amdhsa_kernel
	.section	.text._ZN7rocprim17ROCPRIM_400000_NS6detail17trampoline_kernelINS0_14default_configENS1_25transform_config_selectorImLb1EEEZNS1_14transform_implILb1ES3_S5_PmPlNS0_8identityIvEEEE10hipError_tT2_T3_mT4_P12ihipStream_tbEUlT_E_NS1_11comp_targetILNS1_3genE10ELNS1_11target_archE1201ELNS1_3gpuE5ELNS1_3repE0EEENS1_30default_config_static_selectorELNS0_4arch9wavefront6targetE1EEEvT1_,"axG",@progbits,_ZN7rocprim17ROCPRIM_400000_NS6detail17trampoline_kernelINS0_14default_configENS1_25transform_config_selectorImLb1EEEZNS1_14transform_implILb1ES3_S5_PmPlNS0_8identityIvEEEE10hipError_tT2_T3_mT4_P12ihipStream_tbEUlT_E_NS1_11comp_targetILNS1_3genE10ELNS1_11target_archE1201ELNS1_3gpuE5ELNS1_3repE0EEENS1_30default_config_static_selectorELNS0_4arch9wavefront6targetE1EEEvT1_,comdat
.Lfunc_end46:
	.size	_ZN7rocprim17ROCPRIM_400000_NS6detail17trampoline_kernelINS0_14default_configENS1_25transform_config_selectorImLb1EEEZNS1_14transform_implILb1ES3_S5_PmPlNS0_8identityIvEEEE10hipError_tT2_T3_mT4_P12ihipStream_tbEUlT_E_NS1_11comp_targetILNS1_3genE10ELNS1_11target_archE1201ELNS1_3gpuE5ELNS1_3repE0EEENS1_30default_config_static_selectorELNS0_4arch9wavefront6targetE1EEEvT1_, .Lfunc_end46-_ZN7rocprim17ROCPRIM_400000_NS6detail17trampoline_kernelINS0_14default_configENS1_25transform_config_selectorImLb1EEEZNS1_14transform_implILb1ES3_S5_PmPlNS0_8identityIvEEEE10hipError_tT2_T3_mT4_P12ihipStream_tbEUlT_E_NS1_11comp_targetILNS1_3genE10ELNS1_11target_archE1201ELNS1_3gpuE5ELNS1_3repE0EEENS1_30default_config_static_selectorELNS0_4arch9wavefront6targetE1EEEvT1_
                                        ; -- End function
	.set _ZN7rocprim17ROCPRIM_400000_NS6detail17trampoline_kernelINS0_14default_configENS1_25transform_config_selectorImLb1EEEZNS1_14transform_implILb1ES3_S5_PmPlNS0_8identityIvEEEE10hipError_tT2_T3_mT4_P12ihipStream_tbEUlT_E_NS1_11comp_targetILNS1_3genE10ELNS1_11target_archE1201ELNS1_3gpuE5ELNS1_3repE0EEENS1_30default_config_static_selectorELNS0_4arch9wavefront6targetE1EEEvT1_.num_vgpr, 0
	.set _ZN7rocprim17ROCPRIM_400000_NS6detail17trampoline_kernelINS0_14default_configENS1_25transform_config_selectorImLb1EEEZNS1_14transform_implILb1ES3_S5_PmPlNS0_8identityIvEEEE10hipError_tT2_T3_mT4_P12ihipStream_tbEUlT_E_NS1_11comp_targetILNS1_3genE10ELNS1_11target_archE1201ELNS1_3gpuE5ELNS1_3repE0EEENS1_30default_config_static_selectorELNS0_4arch9wavefront6targetE1EEEvT1_.num_agpr, 0
	.set _ZN7rocprim17ROCPRIM_400000_NS6detail17trampoline_kernelINS0_14default_configENS1_25transform_config_selectorImLb1EEEZNS1_14transform_implILb1ES3_S5_PmPlNS0_8identityIvEEEE10hipError_tT2_T3_mT4_P12ihipStream_tbEUlT_E_NS1_11comp_targetILNS1_3genE10ELNS1_11target_archE1201ELNS1_3gpuE5ELNS1_3repE0EEENS1_30default_config_static_selectorELNS0_4arch9wavefront6targetE1EEEvT1_.numbered_sgpr, 0
	.set _ZN7rocprim17ROCPRIM_400000_NS6detail17trampoline_kernelINS0_14default_configENS1_25transform_config_selectorImLb1EEEZNS1_14transform_implILb1ES3_S5_PmPlNS0_8identityIvEEEE10hipError_tT2_T3_mT4_P12ihipStream_tbEUlT_E_NS1_11comp_targetILNS1_3genE10ELNS1_11target_archE1201ELNS1_3gpuE5ELNS1_3repE0EEENS1_30default_config_static_selectorELNS0_4arch9wavefront6targetE1EEEvT1_.num_named_barrier, 0
	.set _ZN7rocprim17ROCPRIM_400000_NS6detail17trampoline_kernelINS0_14default_configENS1_25transform_config_selectorImLb1EEEZNS1_14transform_implILb1ES3_S5_PmPlNS0_8identityIvEEEE10hipError_tT2_T3_mT4_P12ihipStream_tbEUlT_E_NS1_11comp_targetILNS1_3genE10ELNS1_11target_archE1201ELNS1_3gpuE5ELNS1_3repE0EEENS1_30default_config_static_selectorELNS0_4arch9wavefront6targetE1EEEvT1_.private_seg_size, 0
	.set _ZN7rocprim17ROCPRIM_400000_NS6detail17trampoline_kernelINS0_14default_configENS1_25transform_config_selectorImLb1EEEZNS1_14transform_implILb1ES3_S5_PmPlNS0_8identityIvEEEE10hipError_tT2_T3_mT4_P12ihipStream_tbEUlT_E_NS1_11comp_targetILNS1_3genE10ELNS1_11target_archE1201ELNS1_3gpuE5ELNS1_3repE0EEENS1_30default_config_static_selectorELNS0_4arch9wavefront6targetE1EEEvT1_.uses_vcc, 0
	.set _ZN7rocprim17ROCPRIM_400000_NS6detail17trampoline_kernelINS0_14default_configENS1_25transform_config_selectorImLb1EEEZNS1_14transform_implILb1ES3_S5_PmPlNS0_8identityIvEEEE10hipError_tT2_T3_mT4_P12ihipStream_tbEUlT_E_NS1_11comp_targetILNS1_3genE10ELNS1_11target_archE1201ELNS1_3gpuE5ELNS1_3repE0EEENS1_30default_config_static_selectorELNS0_4arch9wavefront6targetE1EEEvT1_.uses_flat_scratch, 0
	.set _ZN7rocprim17ROCPRIM_400000_NS6detail17trampoline_kernelINS0_14default_configENS1_25transform_config_selectorImLb1EEEZNS1_14transform_implILb1ES3_S5_PmPlNS0_8identityIvEEEE10hipError_tT2_T3_mT4_P12ihipStream_tbEUlT_E_NS1_11comp_targetILNS1_3genE10ELNS1_11target_archE1201ELNS1_3gpuE5ELNS1_3repE0EEENS1_30default_config_static_selectorELNS0_4arch9wavefront6targetE1EEEvT1_.has_dyn_sized_stack, 0
	.set _ZN7rocprim17ROCPRIM_400000_NS6detail17trampoline_kernelINS0_14default_configENS1_25transform_config_selectorImLb1EEEZNS1_14transform_implILb1ES3_S5_PmPlNS0_8identityIvEEEE10hipError_tT2_T3_mT4_P12ihipStream_tbEUlT_E_NS1_11comp_targetILNS1_3genE10ELNS1_11target_archE1201ELNS1_3gpuE5ELNS1_3repE0EEENS1_30default_config_static_selectorELNS0_4arch9wavefront6targetE1EEEvT1_.has_recursion, 0
	.set _ZN7rocprim17ROCPRIM_400000_NS6detail17trampoline_kernelINS0_14default_configENS1_25transform_config_selectorImLb1EEEZNS1_14transform_implILb1ES3_S5_PmPlNS0_8identityIvEEEE10hipError_tT2_T3_mT4_P12ihipStream_tbEUlT_E_NS1_11comp_targetILNS1_3genE10ELNS1_11target_archE1201ELNS1_3gpuE5ELNS1_3repE0EEENS1_30default_config_static_selectorELNS0_4arch9wavefront6targetE1EEEvT1_.has_indirect_call, 0
	.section	.AMDGPU.csdata,"",@progbits
; Kernel info:
; codeLenInByte = 0
; TotalNumSgprs: 4
; NumVgprs: 0
; ScratchSize: 0
; MemoryBound: 0
; FloatMode: 240
; IeeeMode: 1
; LDSByteSize: 0 bytes/workgroup (compile time only)
; SGPRBlocks: 0
; VGPRBlocks: 0
; NumSGPRsForWavesPerEU: 4
; NumVGPRsForWavesPerEU: 1
; Occupancy: 10
; WaveLimiterHint : 0
; COMPUTE_PGM_RSRC2:SCRATCH_EN: 0
; COMPUTE_PGM_RSRC2:USER_SGPR: 6
; COMPUTE_PGM_RSRC2:TRAP_HANDLER: 0
; COMPUTE_PGM_RSRC2:TGID_X_EN: 1
; COMPUTE_PGM_RSRC2:TGID_Y_EN: 0
; COMPUTE_PGM_RSRC2:TGID_Z_EN: 0
; COMPUTE_PGM_RSRC2:TIDIG_COMP_CNT: 0
	.section	.text._ZN7rocprim17ROCPRIM_400000_NS6detail17trampoline_kernelINS0_14default_configENS1_25transform_config_selectorImLb1EEEZNS1_14transform_implILb1ES3_S5_PmPlNS0_8identityIvEEEE10hipError_tT2_T3_mT4_P12ihipStream_tbEUlT_E_NS1_11comp_targetILNS1_3genE5ELNS1_11target_archE942ELNS1_3gpuE9ELNS1_3repE0EEENS1_30default_config_static_selectorELNS0_4arch9wavefront6targetE1EEEvT1_,"axG",@progbits,_ZN7rocprim17ROCPRIM_400000_NS6detail17trampoline_kernelINS0_14default_configENS1_25transform_config_selectorImLb1EEEZNS1_14transform_implILb1ES3_S5_PmPlNS0_8identityIvEEEE10hipError_tT2_T3_mT4_P12ihipStream_tbEUlT_E_NS1_11comp_targetILNS1_3genE5ELNS1_11target_archE942ELNS1_3gpuE9ELNS1_3repE0EEENS1_30default_config_static_selectorELNS0_4arch9wavefront6targetE1EEEvT1_,comdat
	.protected	_ZN7rocprim17ROCPRIM_400000_NS6detail17trampoline_kernelINS0_14default_configENS1_25transform_config_selectorImLb1EEEZNS1_14transform_implILb1ES3_S5_PmPlNS0_8identityIvEEEE10hipError_tT2_T3_mT4_P12ihipStream_tbEUlT_E_NS1_11comp_targetILNS1_3genE5ELNS1_11target_archE942ELNS1_3gpuE9ELNS1_3repE0EEENS1_30default_config_static_selectorELNS0_4arch9wavefront6targetE1EEEvT1_ ; -- Begin function _ZN7rocprim17ROCPRIM_400000_NS6detail17trampoline_kernelINS0_14default_configENS1_25transform_config_selectorImLb1EEEZNS1_14transform_implILb1ES3_S5_PmPlNS0_8identityIvEEEE10hipError_tT2_T3_mT4_P12ihipStream_tbEUlT_E_NS1_11comp_targetILNS1_3genE5ELNS1_11target_archE942ELNS1_3gpuE9ELNS1_3repE0EEENS1_30default_config_static_selectorELNS0_4arch9wavefront6targetE1EEEvT1_
	.globl	_ZN7rocprim17ROCPRIM_400000_NS6detail17trampoline_kernelINS0_14default_configENS1_25transform_config_selectorImLb1EEEZNS1_14transform_implILb1ES3_S5_PmPlNS0_8identityIvEEEE10hipError_tT2_T3_mT4_P12ihipStream_tbEUlT_E_NS1_11comp_targetILNS1_3genE5ELNS1_11target_archE942ELNS1_3gpuE9ELNS1_3repE0EEENS1_30default_config_static_selectorELNS0_4arch9wavefront6targetE1EEEvT1_
	.p2align	8
	.type	_ZN7rocprim17ROCPRIM_400000_NS6detail17trampoline_kernelINS0_14default_configENS1_25transform_config_selectorImLb1EEEZNS1_14transform_implILb1ES3_S5_PmPlNS0_8identityIvEEEE10hipError_tT2_T3_mT4_P12ihipStream_tbEUlT_E_NS1_11comp_targetILNS1_3genE5ELNS1_11target_archE942ELNS1_3gpuE9ELNS1_3repE0EEENS1_30default_config_static_selectorELNS0_4arch9wavefront6targetE1EEEvT1_,@function
_ZN7rocprim17ROCPRIM_400000_NS6detail17trampoline_kernelINS0_14default_configENS1_25transform_config_selectorImLb1EEEZNS1_14transform_implILb1ES3_S5_PmPlNS0_8identityIvEEEE10hipError_tT2_T3_mT4_P12ihipStream_tbEUlT_E_NS1_11comp_targetILNS1_3genE5ELNS1_11target_archE942ELNS1_3gpuE9ELNS1_3repE0EEENS1_30default_config_static_selectorELNS0_4arch9wavefront6targetE1EEEvT1_: ; @_ZN7rocprim17ROCPRIM_400000_NS6detail17trampoline_kernelINS0_14default_configENS1_25transform_config_selectorImLb1EEEZNS1_14transform_implILb1ES3_S5_PmPlNS0_8identityIvEEEE10hipError_tT2_T3_mT4_P12ihipStream_tbEUlT_E_NS1_11comp_targetILNS1_3genE5ELNS1_11target_archE942ELNS1_3gpuE9ELNS1_3repE0EEENS1_30default_config_static_selectorELNS0_4arch9wavefront6targetE1EEEvT1_
; %bb.0:
	.section	.rodata,"a",@progbits
	.p2align	6, 0x0
	.amdhsa_kernel _ZN7rocprim17ROCPRIM_400000_NS6detail17trampoline_kernelINS0_14default_configENS1_25transform_config_selectorImLb1EEEZNS1_14transform_implILb1ES3_S5_PmPlNS0_8identityIvEEEE10hipError_tT2_T3_mT4_P12ihipStream_tbEUlT_E_NS1_11comp_targetILNS1_3genE5ELNS1_11target_archE942ELNS1_3gpuE9ELNS1_3repE0EEENS1_30default_config_static_selectorELNS0_4arch9wavefront6targetE1EEEvT1_
		.amdhsa_group_segment_fixed_size 0
		.amdhsa_private_segment_fixed_size 0
		.amdhsa_kernarg_size 40
		.amdhsa_user_sgpr_count 6
		.amdhsa_user_sgpr_private_segment_buffer 1
		.amdhsa_user_sgpr_dispatch_ptr 0
		.amdhsa_user_sgpr_queue_ptr 0
		.amdhsa_user_sgpr_kernarg_segment_ptr 1
		.amdhsa_user_sgpr_dispatch_id 0
		.amdhsa_user_sgpr_flat_scratch_init 0
		.amdhsa_user_sgpr_private_segment_size 0
		.amdhsa_uses_dynamic_stack 0
		.amdhsa_system_sgpr_private_segment_wavefront_offset 0
		.amdhsa_system_sgpr_workgroup_id_x 1
		.amdhsa_system_sgpr_workgroup_id_y 0
		.amdhsa_system_sgpr_workgroup_id_z 0
		.amdhsa_system_sgpr_workgroup_info 0
		.amdhsa_system_vgpr_workitem_id 0
		.amdhsa_next_free_vgpr 1
		.amdhsa_next_free_sgpr 0
		.amdhsa_reserve_vcc 0
		.amdhsa_reserve_flat_scratch 0
		.amdhsa_float_round_mode_32 0
		.amdhsa_float_round_mode_16_64 0
		.amdhsa_float_denorm_mode_32 3
		.amdhsa_float_denorm_mode_16_64 3
		.amdhsa_dx10_clamp 1
		.amdhsa_ieee_mode 1
		.amdhsa_fp16_overflow 0
		.amdhsa_exception_fp_ieee_invalid_op 0
		.amdhsa_exception_fp_denorm_src 0
		.amdhsa_exception_fp_ieee_div_zero 0
		.amdhsa_exception_fp_ieee_overflow 0
		.amdhsa_exception_fp_ieee_underflow 0
		.amdhsa_exception_fp_ieee_inexact 0
		.amdhsa_exception_int_div_zero 0
	.end_amdhsa_kernel
	.section	.text._ZN7rocprim17ROCPRIM_400000_NS6detail17trampoline_kernelINS0_14default_configENS1_25transform_config_selectorImLb1EEEZNS1_14transform_implILb1ES3_S5_PmPlNS0_8identityIvEEEE10hipError_tT2_T3_mT4_P12ihipStream_tbEUlT_E_NS1_11comp_targetILNS1_3genE5ELNS1_11target_archE942ELNS1_3gpuE9ELNS1_3repE0EEENS1_30default_config_static_selectorELNS0_4arch9wavefront6targetE1EEEvT1_,"axG",@progbits,_ZN7rocprim17ROCPRIM_400000_NS6detail17trampoline_kernelINS0_14default_configENS1_25transform_config_selectorImLb1EEEZNS1_14transform_implILb1ES3_S5_PmPlNS0_8identityIvEEEE10hipError_tT2_T3_mT4_P12ihipStream_tbEUlT_E_NS1_11comp_targetILNS1_3genE5ELNS1_11target_archE942ELNS1_3gpuE9ELNS1_3repE0EEENS1_30default_config_static_selectorELNS0_4arch9wavefront6targetE1EEEvT1_,comdat
.Lfunc_end47:
	.size	_ZN7rocprim17ROCPRIM_400000_NS6detail17trampoline_kernelINS0_14default_configENS1_25transform_config_selectorImLb1EEEZNS1_14transform_implILb1ES3_S5_PmPlNS0_8identityIvEEEE10hipError_tT2_T3_mT4_P12ihipStream_tbEUlT_E_NS1_11comp_targetILNS1_3genE5ELNS1_11target_archE942ELNS1_3gpuE9ELNS1_3repE0EEENS1_30default_config_static_selectorELNS0_4arch9wavefront6targetE1EEEvT1_, .Lfunc_end47-_ZN7rocprim17ROCPRIM_400000_NS6detail17trampoline_kernelINS0_14default_configENS1_25transform_config_selectorImLb1EEEZNS1_14transform_implILb1ES3_S5_PmPlNS0_8identityIvEEEE10hipError_tT2_T3_mT4_P12ihipStream_tbEUlT_E_NS1_11comp_targetILNS1_3genE5ELNS1_11target_archE942ELNS1_3gpuE9ELNS1_3repE0EEENS1_30default_config_static_selectorELNS0_4arch9wavefront6targetE1EEEvT1_
                                        ; -- End function
	.set _ZN7rocprim17ROCPRIM_400000_NS6detail17trampoline_kernelINS0_14default_configENS1_25transform_config_selectorImLb1EEEZNS1_14transform_implILb1ES3_S5_PmPlNS0_8identityIvEEEE10hipError_tT2_T3_mT4_P12ihipStream_tbEUlT_E_NS1_11comp_targetILNS1_3genE5ELNS1_11target_archE942ELNS1_3gpuE9ELNS1_3repE0EEENS1_30default_config_static_selectorELNS0_4arch9wavefront6targetE1EEEvT1_.num_vgpr, 0
	.set _ZN7rocprim17ROCPRIM_400000_NS6detail17trampoline_kernelINS0_14default_configENS1_25transform_config_selectorImLb1EEEZNS1_14transform_implILb1ES3_S5_PmPlNS0_8identityIvEEEE10hipError_tT2_T3_mT4_P12ihipStream_tbEUlT_E_NS1_11comp_targetILNS1_3genE5ELNS1_11target_archE942ELNS1_3gpuE9ELNS1_3repE0EEENS1_30default_config_static_selectorELNS0_4arch9wavefront6targetE1EEEvT1_.num_agpr, 0
	.set _ZN7rocprim17ROCPRIM_400000_NS6detail17trampoline_kernelINS0_14default_configENS1_25transform_config_selectorImLb1EEEZNS1_14transform_implILb1ES3_S5_PmPlNS0_8identityIvEEEE10hipError_tT2_T3_mT4_P12ihipStream_tbEUlT_E_NS1_11comp_targetILNS1_3genE5ELNS1_11target_archE942ELNS1_3gpuE9ELNS1_3repE0EEENS1_30default_config_static_selectorELNS0_4arch9wavefront6targetE1EEEvT1_.numbered_sgpr, 0
	.set _ZN7rocprim17ROCPRIM_400000_NS6detail17trampoline_kernelINS0_14default_configENS1_25transform_config_selectorImLb1EEEZNS1_14transform_implILb1ES3_S5_PmPlNS0_8identityIvEEEE10hipError_tT2_T3_mT4_P12ihipStream_tbEUlT_E_NS1_11comp_targetILNS1_3genE5ELNS1_11target_archE942ELNS1_3gpuE9ELNS1_3repE0EEENS1_30default_config_static_selectorELNS0_4arch9wavefront6targetE1EEEvT1_.num_named_barrier, 0
	.set _ZN7rocprim17ROCPRIM_400000_NS6detail17trampoline_kernelINS0_14default_configENS1_25transform_config_selectorImLb1EEEZNS1_14transform_implILb1ES3_S5_PmPlNS0_8identityIvEEEE10hipError_tT2_T3_mT4_P12ihipStream_tbEUlT_E_NS1_11comp_targetILNS1_3genE5ELNS1_11target_archE942ELNS1_3gpuE9ELNS1_3repE0EEENS1_30default_config_static_selectorELNS0_4arch9wavefront6targetE1EEEvT1_.private_seg_size, 0
	.set _ZN7rocprim17ROCPRIM_400000_NS6detail17trampoline_kernelINS0_14default_configENS1_25transform_config_selectorImLb1EEEZNS1_14transform_implILb1ES3_S5_PmPlNS0_8identityIvEEEE10hipError_tT2_T3_mT4_P12ihipStream_tbEUlT_E_NS1_11comp_targetILNS1_3genE5ELNS1_11target_archE942ELNS1_3gpuE9ELNS1_3repE0EEENS1_30default_config_static_selectorELNS0_4arch9wavefront6targetE1EEEvT1_.uses_vcc, 0
	.set _ZN7rocprim17ROCPRIM_400000_NS6detail17trampoline_kernelINS0_14default_configENS1_25transform_config_selectorImLb1EEEZNS1_14transform_implILb1ES3_S5_PmPlNS0_8identityIvEEEE10hipError_tT2_T3_mT4_P12ihipStream_tbEUlT_E_NS1_11comp_targetILNS1_3genE5ELNS1_11target_archE942ELNS1_3gpuE9ELNS1_3repE0EEENS1_30default_config_static_selectorELNS0_4arch9wavefront6targetE1EEEvT1_.uses_flat_scratch, 0
	.set _ZN7rocprim17ROCPRIM_400000_NS6detail17trampoline_kernelINS0_14default_configENS1_25transform_config_selectorImLb1EEEZNS1_14transform_implILb1ES3_S5_PmPlNS0_8identityIvEEEE10hipError_tT2_T3_mT4_P12ihipStream_tbEUlT_E_NS1_11comp_targetILNS1_3genE5ELNS1_11target_archE942ELNS1_3gpuE9ELNS1_3repE0EEENS1_30default_config_static_selectorELNS0_4arch9wavefront6targetE1EEEvT1_.has_dyn_sized_stack, 0
	.set _ZN7rocprim17ROCPRIM_400000_NS6detail17trampoline_kernelINS0_14default_configENS1_25transform_config_selectorImLb1EEEZNS1_14transform_implILb1ES3_S5_PmPlNS0_8identityIvEEEE10hipError_tT2_T3_mT4_P12ihipStream_tbEUlT_E_NS1_11comp_targetILNS1_3genE5ELNS1_11target_archE942ELNS1_3gpuE9ELNS1_3repE0EEENS1_30default_config_static_selectorELNS0_4arch9wavefront6targetE1EEEvT1_.has_recursion, 0
	.set _ZN7rocprim17ROCPRIM_400000_NS6detail17trampoline_kernelINS0_14default_configENS1_25transform_config_selectorImLb1EEEZNS1_14transform_implILb1ES3_S5_PmPlNS0_8identityIvEEEE10hipError_tT2_T3_mT4_P12ihipStream_tbEUlT_E_NS1_11comp_targetILNS1_3genE5ELNS1_11target_archE942ELNS1_3gpuE9ELNS1_3repE0EEENS1_30default_config_static_selectorELNS0_4arch9wavefront6targetE1EEEvT1_.has_indirect_call, 0
	.section	.AMDGPU.csdata,"",@progbits
; Kernel info:
; codeLenInByte = 0
; TotalNumSgprs: 4
; NumVgprs: 0
; ScratchSize: 0
; MemoryBound: 0
; FloatMode: 240
; IeeeMode: 1
; LDSByteSize: 0 bytes/workgroup (compile time only)
; SGPRBlocks: 0
; VGPRBlocks: 0
; NumSGPRsForWavesPerEU: 4
; NumVGPRsForWavesPerEU: 1
; Occupancy: 10
; WaveLimiterHint : 0
; COMPUTE_PGM_RSRC2:SCRATCH_EN: 0
; COMPUTE_PGM_RSRC2:USER_SGPR: 6
; COMPUTE_PGM_RSRC2:TRAP_HANDLER: 0
; COMPUTE_PGM_RSRC2:TGID_X_EN: 1
; COMPUTE_PGM_RSRC2:TGID_Y_EN: 0
; COMPUTE_PGM_RSRC2:TGID_Z_EN: 0
; COMPUTE_PGM_RSRC2:TIDIG_COMP_CNT: 0
	.section	.text._ZN7rocprim17ROCPRIM_400000_NS6detail17trampoline_kernelINS0_14default_configENS1_25transform_config_selectorImLb1EEEZNS1_14transform_implILb1ES3_S5_PmPlNS0_8identityIvEEEE10hipError_tT2_T3_mT4_P12ihipStream_tbEUlT_E_NS1_11comp_targetILNS1_3genE4ELNS1_11target_archE910ELNS1_3gpuE8ELNS1_3repE0EEENS1_30default_config_static_selectorELNS0_4arch9wavefront6targetE1EEEvT1_,"axG",@progbits,_ZN7rocprim17ROCPRIM_400000_NS6detail17trampoline_kernelINS0_14default_configENS1_25transform_config_selectorImLb1EEEZNS1_14transform_implILb1ES3_S5_PmPlNS0_8identityIvEEEE10hipError_tT2_T3_mT4_P12ihipStream_tbEUlT_E_NS1_11comp_targetILNS1_3genE4ELNS1_11target_archE910ELNS1_3gpuE8ELNS1_3repE0EEENS1_30default_config_static_selectorELNS0_4arch9wavefront6targetE1EEEvT1_,comdat
	.protected	_ZN7rocprim17ROCPRIM_400000_NS6detail17trampoline_kernelINS0_14default_configENS1_25transform_config_selectorImLb1EEEZNS1_14transform_implILb1ES3_S5_PmPlNS0_8identityIvEEEE10hipError_tT2_T3_mT4_P12ihipStream_tbEUlT_E_NS1_11comp_targetILNS1_3genE4ELNS1_11target_archE910ELNS1_3gpuE8ELNS1_3repE0EEENS1_30default_config_static_selectorELNS0_4arch9wavefront6targetE1EEEvT1_ ; -- Begin function _ZN7rocprim17ROCPRIM_400000_NS6detail17trampoline_kernelINS0_14default_configENS1_25transform_config_selectorImLb1EEEZNS1_14transform_implILb1ES3_S5_PmPlNS0_8identityIvEEEE10hipError_tT2_T3_mT4_P12ihipStream_tbEUlT_E_NS1_11comp_targetILNS1_3genE4ELNS1_11target_archE910ELNS1_3gpuE8ELNS1_3repE0EEENS1_30default_config_static_selectorELNS0_4arch9wavefront6targetE1EEEvT1_
	.globl	_ZN7rocprim17ROCPRIM_400000_NS6detail17trampoline_kernelINS0_14default_configENS1_25transform_config_selectorImLb1EEEZNS1_14transform_implILb1ES3_S5_PmPlNS0_8identityIvEEEE10hipError_tT2_T3_mT4_P12ihipStream_tbEUlT_E_NS1_11comp_targetILNS1_3genE4ELNS1_11target_archE910ELNS1_3gpuE8ELNS1_3repE0EEENS1_30default_config_static_selectorELNS0_4arch9wavefront6targetE1EEEvT1_
	.p2align	8
	.type	_ZN7rocprim17ROCPRIM_400000_NS6detail17trampoline_kernelINS0_14default_configENS1_25transform_config_selectorImLb1EEEZNS1_14transform_implILb1ES3_S5_PmPlNS0_8identityIvEEEE10hipError_tT2_T3_mT4_P12ihipStream_tbEUlT_E_NS1_11comp_targetILNS1_3genE4ELNS1_11target_archE910ELNS1_3gpuE8ELNS1_3repE0EEENS1_30default_config_static_selectorELNS0_4arch9wavefront6targetE1EEEvT1_,@function
_ZN7rocprim17ROCPRIM_400000_NS6detail17trampoline_kernelINS0_14default_configENS1_25transform_config_selectorImLb1EEEZNS1_14transform_implILb1ES3_S5_PmPlNS0_8identityIvEEEE10hipError_tT2_T3_mT4_P12ihipStream_tbEUlT_E_NS1_11comp_targetILNS1_3genE4ELNS1_11target_archE910ELNS1_3gpuE8ELNS1_3repE0EEENS1_30default_config_static_selectorELNS0_4arch9wavefront6targetE1EEEvT1_: ; @_ZN7rocprim17ROCPRIM_400000_NS6detail17trampoline_kernelINS0_14default_configENS1_25transform_config_selectorImLb1EEEZNS1_14transform_implILb1ES3_S5_PmPlNS0_8identityIvEEEE10hipError_tT2_T3_mT4_P12ihipStream_tbEUlT_E_NS1_11comp_targetILNS1_3genE4ELNS1_11target_archE910ELNS1_3gpuE8ELNS1_3repE0EEENS1_30default_config_static_selectorELNS0_4arch9wavefront6targetE1EEEvT1_
; %bb.0:
	.section	.rodata,"a",@progbits
	.p2align	6, 0x0
	.amdhsa_kernel _ZN7rocprim17ROCPRIM_400000_NS6detail17trampoline_kernelINS0_14default_configENS1_25transform_config_selectorImLb1EEEZNS1_14transform_implILb1ES3_S5_PmPlNS0_8identityIvEEEE10hipError_tT2_T3_mT4_P12ihipStream_tbEUlT_E_NS1_11comp_targetILNS1_3genE4ELNS1_11target_archE910ELNS1_3gpuE8ELNS1_3repE0EEENS1_30default_config_static_selectorELNS0_4arch9wavefront6targetE1EEEvT1_
		.amdhsa_group_segment_fixed_size 0
		.amdhsa_private_segment_fixed_size 0
		.amdhsa_kernarg_size 40
		.amdhsa_user_sgpr_count 6
		.amdhsa_user_sgpr_private_segment_buffer 1
		.amdhsa_user_sgpr_dispatch_ptr 0
		.amdhsa_user_sgpr_queue_ptr 0
		.amdhsa_user_sgpr_kernarg_segment_ptr 1
		.amdhsa_user_sgpr_dispatch_id 0
		.amdhsa_user_sgpr_flat_scratch_init 0
		.amdhsa_user_sgpr_private_segment_size 0
		.amdhsa_uses_dynamic_stack 0
		.amdhsa_system_sgpr_private_segment_wavefront_offset 0
		.amdhsa_system_sgpr_workgroup_id_x 1
		.amdhsa_system_sgpr_workgroup_id_y 0
		.amdhsa_system_sgpr_workgroup_id_z 0
		.amdhsa_system_sgpr_workgroup_info 0
		.amdhsa_system_vgpr_workitem_id 0
		.amdhsa_next_free_vgpr 1
		.amdhsa_next_free_sgpr 0
		.amdhsa_reserve_vcc 0
		.amdhsa_reserve_flat_scratch 0
		.amdhsa_float_round_mode_32 0
		.amdhsa_float_round_mode_16_64 0
		.amdhsa_float_denorm_mode_32 3
		.amdhsa_float_denorm_mode_16_64 3
		.amdhsa_dx10_clamp 1
		.amdhsa_ieee_mode 1
		.amdhsa_fp16_overflow 0
		.amdhsa_exception_fp_ieee_invalid_op 0
		.amdhsa_exception_fp_denorm_src 0
		.amdhsa_exception_fp_ieee_div_zero 0
		.amdhsa_exception_fp_ieee_overflow 0
		.amdhsa_exception_fp_ieee_underflow 0
		.amdhsa_exception_fp_ieee_inexact 0
		.amdhsa_exception_int_div_zero 0
	.end_amdhsa_kernel
	.section	.text._ZN7rocprim17ROCPRIM_400000_NS6detail17trampoline_kernelINS0_14default_configENS1_25transform_config_selectorImLb1EEEZNS1_14transform_implILb1ES3_S5_PmPlNS0_8identityIvEEEE10hipError_tT2_T3_mT4_P12ihipStream_tbEUlT_E_NS1_11comp_targetILNS1_3genE4ELNS1_11target_archE910ELNS1_3gpuE8ELNS1_3repE0EEENS1_30default_config_static_selectorELNS0_4arch9wavefront6targetE1EEEvT1_,"axG",@progbits,_ZN7rocprim17ROCPRIM_400000_NS6detail17trampoline_kernelINS0_14default_configENS1_25transform_config_selectorImLb1EEEZNS1_14transform_implILb1ES3_S5_PmPlNS0_8identityIvEEEE10hipError_tT2_T3_mT4_P12ihipStream_tbEUlT_E_NS1_11comp_targetILNS1_3genE4ELNS1_11target_archE910ELNS1_3gpuE8ELNS1_3repE0EEENS1_30default_config_static_selectorELNS0_4arch9wavefront6targetE1EEEvT1_,comdat
.Lfunc_end48:
	.size	_ZN7rocprim17ROCPRIM_400000_NS6detail17trampoline_kernelINS0_14default_configENS1_25transform_config_selectorImLb1EEEZNS1_14transform_implILb1ES3_S5_PmPlNS0_8identityIvEEEE10hipError_tT2_T3_mT4_P12ihipStream_tbEUlT_E_NS1_11comp_targetILNS1_3genE4ELNS1_11target_archE910ELNS1_3gpuE8ELNS1_3repE0EEENS1_30default_config_static_selectorELNS0_4arch9wavefront6targetE1EEEvT1_, .Lfunc_end48-_ZN7rocprim17ROCPRIM_400000_NS6detail17trampoline_kernelINS0_14default_configENS1_25transform_config_selectorImLb1EEEZNS1_14transform_implILb1ES3_S5_PmPlNS0_8identityIvEEEE10hipError_tT2_T3_mT4_P12ihipStream_tbEUlT_E_NS1_11comp_targetILNS1_3genE4ELNS1_11target_archE910ELNS1_3gpuE8ELNS1_3repE0EEENS1_30default_config_static_selectorELNS0_4arch9wavefront6targetE1EEEvT1_
                                        ; -- End function
	.set _ZN7rocprim17ROCPRIM_400000_NS6detail17trampoline_kernelINS0_14default_configENS1_25transform_config_selectorImLb1EEEZNS1_14transform_implILb1ES3_S5_PmPlNS0_8identityIvEEEE10hipError_tT2_T3_mT4_P12ihipStream_tbEUlT_E_NS1_11comp_targetILNS1_3genE4ELNS1_11target_archE910ELNS1_3gpuE8ELNS1_3repE0EEENS1_30default_config_static_selectorELNS0_4arch9wavefront6targetE1EEEvT1_.num_vgpr, 0
	.set _ZN7rocprim17ROCPRIM_400000_NS6detail17trampoline_kernelINS0_14default_configENS1_25transform_config_selectorImLb1EEEZNS1_14transform_implILb1ES3_S5_PmPlNS0_8identityIvEEEE10hipError_tT2_T3_mT4_P12ihipStream_tbEUlT_E_NS1_11comp_targetILNS1_3genE4ELNS1_11target_archE910ELNS1_3gpuE8ELNS1_3repE0EEENS1_30default_config_static_selectorELNS0_4arch9wavefront6targetE1EEEvT1_.num_agpr, 0
	.set _ZN7rocprim17ROCPRIM_400000_NS6detail17trampoline_kernelINS0_14default_configENS1_25transform_config_selectorImLb1EEEZNS1_14transform_implILb1ES3_S5_PmPlNS0_8identityIvEEEE10hipError_tT2_T3_mT4_P12ihipStream_tbEUlT_E_NS1_11comp_targetILNS1_3genE4ELNS1_11target_archE910ELNS1_3gpuE8ELNS1_3repE0EEENS1_30default_config_static_selectorELNS0_4arch9wavefront6targetE1EEEvT1_.numbered_sgpr, 0
	.set _ZN7rocprim17ROCPRIM_400000_NS6detail17trampoline_kernelINS0_14default_configENS1_25transform_config_selectorImLb1EEEZNS1_14transform_implILb1ES3_S5_PmPlNS0_8identityIvEEEE10hipError_tT2_T3_mT4_P12ihipStream_tbEUlT_E_NS1_11comp_targetILNS1_3genE4ELNS1_11target_archE910ELNS1_3gpuE8ELNS1_3repE0EEENS1_30default_config_static_selectorELNS0_4arch9wavefront6targetE1EEEvT1_.num_named_barrier, 0
	.set _ZN7rocprim17ROCPRIM_400000_NS6detail17trampoline_kernelINS0_14default_configENS1_25transform_config_selectorImLb1EEEZNS1_14transform_implILb1ES3_S5_PmPlNS0_8identityIvEEEE10hipError_tT2_T3_mT4_P12ihipStream_tbEUlT_E_NS1_11comp_targetILNS1_3genE4ELNS1_11target_archE910ELNS1_3gpuE8ELNS1_3repE0EEENS1_30default_config_static_selectorELNS0_4arch9wavefront6targetE1EEEvT1_.private_seg_size, 0
	.set _ZN7rocprim17ROCPRIM_400000_NS6detail17trampoline_kernelINS0_14default_configENS1_25transform_config_selectorImLb1EEEZNS1_14transform_implILb1ES3_S5_PmPlNS0_8identityIvEEEE10hipError_tT2_T3_mT4_P12ihipStream_tbEUlT_E_NS1_11comp_targetILNS1_3genE4ELNS1_11target_archE910ELNS1_3gpuE8ELNS1_3repE0EEENS1_30default_config_static_selectorELNS0_4arch9wavefront6targetE1EEEvT1_.uses_vcc, 0
	.set _ZN7rocprim17ROCPRIM_400000_NS6detail17trampoline_kernelINS0_14default_configENS1_25transform_config_selectorImLb1EEEZNS1_14transform_implILb1ES3_S5_PmPlNS0_8identityIvEEEE10hipError_tT2_T3_mT4_P12ihipStream_tbEUlT_E_NS1_11comp_targetILNS1_3genE4ELNS1_11target_archE910ELNS1_3gpuE8ELNS1_3repE0EEENS1_30default_config_static_selectorELNS0_4arch9wavefront6targetE1EEEvT1_.uses_flat_scratch, 0
	.set _ZN7rocprim17ROCPRIM_400000_NS6detail17trampoline_kernelINS0_14default_configENS1_25transform_config_selectorImLb1EEEZNS1_14transform_implILb1ES3_S5_PmPlNS0_8identityIvEEEE10hipError_tT2_T3_mT4_P12ihipStream_tbEUlT_E_NS1_11comp_targetILNS1_3genE4ELNS1_11target_archE910ELNS1_3gpuE8ELNS1_3repE0EEENS1_30default_config_static_selectorELNS0_4arch9wavefront6targetE1EEEvT1_.has_dyn_sized_stack, 0
	.set _ZN7rocprim17ROCPRIM_400000_NS6detail17trampoline_kernelINS0_14default_configENS1_25transform_config_selectorImLb1EEEZNS1_14transform_implILb1ES3_S5_PmPlNS0_8identityIvEEEE10hipError_tT2_T3_mT4_P12ihipStream_tbEUlT_E_NS1_11comp_targetILNS1_3genE4ELNS1_11target_archE910ELNS1_3gpuE8ELNS1_3repE0EEENS1_30default_config_static_selectorELNS0_4arch9wavefront6targetE1EEEvT1_.has_recursion, 0
	.set _ZN7rocprim17ROCPRIM_400000_NS6detail17trampoline_kernelINS0_14default_configENS1_25transform_config_selectorImLb1EEEZNS1_14transform_implILb1ES3_S5_PmPlNS0_8identityIvEEEE10hipError_tT2_T3_mT4_P12ihipStream_tbEUlT_E_NS1_11comp_targetILNS1_3genE4ELNS1_11target_archE910ELNS1_3gpuE8ELNS1_3repE0EEENS1_30default_config_static_selectorELNS0_4arch9wavefront6targetE1EEEvT1_.has_indirect_call, 0
	.section	.AMDGPU.csdata,"",@progbits
; Kernel info:
; codeLenInByte = 0
; TotalNumSgprs: 4
; NumVgprs: 0
; ScratchSize: 0
; MemoryBound: 0
; FloatMode: 240
; IeeeMode: 1
; LDSByteSize: 0 bytes/workgroup (compile time only)
; SGPRBlocks: 0
; VGPRBlocks: 0
; NumSGPRsForWavesPerEU: 4
; NumVGPRsForWavesPerEU: 1
; Occupancy: 10
; WaveLimiterHint : 0
; COMPUTE_PGM_RSRC2:SCRATCH_EN: 0
; COMPUTE_PGM_RSRC2:USER_SGPR: 6
; COMPUTE_PGM_RSRC2:TRAP_HANDLER: 0
; COMPUTE_PGM_RSRC2:TGID_X_EN: 1
; COMPUTE_PGM_RSRC2:TGID_Y_EN: 0
; COMPUTE_PGM_RSRC2:TGID_Z_EN: 0
; COMPUTE_PGM_RSRC2:TIDIG_COMP_CNT: 0
	.section	.text._ZN7rocprim17ROCPRIM_400000_NS6detail17trampoline_kernelINS0_14default_configENS1_25transform_config_selectorImLb1EEEZNS1_14transform_implILb1ES3_S5_PmPlNS0_8identityIvEEEE10hipError_tT2_T3_mT4_P12ihipStream_tbEUlT_E_NS1_11comp_targetILNS1_3genE3ELNS1_11target_archE908ELNS1_3gpuE7ELNS1_3repE0EEENS1_30default_config_static_selectorELNS0_4arch9wavefront6targetE1EEEvT1_,"axG",@progbits,_ZN7rocprim17ROCPRIM_400000_NS6detail17trampoline_kernelINS0_14default_configENS1_25transform_config_selectorImLb1EEEZNS1_14transform_implILb1ES3_S5_PmPlNS0_8identityIvEEEE10hipError_tT2_T3_mT4_P12ihipStream_tbEUlT_E_NS1_11comp_targetILNS1_3genE3ELNS1_11target_archE908ELNS1_3gpuE7ELNS1_3repE0EEENS1_30default_config_static_selectorELNS0_4arch9wavefront6targetE1EEEvT1_,comdat
	.protected	_ZN7rocprim17ROCPRIM_400000_NS6detail17trampoline_kernelINS0_14default_configENS1_25transform_config_selectorImLb1EEEZNS1_14transform_implILb1ES3_S5_PmPlNS0_8identityIvEEEE10hipError_tT2_T3_mT4_P12ihipStream_tbEUlT_E_NS1_11comp_targetILNS1_3genE3ELNS1_11target_archE908ELNS1_3gpuE7ELNS1_3repE0EEENS1_30default_config_static_selectorELNS0_4arch9wavefront6targetE1EEEvT1_ ; -- Begin function _ZN7rocprim17ROCPRIM_400000_NS6detail17trampoline_kernelINS0_14default_configENS1_25transform_config_selectorImLb1EEEZNS1_14transform_implILb1ES3_S5_PmPlNS0_8identityIvEEEE10hipError_tT2_T3_mT4_P12ihipStream_tbEUlT_E_NS1_11comp_targetILNS1_3genE3ELNS1_11target_archE908ELNS1_3gpuE7ELNS1_3repE0EEENS1_30default_config_static_selectorELNS0_4arch9wavefront6targetE1EEEvT1_
	.globl	_ZN7rocprim17ROCPRIM_400000_NS6detail17trampoline_kernelINS0_14default_configENS1_25transform_config_selectorImLb1EEEZNS1_14transform_implILb1ES3_S5_PmPlNS0_8identityIvEEEE10hipError_tT2_T3_mT4_P12ihipStream_tbEUlT_E_NS1_11comp_targetILNS1_3genE3ELNS1_11target_archE908ELNS1_3gpuE7ELNS1_3repE0EEENS1_30default_config_static_selectorELNS0_4arch9wavefront6targetE1EEEvT1_
	.p2align	8
	.type	_ZN7rocprim17ROCPRIM_400000_NS6detail17trampoline_kernelINS0_14default_configENS1_25transform_config_selectorImLb1EEEZNS1_14transform_implILb1ES3_S5_PmPlNS0_8identityIvEEEE10hipError_tT2_T3_mT4_P12ihipStream_tbEUlT_E_NS1_11comp_targetILNS1_3genE3ELNS1_11target_archE908ELNS1_3gpuE7ELNS1_3repE0EEENS1_30default_config_static_selectorELNS0_4arch9wavefront6targetE1EEEvT1_,@function
_ZN7rocprim17ROCPRIM_400000_NS6detail17trampoline_kernelINS0_14default_configENS1_25transform_config_selectorImLb1EEEZNS1_14transform_implILb1ES3_S5_PmPlNS0_8identityIvEEEE10hipError_tT2_T3_mT4_P12ihipStream_tbEUlT_E_NS1_11comp_targetILNS1_3genE3ELNS1_11target_archE908ELNS1_3gpuE7ELNS1_3repE0EEENS1_30default_config_static_selectorELNS0_4arch9wavefront6targetE1EEEvT1_: ; @_ZN7rocprim17ROCPRIM_400000_NS6detail17trampoline_kernelINS0_14default_configENS1_25transform_config_selectorImLb1EEEZNS1_14transform_implILb1ES3_S5_PmPlNS0_8identityIvEEEE10hipError_tT2_T3_mT4_P12ihipStream_tbEUlT_E_NS1_11comp_targetILNS1_3genE3ELNS1_11target_archE908ELNS1_3gpuE7ELNS1_3repE0EEENS1_30default_config_static_selectorELNS0_4arch9wavefront6targetE1EEEvT1_
; %bb.0:
	.section	.rodata,"a",@progbits
	.p2align	6, 0x0
	.amdhsa_kernel _ZN7rocprim17ROCPRIM_400000_NS6detail17trampoline_kernelINS0_14default_configENS1_25transform_config_selectorImLb1EEEZNS1_14transform_implILb1ES3_S5_PmPlNS0_8identityIvEEEE10hipError_tT2_T3_mT4_P12ihipStream_tbEUlT_E_NS1_11comp_targetILNS1_3genE3ELNS1_11target_archE908ELNS1_3gpuE7ELNS1_3repE0EEENS1_30default_config_static_selectorELNS0_4arch9wavefront6targetE1EEEvT1_
		.amdhsa_group_segment_fixed_size 0
		.amdhsa_private_segment_fixed_size 0
		.amdhsa_kernarg_size 40
		.amdhsa_user_sgpr_count 6
		.amdhsa_user_sgpr_private_segment_buffer 1
		.amdhsa_user_sgpr_dispatch_ptr 0
		.amdhsa_user_sgpr_queue_ptr 0
		.amdhsa_user_sgpr_kernarg_segment_ptr 1
		.amdhsa_user_sgpr_dispatch_id 0
		.amdhsa_user_sgpr_flat_scratch_init 0
		.amdhsa_user_sgpr_private_segment_size 0
		.amdhsa_uses_dynamic_stack 0
		.amdhsa_system_sgpr_private_segment_wavefront_offset 0
		.amdhsa_system_sgpr_workgroup_id_x 1
		.amdhsa_system_sgpr_workgroup_id_y 0
		.amdhsa_system_sgpr_workgroup_id_z 0
		.amdhsa_system_sgpr_workgroup_info 0
		.amdhsa_system_vgpr_workitem_id 0
		.amdhsa_next_free_vgpr 1
		.amdhsa_next_free_sgpr 0
		.amdhsa_reserve_vcc 0
		.amdhsa_reserve_flat_scratch 0
		.amdhsa_float_round_mode_32 0
		.amdhsa_float_round_mode_16_64 0
		.amdhsa_float_denorm_mode_32 3
		.amdhsa_float_denorm_mode_16_64 3
		.amdhsa_dx10_clamp 1
		.amdhsa_ieee_mode 1
		.amdhsa_fp16_overflow 0
		.amdhsa_exception_fp_ieee_invalid_op 0
		.amdhsa_exception_fp_denorm_src 0
		.amdhsa_exception_fp_ieee_div_zero 0
		.amdhsa_exception_fp_ieee_overflow 0
		.amdhsa_exception_fp_ieee_underflow 0
		.amdhsa_exception_fp_ieee_inexact 0
		.amdhsa_exception_int_div_zero 0
	.end_amdhsa_kernel
	.section	.text._ZN7rocprim17ROCPRIM_400000_NS6detail17trampoline_kernelINS0_14default_configENS1_25transform_config_selectorImLb1EEEZNS1_14transform_implILb1ES3_S5_PmPlNS0_8identityIvEEEE10hipError_tT2_T3_mT4_P12ihipStream_tbEUlT_E_NS1_11comp_targetILNS1_3genE3ELNS1_11target_archE908ELNS1_3gpuE7ELNS1_3repE0EEENS1_30default_config_static_selectorELNS0_4arch9wavefront6targetE1EEEvT1_,"axG",@progbits,_ZN7rocprim17ROCPRIM_400000_NS6detail17trampoline_kernelINS0_14default_configENS1_25transform_config_selectorImLb1EEEZNS1_14transform_implILb1ES3_S5_PmPlNS0_8identityIvEEEE10hipError_tT2_T3_mT4_P12ihipStream_tbEUlT_E_NS1_11comp_targetILNS1_3genE3ELNS1_11target_archE908ELNS1_3gpuE7ELNS1_3repE0EEENS1_30default_config_static_selectorELNS0_4arch9wavefront6targetE1EEEvT1_,comdat
.Lfunc_end49:
	.size	_ZN7rocprim17ROCPRIM_400000_NS6detail17trampoline_kernelINS0_14default_configENS1_25transform_config_selectorImLb1EEEZNS1_14transform_implILb1ES3_S5_PmPlNS0_8identityIvEEEE10hipError_tT2_T3_mT4_P12ihipStream_tbEUlT_E_NS1_11comp_targetILNS1_3genE3ELNS1_11target_archE908ELNS1_3gpuE7ELNS1_3repE0EEENS1_30default_config_static_selectorELNS0_4arch9wavefront6targetE1EEEvT1_, .Lfunc_end49-_ZN7rocprim17ROCPRIM_400000_NS6detail17trampoline_kernelINS0_14default_configENS1_25transform_config_selectorImLb1EEEZNS1_14transform_implILb1ES3_S5_PmPlNS0_8identityIvEEEE10hipError_tT2_T3_mT4_P12ihipStream_tbEUlT_E_NS1_11comp_targetILNS1_3genE3ELNS1_11target_archE908ELNS1_3gpuE7ELNS1_3repE0EEENS1_30default_config_static_selectorELNS0_4arch9wavefront6targetE1EEEvT1_
                                        ; -- End function
	.set _ZN7rocprim17ROCPRIM_400000_NS6detail17trampoline_kernelINS0_14default_configENS1_25transform_config_selectorImLb1EEEZNS1_14transform_implILb1ES3_S5_PmPlNS0_8identityIvEEEE10hipError_tT2_T3_mT4_P12ihipStream_tbEUlT_E_NS1_11comp_targetILNS1_3genE3ELNS1_11target_archE908ELNS1_3gpuE7ELNS1_3repE0EEENS1_30default_config_static_selectorELNS0_4arch9wavefront6targetE1EEEvT1_.num_vgpr, 0
	.set _ZN7rocprim17ROCPRIM_400000_NS6detail17trampoline_kernelINS0_14default_configENS1_25transform_config_selectorImLb1EEEZNS1_14transform_implILb1ES3_S5_PmPlNS0_8identityIvEEEE10hipError_tT2_T3_mT4_P12ihipStream_tbEUlT_E_NS1_11comp_targetILNS1_3genE3ELNS1_11target_archE908ELNS1_3gpuE7ELNS1_3repE0EEENS1_30default_config_static_selectorELNS0_4arch9wavefront6targetE1EEEvT1_.num_agpr, 0
	.set _ZN7rocprim17ROCPRIM_400000_NS6detail17trampoline_kernelINS0_14default_configENS1_25transform_config_selectorImLb1EEEZNS1_14transform_implILb1ES3_S5_PmPlNS0_8identityIvEEEE10hipError_tT2_T3_mT4_P12ihipStream_tbEUlT_E_NS1_11comp_targetILNS1_3genE3ELNS1_11target_archE908ELNS1_3gpuE7ELNS1_3repE0EEENS1_30default_config_static_selectorELNS0_4arch9wavefront6targetE1EEEvT1_.numbered_sgpr, 0
	.set _ZN7rocprim17ROCPRIM_400000_NS6detail17trampoline_kernelINS0_14default_configENS1_25transform_config_selectorImLb1EEEZNS1_14transform_implILb1ES3_S5_PmPlNS0_8identityIvEEEE10hipError_tT2_T3_mT4_P12ihipStream_tbEUlT_E_NS1_11comp_targetILNS1_3genE3ELNS1_11target_archE908ELNS1_3gpuE7ELNS1_3repE0EEENS1_30default_config_static_selectorELNS0_4arch9wavefront6targetE1EEEvT1_.num_named_barrier, 0
	.set _ZN7rocprim17ROCPRIM_400000_NS6detail17trampoline_kernelINS0_14default_configENS1_25transform_config_selectorImLb1EEEZNS1_14transform_implILb1ES3_S5_PmPlNS0_8identityIvEEEE10hipError_tT2_T3_mT4_P12ihipStream_tbEUlT_E_NS1_11comp_targetILNS1_3genE3ELNS1_11target_archE908ELNS1_3gpuE7ELNS1_3repE0EEENS1_30default_config_static_selectorELNS0_4arch9wavefront6targetE1EEEvT1_.private_seg_size, 0
	.set _ZN7rocprim17ROCPRIM_400000_NS6detail17trampoline_kernelINS0_14default_configENS1_25transform_config_selectorImLb1EEEZNS1_14transform_implILb1ES3_S5_PmPlNS0_8identityIvEEEE10hipError_tT2_T3_mT4_P12ihipStream_tbEUlT_E_NS1_11comp_targetILNS1_3genE3ELNS1_11target_archE908ELNS1_3gpuE7ELNS1_3repE0EEENS1_30default_config_static_selectorELNS0_4arch9wavefront6targetE1EEEvT1_.uses_vcc, 0
	.set _ZN7rocprim17ROCPRIM_400000_NS6detail17trampoline_kernelINS0_14default_configENS1_25transform_config_selectorImLb1EEEZNS1_14transform_implILb1ES3_S5_PmPlNS0_8identityIvEEEE10hipError_tT2_T3_mT4_P12ihipStream_tbEUlT_E_NS1_11comp_targetILNS1_3genE3ELNS1_11target_archE908ELNS1_3gpuE7ELNS1_3repE0EEENS1_30default_config_static_selectorELNS0_4arch9wavefront6targetE1EEEvT1_.uses_flat_scratch, 0
	.set _ZN7rocprim17ROCPRIM_400000_NS6detail17trampoline_kernelINS0_14default_configENS1_25transform_config_selectorImLb1EEEZNS1_14transform_implILb1ES3_S5_PmPlNS0_8identityIvEEEE10hipError_tT2_T3_mT4_P12ihipStream_tbEUlT_E_NS1_11comp_targetILNS1_3genE3ELNS1_11target_archE908ELNS1_3gpuE7ELNS1_3repE0EEENS1_30default_config_static_selectorELNS0_4arch9wavefront6targetE1EEEvT1_.has_dyn_sized_stack, 0
	.set _ZN7rocprim17ROCPRIM_400000_NS6detail17trampoline_kernelINS0_14default_configENS1_25transform_config_selectorImLb1EEEZNS1_14transform_implILb1ES3_S5_PmPlNS0_8identityIvEEEE10hipError_tT2_T3_mT4_P12ihipStream_tbEUlT_E_NS1_11comp_targetILNS1_3genE3ELNS1_11target_archE908ELNS1_3gpuE7ELNS1_3repE0EEENS1_30default_config_static_selectorELNS0_4arch9wavefront6targetE1EEEvT1_.has_recursion, 0
	.set _ZN7rocprim17ROCPRIM_400000_NS6detail17trampoline_kernelINS0_14default_configENS1_25transform_config_selectorImLb1EEEZNS1_14transform_implILb1ES3_S5_PmPlNS0_8identityIvEEEE10hipError_tT2_T3_mT4_P12ihipStream_tbEUlT_E_NS1_11comp_targetILNS1_3genE3ELNS1_11target_archE908ELNS1_3gpuE7ELNS1_3repE0EEENS1_30default_config_static_selectorELNS0_4arch9wavefront6targetE1EEEvT1_.has_indirect_call, 0
	.section	.AMDGPU.csdata,"",@progbits
; Kernel info:
; codeLenInByte = 0
; TotalNumSgprs: 4
; NumVgprs: 0
; ScratchSize: 0
; MemoryBound: 0
; FloatMode: 240
; IeeeMode: 1
; LDSByteSize: 0 bytes/workgroup (compile time only)
; SGPRBlocks: 0
; VGPRBlocks: 0
; NumSGPRsForWavesPerEU: 4
; NumVGPRsForWavesPerEU: 1
; Occupancy: 10
; WaveLimiterHint : 0
; COMPUTE_PGM_RSRC2:SCRATCH_EN: 0
; COMPUTE_PGM_RSRC2:USER_SGPR: 6
; COMPUTE_PGM_RSRC2:TRAP_HANDLER: 0
; COMPUTE_PGM_RSRC2:TGID_X_EN: 1
; COMPUTE_PGM_RSRC2:TGID_Y_EN: 0
; COMPUTE_PGM_RSRC2:TGID_Z_EN: 0
; COMPUTE_PGM_RSRC2:TIDIG_COMP_CNT: 0
	.section	.text._ZN7rocprim17ROCPRIM_400000_NS6detail17trampoline_kernelINS0_14default_configENS1_25transform_config_selectorImLb1EEEZNS1_14transform_implILb1ES3_S5_PmPlNS0_8identityIvEEEE10hipError_tT2_T3_mT4_P12ihipStream_tbEUlT_E_NS1_11comp_targetILNS1_3genE2ELNS1_11target_archE906ELNS1_3gpuE6ELNS1_3repE0EEENS1_30default_config_static_selectorELNS0_4arch9wavefront6targetE1EEEvT1_,"axG",@progbits,_ZN7rocprim17ROCPRIM_400000_NS6detail17trampoline_kernelINS0_14default_configENS1_25transform_config_selectorImLb1EEEZNS1_14transform_implILb1ES3_S5_PmPlNS0_8identityIvEEEE10hipError_tT2_T3_mT4_P12ihipStream_tbEUlT_E_NS1_11comp_targetILNS1_3genE2ELNS1_11target_archE906ELNS1_3gpuE6ELNS1_3repE0EEENS1_30default_config_static_selectorELNS0_4arch9wavefront6targetE1EEEvT1_,comdat
	.protected	_ZN7rocprim17ROCPRIM_400000_NS6detail17trampoline_kernelINS0_14default_configENS1_25transform_config_selectorImLb1EEEZNS1_14transform_implILb1ES3_S5_PmPlNS0_8identityIvEEEE10hipError_tT2_T3_mT4_P12ihipStream_tbEUlT_E_NS1_11comp_targetILNS1_3genE2ELNS1_11target_archE906ELNS1_3gpuE6ELNS1_3repE0EEENS1_30default_config_static_selectorELNS0_4arch9wavefront6targetE1EEEvT1_ ; -- Begin function _ZN7rocprim17ROCPRIM_400000_NS6detail17trampoline_kernelINS0_14default_configENS1_25transform_config_selectorImLb1EEEZNS1_14transform_implILb1ES3_S5_PmPlNS0_8identityIvEEEE10hipError_tT2_T3_mT4_P12ihipStream_tbEUlT_E_NS1_11comp_targetILNS1_3genE2ELNS1_11target_archE906ELNS1_3gpuE6ELNS1_3repE0EEENS1_30default_config_static_selectorELNS0_4arch9wavefront6targetE1EEEvT1_
	.globl	_ZN7rocprim17ROCPRIM_400000_NS6detail17trampoline_kernelINS0_14default_configENS1_25transform_config_selectorImLb1EEEZNS1_14transform_implILb1ES3_S5_PmPlNS0_8identityIvEEEE10hipError_tT2_T3_mT4_P12ihipStream_tbEUlT_E_NS1_11comp_targetILNS1_3genE2ELNS1_11target_archE906ELNS1_3gpuE6ELNS1_3repE0EEENS1_30default_config_static_selectorELNS0_4arch9wavefront6targetE1EEEvT1_
	.p2align	8
	.type	_ZN7rocprim17ROCPRIM_400000_NS6detail17trampoline_kernelINS0_14default_configENS1_25transform_config_selectorImLb1EEEZNS1_14transform_implILb1ES3_S5_PmPlNS0_8identityIvEEEE10hipError_tT2_T3_mT4_P12ihipStream_tbEUlT_E_NS1_11comp_targetILNS1_3genE2ELNS1_11target_archE906ELNS1_3gpuE6ELNS1_3repE0EEENS1_30default_config_static_selectorELNS0_4arch9wavefront6targetE1EEEvT1_,@function
_ZN7rocprim17ROCPRIM_400000_NS6detail17trampoline_kernelINS0_14default_configENS1_25transform_config_selectorImLb1EEEZNS1_14transform_implILb1ES3_S5_PmPlNS0_8identityIvEEEE10hipError_tT2_T3_mT4_P12ihipStream_tbEUlT_E_NS1_11comp_targetILNS1_3genE2ELNS1_11target_archE906ELNS1_3gpuE6ELNS1_3repE0EEENS1_30default_config_static_selectorELNS0_4arch9wavefront6targetE1EEEvT1_: ; @_ZN7rocprim17ROCPRIM_400000_NS6detail17trampoline_kernelINS0_14default_configENS1_25transform_config_selectorImLb1EEEZNS1_14transform_implILb1ES3_S5_PmPlNS0_8identityIvEEEE10hipError_tT2_T3_mT4_P12ihipStream_tbEUlT_E_NS1_11comp_targetILNS1_3genE2ELNS1_11target_archE906ELNS1_3gpuE6ELNS1_3repE0EEENS1_30default_config_static_selectorELNS0_4arch9wavefront6targetE1EEEvT1_
; %bb.0:
	s_load_dword s1, s[4:5], 0x28
	s_load_dword s7, s[4:5], 0x10
	s_lshl_b32 s0, s6, 9
	s_waitcnt lgkmcnt(0)
	s_add_i32 s1, s1, -1
	s_cmp_lg_u32 s6, s1
	s_cselect_b64 s[2:3], -1, 0
	s_sub_i32 s1, s7, s0
	v_cmp_gt_u32_e32 vcc, s1, v0
	s_or_b64 s[2:3], vcc, s[2:3]
	s_and_saveexec_b64 s[6:7], s[2:3]
	s_cbranch_execz .LBB50_2
; %bb.1:
	s_load_dwordx4 s[8:11], s[4:5], 0x0
	s_load_dwordx2 s[2:3], s[4:5], 0x18
	s_mov_b32 s1, 0
	v_lshlrev_b32_e32 v2, 3, v0
	s_waitcnt lgkmcnt(0)
	s_lshl_b64 s[4:5], s[10:11], 3
	s_add_u32 s6, s8, s4
	s_addc_u32 s7, s9, s5
	s_lshl_b64 s[0:1], s[0:1], 3
	s_add_u32 s6, s6, s0
	s_addc_u32 s7, s7, s1
	global_load_dwordx2 v[0:1], v2, s[6:7]
	s_add_u32 s2, s2, s4
	s_addc_u32 s3, s3, s5
	s_add_u32 s0, s2, s0
	s_addc_u32 s1, s3, s1
	s_waitcnt vmcnt(0)
	global_store_dwordx2 v2, v[0:1], s[0:1]
.LBB50_2:
	s_endpgm
	.section	.rodata,"a",@progbits
	.p2align	6, 0x0
	.amdhsa_kernel _ZN7rocprim17ROCPRIM_400000_NS6detail17trampoline_kernelINS0_14default_configENS1_25transform_config_selectorImLb1EEEZNS1_14transform_implILb1ES3_S5_PmPlNS0_8identityIvEEEE10hipError_tT2_T3_mT4_P12ihipStream_tbEUlT_E_NS1_11comp_targetILNS1_3genE2ELNS1_11target_archE906ELNS1_3gpuE6ELNS1_3repE0EEENS1_30default_config_static_selectorELNS0_4arch9wavefront6targetE1EEEvT1_
		.amdhsa_group_segment_fixed_size 0
		.amdhsa_private_segment_fixed_size 0
		.amdhsa_kernarg_size 296
		.amdhsa_user_sgpr_count 6
		.amdhsa_user_sgpr_private_segment_buffer 1
		.amdhsa_user_sgpr_dispatch_ptr 0
		.amdhsa_user_sgpr_queue_ptr 0
		.amdhsa_user_sgpr_kernarg_segment_ptr 1
		.amdhsa_user_sgpr_dispatch_id 0
		.amdhsa_user_sgpr_flat_scratch_init 0
		.amdhsa_user_sgpr_private_segment_size 0
		.amdhsa_uses_dynamic_stack 0
		.amdhsa_system_sgpr_private_segment_wavefront_offset 0
		.amdhsa_system_sgpr_workgroup_id_x 1
		.amdhsa_system_sgpr_workgroup_id_y 0
		.amdhsa_system_sgpr_workgroup_id_z 0
		.amdhsa_system_sgpr_workgroup_info 0
		.amdhsa_system_vgpr_workitem_id 0
		.amdhsa_next_free_vgpr 3
		.amdhsa_next_free_sgpr 12
		.amdhsa_reserve_vcc 1
		.amdhsa_reserve_flat_scratch 0
		.amdhsa_float_round_mode_32 0
		.amdhsa_float_round_mode_16_64 0
		.amdhsa_float_denorm_mode_32 3
		.amdhsa_float_denorm_mode_16_64 3
		.amdhsa_dx10_clamp 1
		.amdhsa_ieee_mode 1
		.amdhsa_fp16_overflow 0
		.amdhsa_exception_fp_ieee_invalid_op 0
		.amdhsa_exception_fp_denorm_src 0
		.amdhsa_exception_fp_ieee_div_zero 0
		.amdhsa_exception_fp_ieee_overflow 0
		.amdhsa_exception_fp_ieee_underflow 0
		.amdhsa_exception_fp_ieee_inexact 0
		.amdhsa_exception_int_div_zero 0
	.end_amdhsa_kernel
	.section	.text._ZN7rocprim17ROCPRIM_400000_NS6detail17trampoline_kernelINS0_14default_configENS1_25transform_config_selectorImLb1EEEZNS1_14transform_implILb1ES3_S5_PmPlNS0_8identityIvEEEE10hipError_tT2_T3_mT4_P12ihipStream_tbEUlT_E_NS1_11comp_targetILNS1_3genE2ELNS1_11target_archE906ELNS1_3gpuE6ELNS1_3repE0EEENS1_30default_config_static_selectorELNS0_4arch9wavefront6targetE1EEEvT1_,"axG",@progbits,_ZN7rocprim17ROCPRIM_400000_NS6detail17trampoline_kernelINS0_14default_configENS1_25transform_config_selectorImLb1EEEZNS1_14transform_implILb1ES3_S5_PmPlNS0_8identityIvEEEE10hipError_tT2_T3_mT4_P12ihipStream_tbEUlT_E_NS1_11comp_targetILNS1_3genE2ELNS1_11target_archE906ELNS1_3gpuE6ELNS1_3repE0EEENS1_30default_config_static_selectorELNS0_4arch9wavefront6targetE1EEEvT1_,comdat
.Lfunc_end50:
	.size	_ZN7rocprim17ROCPRIM_400000_NS6detail17trampoline_kernelINS0_14default_configENS1_25transform_config_selectorImLb1EEEZNS1_14transform_implILb1ES3_S5_PmPlNS0_8identityIvEEEE10hipError_tT2_T3_mT4_P12ihipStream_tbEUlT_E_NS1_11comp_targetILNS1_3genE2ELNS1_11target_archE906ELNS1_3gpuE6ELNS1_3repE0EEENS1_30default_config_static_selectorELNS0_4arch9wavefront6targetE1EEEvT1_, .Lfunc_end50-_ZN7rocprim17ROCPRIM_400000_NS6detail17trampoline_kernelINS0_14default_configENS1_25transform_config_selectorImLb1EEEZNS1_14transform_implILb1ES3_S5_PmPlNS0_8identityIvEEEE10hipError_tT2_T3_mT4_P12ihipStream_tbEUlT_E_NS1_11comp_targetILNS1_3genE2ELNS1_11target_archE906ELNS1_3gpuE6ELNS1_3repE0EEENS1_30default_config_static_selectorELNS0_4arch9wavefront6targetE1EEEvT1_
                                        ; -- End function
	.set _ZN7rocprim17ROCPRIM_400000_NS6detail17trampoline_kernelINS0_14default_configENS1_25transform_config_selectorImLb1EEEZNS1_14transform_implILb1ES3_S5_PmPlNS0_8identityIvEEEE10hipError_tT2_T3_mT4_P12ihipStream_tbEUlT_E_NS1_11comp_targetILNS1_3genE2ELNS1_11target_archE906ELNS1_3gpuE6ELNS1_3repE0EEENS1_30default_config_static_selectorELNS0_4arch9wavefront6targetE1EEEvT1_.num_vgpr, 3
	.set _ZN7rocprim17ROCPRIM_400000_NS6detail17trampoline_kernelINS0_14default_configENS1_25transform_config_selectorImLb1EEEZNS1_14transform_implILb1ES3_S5_PmPlNS0_8identityIvEEEE10hipError_tT2_T3_mT4_P12ihipStream_tbEUlT_E_NS1_11comp_targetILNS1_3genE2ELNS1_11target_archE906ELNS1_3gpuE6ELNS1_3repE0EEENS1_30default_config_static_selectorELNS0_4arch9wavefront6targetE1EEEvT1_.num_agpr, 0
	.set _ZN7rocprim17ROCPRIM_400000_NS6detail17trampoline_kernelINS0_14default_configENS1_25transform_config_selectorImLb1EEEZNS1_14transform_implILb1ES3_S5_PmPlNS0_8identityIvEEEE10hipError_tT2_T3_mT4_P12ihipStream_tbEUlT_E_NS1_11comp_targetILNS1_3genE2ELNS1_11target_archE906ELNS1_3gpuE6ELNS1_3repE0EEENS1_30default_config_static_selectorELNS0_4arch9wavefront6targetE1EEEvT1_.numbered_sgpr, 12
	.set _ZN7rocprim17ROCPRIM_400000_NS6detail17trampoline_kernelINS0_14default_configENS1_25transform_config_selectorImLb1EEEZNS1_14transform_implILb1ES3_S5_PmPlNS0_8identityIvEEEE10hipError_tT2_T3_mT4_P12ihipStream_tbEUlT_E_NS1_11comp_targetILNS1_3genE2ELNS1_11target_archE906ELNS1_3gpuE6ELNS1_3repE0EEENS1_30default_config_static_selectorELNS0_4arch9wavefront6targetE1EEEvT1_.num_named_barrier, 0
	.set _ZN7rocprim17ROCPRIM_400000_NS6detail17trampoline_kernelINS0_14default_configENS1_25transform_config_selectorImLb1EEEZNS1_14transform_implILb1ES3_S5_PmPlNS0_8identityIvEEEE10hipError_tT2_T3_mT4_P12ihipStream_tbEUlT_E_NS1_11comp_targetILNS1_3genE2ELNS1_11target_archE906ELNS1_3gpuE6ELNS1_3repE0EEENS1_30default_config_static_selectorELNS0_4arch9wavefront6targetE1EEEvT1_.private_seg_size, 0
	.set _ZN7rocprim17ROCPRIM_400000_NS6detail17trampoline_kernelINS0_14default_configENS1_25transform_config_selectorImLb1EEEZNS1_14transform_implILb1ES3_S5_PmPlNS0_8identityIvEEEE10hipError_tT2_T3_mT4_P12ihipStream_tbEUlT_E_NS1_11comp_targetILNS1_3genE2ELNS1_11target_archE906ELNS1_3gpuE6ELNS1_3repE0EEENS1_30default_config_static_selectorELNS0_4arch9wavefront6targetE1EEEvT1_.uses_vcc, 1
	.set _ZN7rocprim17ROCPRIM_400000_NS6detail17trampoline_kernelINS0_14default_configENS1_25transform_config_selectorImLb1EEEZNS1_14transform_implILb1ES3_S5_PmPlNS0_8identityIvEEEE10hipError_tT2_T3_mT4_P12ihipStream_tbEUlT_E_NS1_11comp_targetILNS1_3genE2ELNS1_11target_archE906ELNS1_3gpuE6ELNS1_3repE0EEENS1_30default_config_static_selectorELNS0_4arch9wavefront6targetE1EEEvT1_.uses_flat_scratch, 0
	.set _ZN7rocprim17ROCPRIM_400000_NS6detail17trampoline_kernelINS0_14default_configENS1_25transform_config_selectorImLb1EEEZNS1_14transform_implILb1ES3_S5_PmPlNS0_8identityIvEEEE10hipError_tT2_T3_mT4_P12ihipStream_tbEUlT_E_NS1_11comp_targetILNS1_3genE2ELNS1_11target_archE906ELNS1_3gpuE6ELNS1_3repE0EEENS1_30default_config_static_selectorELNS0_4arch9wavefront6targetE1EEEvT1_.has_dyn_sized_stack, 0
	.set _ZN7rocprim17ROCPRIM_400000_NS6detail17trampoline_kernelINS0_14default_configENS1_25transform_config_selectorImLb1EEEZNS1_14transform_implILb1ES3_S5_PmPlNS0_8identityIvEEEE10hipError_tT2_T3_mT4_P12ihipStream_tbEUlT_E_NS1_11comp_targetILNS1_3genE2ELNS1_11target_archE906ELNS1_3gpuE6ELNS1_3repE0EEENS1_30default_config_static_selectorELNS0_4arch9wavefront6targetE1EEEvT1_.has_recursion, 0
	.set _ZN7rocprim17ROCPRIM_400000_NS6detail17trampoline_kernelINS0_14default_configENS1_25transform_config_selectorImLb1EEEZNS1_14transform_implILb1ES3_S5_PmPlNS0_8identityIvEEEE10hipError_tT2_T3_mT4_P12ihipStream_tbEUlT_E_NS1_11comp_targetILNS1_3genE2ELNS1_11target_archE906ELNS1_3gpuE6ELNS1_3repE0EEENS1_30default_config_static_selectorELNS0_4arch9wavefront6targetE1EEEvT1_.has_indirect_call, 0
	.section	.AMDGPU.csdata,"",@progbits
; Kernel info:
; codeLenInByte = 148
; TotalNumSgprs: 16
; NumVgprs: 3
; ScratchSize: 0
; MemoryBound: 0
; FloatMode: 240
; IeeeMode: 1
; LDSByteSize: 0 bytes/workgroup (compile time only)
; SGPRBlocks: 1
; VGPRBlocks: 0
; NumSGPRsForWavesPerEU: 16
; NumVGPRsForWavesPerEU: 3
; Occupancy: 10
; WaveLimiterHint : 0
; COMPUTE_PGM_RSRC2:SCRATCH_EN: 0
; COMPUTE_PGM_RSRC2:USER_SGPR: 6
; COMPUTE_PGM_RSRC2:TRAP_HANDLER: 0
; COMPUTE_PGM_RSRC2:TGID_X_EN: 1
; COMPUTE_PGM_RSRC2:TGID_Y_EN: 0
; COMPUTE_PGM_RSRC2:TGID_Z_EN: 0
; COMPUTE_PGM_RSRC2:TIDIG_COMP_CNT: 0
	.section	.text._ZN7rocprim17ROCPRIM_400000_NS6detail17trampoline_kernelINS0_14default_configENS1_25transform_config_selectorImLb1EEEZNS1_14transform_implILb1ES3_S5_PmPlNS0_8identityIvEEEE10hipError_tT2_T3_mT4_P12ihipStream_tbEUlT_E_NS1_11comp_targetILNS1_3genE9ELNS1_11target_archE1100ELNS1_3gpuE3ELNS1_3repE0EEENS1_30default_config_static_selectorELNS0_4arch9wavefront6targetE1EEEvT1_,"axG",@progbits,_ZN7rocprim17ROCPRIM_400000_NS6detail17trampoline_kernelINS0_14default_configENS1_25transform_config_selectorImLb1EEEZNS1_14transform_implILb1ES3_S5_PmPlNS0_8identityIvEEEE10hipError_tT2_T3_mT4_P12ihipStream_tbEUlT_E_NS1_11comp_targetILNS1_3genE9ELNS1_11target_archE1100ELNS1_3gpuE3ELNS1_3repE0EEENS1_30default_config_static_selectorELNS0_4arch9wavefront6targetE1EEEvT1_,comdat
	.protected	_ZN7rocprim17ROCPRIM_400000_NS6detail17trampoline_kernelINS0_14default_configENS1_25transform_config_selectorImLb1EEEZNS1_14transform_implILb1ES3_S5_PmPlNS0_8identityIvEEEE10hipError_tT2_T3_mT4_P12ihipStream_tbEUlT_E_NS1_11comp_targetILNS1_3genE9ELNS1_11target_archE1100ELNS1_3gpuE3ELNS1_3repE0EEENS1_30default_config_static_selectorELNS0_4arch9wavefront6targetE1EEEvT1_ ; -- Begin function _ZN7rocprim17ROCPRIM_400000_NS6detail17trampoline_kernelINS0_14default_configENS1_25transform_config_selectorImLb1EEEZNS1_14transform_implILb1ES3_S5_PmPlNS0_8identityIvEEEE10hipError_tT2_T3_mT4_P12ihipStream_tbEUlT_E_NS1_11comp_targetILNS1_3genE9ELNS1_11target_archE1100ELNS1_3gpuE3ELNS1_3repE0EEENS1_30default_config_static_selectorELNS0_4arch9wavefront6targetE1EEEvT1_
	.globl	_ZN7rocprim17ROCPRIM_400000_NS6detail17trampoline_kernelINS0_14default_configENS1_25transform_config_selectorImLb1EEEZNS1_14transform_implILb1ES3_S5_PmPlNS0_8identityIvEEEE10hipError_tT2_T3_mT4_P12ihipStream_tbEUlT_E_NS1_11comp_targetILNS1_3genE9ELNS1_11target_archE1100ELNS1_3gpuE3ELNS1_3repE0EEENS1_30default_config_static_selectorELNS0_4arch9wavefront6targetE1EEEvT1_
	.p2align	8
	.type	_ZN7rocprim17ROCPRIM_400000_NS6detail17trampoline_kernelINS0_14default_configENS1_25transform_config_selectorImLb1EEEZNS1_14transform_implILb1ES3_S5_PmPlNS0_8identityIvEEEE10hipError_tT2_T3_mT4_P12ihipStream_tbEUlT_E_NS1_11comp_targetILNS1_3genE9ELNS1_11target_archE1100ELNS1_3gpuE3ELNS1_3repE0EEENS1_30default_config_static_selectorELNS0_4arch9wavefront6targetE1EEEvT1_,@function
_ZN7rocprim17ROCPRIM_400000_NS6detail17trampoline_kernelINS0_14default_configENS1_25transform_config_selectorImLb1EEEZNS1_14transform_implILb1ES3_S5_PmPlNS0_8identityIvEEEE10hipError_tT2_T3_mT4_P12ihipStream_tbEUlT_E_NS1_11comp_targetILNS1_3genE9ELNS1_11target_archE1100ELNS1_3gpuE3ELNS1_3repE0EEENS1_30default_config_static_selectorELNS0_4arch9wavefront6targetE1EEEvT1_: ; @_ZN7rocprim17ROCPRIM_400000_NS6detail17trampoline_kernelINS0_14default_configENS1_25transform_config_selectorImLb1EEEZNS1_14transform_implILb1ES3_S5_PmPlNS0_8identityIvEEEE10hipError_tT2_T3_mT4_P12ihipStream_tbEUlT_E_NS1_11comp_targetILNS1_3genE9ELNS1_11target_archE1100ELNS1_3gpuE3ELNS1_3repE0EEENS1_30default_config_static_selectorELNS0_4arch9wavefront6targetE1EEEvT1_
; %bb.0:
	.section	.rodata,"a",@progbits
	.p2align	6, 0x0
	.amdhsa_kernel _ZN7rocprim17ROCPRIM_400000_NS6detail17trampoline_kernelINS0_14default_configENS1_25transform_config_selectorImLb1EEEZNS1_14transform_implILb1ES3_S5_PmPlNS0_8identityIvEEEE10hipError_tT2_T3_mT4_P12ihipStream_tbEUlT_E_NS1_11comp_targetILNS1_3genE9ELNS1_11target_archE1100ELNS1_3gpuE3ELNS1_3repE0EEENS1_30default_config_static_selectorELNS0_4arch9wavefront6targetE1EEEvT1_
		.amdhsa_group_segment_fixed_size 0
		.amdhsa_private_segment_fixed_size 0
		.amdhsa_kernarg_size 40
		.amdhsa_user_sgpr_count 6
		.amdhsa_user_sgpr_private_segment_buffer 1
		.amdhsa_user_sgpr_dispatch_ptr 0
		.amdhsa_user_sgpr_queue_ptr 0
		.amdhsa_user_sgpr_kernarg_segment_ptr 1
		.amdhsa_user_sgpr_dispatch_id 0
		.amdhsa_user_sgpr_flat_scratch_init 0
		.amdhsa_user_sgpr_private_segment_size 0
		.amdhsa_uses_dynamic_stack 0
		.amdhsa_system_sgpr_private_segment_wavefront_offset 0
		.amdhsa_system_sgpr_workgroup_id_x 1
		.amdhsa_system_sgpr_workgroup_id_y 0
		.amdhsa_system_sgpr_workgroup_id_z 0
		.amdhsa_system_sgpr_workgroup_info 0
		.amdhsa_system_vgpr_workitem_id 0
		.amdhsa_next_free_vgpr 1
		.amdhsa_next_free_sgpr 0
		.amdhsa_reserve_vcc 0
		.amdhsa_reserve_flat_scratch 0
		.amdhsa_float_round_mode_32 0
		.amdhsa_float_round_mode_16_64 0
		.amdhsa_float_denorm_mode_32 3
		.amdhsa_float_denorm_mode_16_64 3
		.amdhsa_dx10_clamp 1
		.amdhsa_ieee_mode 1
		.amdhsa_fp16_overflow 0
		.amdhsa_exception_fp_ieee_invalid_op 0
		.amdhsa_exception_fp_denorm_src 0
		.amdhsa_exception_fp_ieee_div_zero 0
		.amdhsa_exception_fp_ieee_overflow 0
		.amdhsa_exception_fp_ieee_underflow 0
		.amdhsa_exception_fp_ieee_inexact 0
		.amdhsa_exception_int_div_zero 0
	.end_amdhsa_kernel
	.section	.text._ZN7rocprim17ROCPRIM_400000_NS6detail17trampoline_kernelINS0_14default_configENS1_25transform_config_selectorImLb1EEEZNS1_14transform_implILb1ES3_S5_PmPlNS0_8identityIvEEEE10hipError_tT2_T3_mT4_P12ihipStream_tbEUlT_E_NS1_11comp_targetILNS1_3genE9ELNS1_11target_archE1100ELNS1_3gpuE3ELNS1_3repE0EEENS1_30default_config_static_selectorELNS0_4arch9wavefront6targetE1EEEvT1_,"axG",@progbits,_ZN7rocprim17ROCPRIM_400000_NS6detail17trampoline_kernelINS0_14default_configENS1_25transform_config_selectorImLb1EEEZNS1_14transform_implILb1ES3_S5_PmPlNS0_8identityIvEEEE10hipError_tT2_T3_mT4_P12ihipStream_tbEUlT_E_NS1_11comp_targetILNS1_3genE9ELNS1_11target_archE1100ELNS1_3gpuE3ELNS1_3repE0EEENS1_30default_config_static_selectorELNS0_4arch9wavefront6targetE1EEEvT1_,comdat
.Lfunc_end51:
	.size	_ZN7rocprim17ROCPRIM_400000_NS6detail17trampoline_kernelINS0_14default_configENS1_25transform_config_selectorImLb1EEEZNS1_14transform_implILb1ES3_S5_PmPlNS0_8identityIvEEEE10hipError_tT2_T3_mT4_P12ihipStream_tbEUlT_E_NS1_11comp_targetILNS1_3genE9ELNS1_11target_archE1100ELNS1_3gpuE3ELNS1_3repE0EEENS1_30default_config_static_selectorELNS0_4arch9wavefront6targetE1EEEvT1_, .Lfunc_end51-_ZN7rocprim17ROCPRIM_400000_NS6detail17trampoline_kernelINS0_14default_configENS1_25transform_config_selectorImLb1EEEZNS1_14transform_implILb1ES3_S5_PmPlNS0_8identityIvEEEE10hipError_tT2_T3_mT4_P12ihipStream_tbEUlT_E_NS1_11comp_targetILNS1_3genE9ELNS1_11target_archE1100ELNS1_3gpuE3ELNS1_3repE0EEENS1_30default_config_static_selectorELNS0_4arch9wavefront6targetE1EEEvT1_
                                        ; -- End function
	.set _ZN7rocprim17ROCPRIM_400000_NS6detail17trampoline_kernelINS0_14default_configENS1_25transform_config_selectorImLb1EEEZNS1_14transform_implILb1ES3_S5_PmPlNS0_8identityIvEEEE10hipError_tT2_T3_mT4_P12ihipStream_tbEUlT_E_NS1_11comp_targetILNS1_3genE9ELNS1_11target_archE1100ELNS1_3gpuE3ELNS1_3repE0EEENS1_30default_config_static_selectorELNS0_4arch9wavefront6targetE1EEEvT1_.num_vgpr, 0
	.set _ZN7rocprim17ROCPRIM_400000_NS6detail17trampoline_kernelINS0_14default_configENS1_25transform_config_selectorImLb1EEEZNS1_14transform_implILb1ES3_S5_PmPlNS0_8identityIvEEEE10hipError_tT2_T3_mT4_P12ihipStream_tbEUlT_E_NS1_11comp_targetILNS1_3genE9ELNS1_11target_archE1100ELNS1_3gpuE3ELNS1_3repE0EEENS1_30default_config_static_selectorELNS0_4arch9wavefront6targetE1EEEvT1_.num_agpr, 0
	.set _ZN7rocprim17ROCPRIM_400000_NS6detail17trampoline_kernelINS0_14default_configENS1_25transform_config_selectorImLb1EEEZNS1_14transform_implILb1ES3_S5_PmPlNS0_8identityIvEEEE10hipError_tT2_T3_mT4_P12ihipStream_tbEUlT_E_NS1_11comp_targetILNS1_3genE9ELNS1_11target_archE1100ELNS1_3gpuE3ELNS1_3repE0EEENS1_30default_config_static_selectorELNS0_4arch9wavefront6targetE1EEEvT1_.numbered_sgpr, 0
	.set _ZN7rocprim17ROCPRIM_400000_NS6detail17trampoline_kernelINS0_14default_configENS1_25transform_config_selectorImLb1EEEZNS1_14transform_implILb1ES3_S5_PmPlNS0_8identityIvEEEE10hipError_tT2_T3_mT4_P12ihipStream_tbEUlT_E_NS1_11comp_targetILNS1_3genE9ELNS1_11target_archE1100ELNS1_3gpuE3ELNS1_3repE0EEENS1_30default_config_static_selectorELNS0_4arch9wavefront6targetE1EEEvT1_.num_named_barrier, 0
	.set _ZN7rocprim17ROCPRIM_400000_NS6detail17trampoline_kernelINS0_14default_configENS1_25transform_config_selectorImLb1EEEZNS1_14transform_implILb1ES3_S5_PmPlNS0_8identityIvEEEE10hipError_tT2_T3_mT4_P12ihipStream_tbEUlT_E_NS1_11comp_targetILNS1_3genE9ELNS1_11target_archE1100ELNS1_3gpuE3ELNS1_3repE0EEENS1_30default_config_static_selectorELNS0_4arch9wavefront6targetE1EEEvT1_.private_seg_size, 0
	.set _ZN7rocprim17ROCPRIM_400000_NS6detail17trampoline_kernelINS0_14default_configENS1_25transform_config_selectorImLb1EEEZNS1_14transform_implILb1ES3_S5_PmPlNS0_8identityIvEEEE10hipError_tT2_T3_mT4_P12ihipStream_tbEUlT_E_NS1_11comp_targetILNS1_3genE9ELNS1_11target_archE1100ELNS1_3gpuE3ELNS1_3repE0EEENS1_30default_config_static_selectorELNS0_4arch9wavefront6targetE1EEEvT1_.uses_vcc, 0
	.set _ZN7rocprim17ROCPRIM_400000_NS6detail17trampoline_kernelINS0_14default_configENS1_25transform_config_selectorImLb1EEEZNS1_14transform_implILb1ES3_S5_PmPlNS0_8identityIvEEEE10hipError_tT2_T3_mT4_P12ihipStream_tbEUlT_E_NS1_11comp_targetILNS1_3genE9ELNS1_11target_archE1100ELNS1_3gpuE3ELNS1_3repE0EEENS1_30default_config_static_selectorELNS0_4arch9wavefront6targetE1EEEvT1_.uses_flat_scratch, 0
	.set _ZN7rocprim17ROCPRIM_400000_NS6detail17trampoline_kernelINS0_14default_configENS1_25transform_config_selectorImLb1EEEZNS1_14transform_implILb1ES3_S5_PmPlNS0_8identityIvEEEE10hipError_tT2_T3_mT4_P12ihipStream_tbEUlT_E_NS1_11comp_targetILNS1_3genE9ELNS1_11target_archE1100ELNS1_3gpuE3ELNS1_3repE0EEENS1_30default_config_static_selectorELNS0_4arch9wavefront6targetE1EEEvT1_.has_dyn_sized_stack, 0
	.set _ZN7rocprim17ROCPRIM_400000_NS6detail17trampoline_kernelINS0_14default_configENS1_25transform_config_selectorImLb1EEEZNS1_14transform_implILb1ES3_S5_PmPlNS0_8identityIvEEEE10hipError_tT2_T3_mT4_P12ihipStream_tbEUlT_E_NS1_11comp_targetILNS1_3genE9ELNS1_11target_archE1100ELNS1_3gpuE3ELNS1_3repE0EEENS1_30default_config_static_selectorELNS0_4arch9wavefront6targetE1EEEvT1_.has_recursion, 0
	.set _ZN7rocprim17ROCPRIM_400000_NS6detail17trampoline_kernelINS0_14default_configENS1_25transform_config_selectorImLb1EEEZNS1_14transform_implILb1ES3_S5_PmPlNS0_8identityIvEEEE10hipError_tT2_T3_mT4_P12ihipStream_tbEUlT_E_NS1_11comp_targetILNS1_3genE9ELNS1_11target_archE1100ELNS1_3gpuE3ELNS1_3repE0EEENS1_30default_config_static_selectorELNS0_4arch9wavefront6targetE1EEEvT1_.has_indirect_call, 0
	.section	.AMDGPU.csdata,"",@progbits
; Kernel info:
; codeLenInByte = 0
; TotalNumSgprs: 4
; NumVgprs: 0
; ScratchSize: 0
; MemoryBound: 0
; FloatMode: 240
; IeeeMode: 1
; LDSByteSize: 0 bytes/workgroup (compile time only)
; SGPRBlocks: 0
; VGPRBlocks: 0
; NumSGPRsForWavesPerEU: 4
; NumVGPRsForWavesPerEU: 1
; Occupancy: 10
; WaveLimiterHint : 0
; COMPUTE_PGM_RSRC2:SCRATCH_EN: 0
; COMPUTE_PGM_RSRC2:USER_SGPR: 6
; COMPUTE_PGM_RSRC2:TRAP_HANDLER: 0
; COMPUTE_PGM_RSRC2:TGID_X_EN: 1
; COMPUTE_PGM_RSRC2:TGID_Y_EN: 0
; COMPUTE_PGM_RSRC2:TGID_Z_EN: 0
; COMPUTE_PGM_RSRC2:TIDIG_COMP_CNT: 0
	.section	.text._ZN7rocprim17ROCPRIM_400000_NS6detail17trampoline_kernelINS0_14default_configENS1_25transform_config_selectorImLb1EEEZNS1_14transform_implILb1ES3_S5_PmPlNS0_8identityIvEEEE10hipError_tT2_T3_mT4_P12ihipStream_tbEUlT_E_NS1_11comp_targetILNS1_3genE8ELNS1_11target_archE1030ELNS1_3gpuE2ELNS1_3repE0EEENS1_30default_config_static_selectorELNS0_4arch9wavefront6targetE1EEEvT1_,"axG",@progbits,_ZN7rocprim17ROCPRIM_400000_NS6detail17trampoline_kernelINS0_14default_configENS1_25transform_config_selectorImLb1EEEZNS1_14transform_implILb1ES3_S5_PmPlNS0_8identityIvEEEE10hipError_tT2_T3_mT4_P12ihipStream_tbEUlT_E_NS1_11comp_targetILNS1_3genE8ELNS1_11target_archE1030ELNS1_3gpuE2ELNS1_3repE0EEENS1_30default_config_static_selectorELNS0_4arch9wavefront6targetE1EEEvT1_,comdat
	.protected	_ZN7rocprim17ROCPRIM_400000_NS6detail17trampoline_kernelINS0_14default_configENS1_25transform_config_selectorImLb1EEEZNS1_14transform_implILb1ES3_S5_PmPlNS0_8identityIvEEEE10hipError_tT2_T3_mT4_P12ihipStream_tbEUlT_E_NS1_11comp_targetILNS1_3genE8ELNS1_11target_archE1030ELNS1_3gpuE2ELNS1_3repE0EEENS1_30default_config_static_selectorELNS0_4arch9wavefront6targetE1EEEvT1_ ; -- Begin function _ZN7rocprim17ROCPRIM_400000_NS6detail17trampoline_kernelINS0_14default_configENS1_25transform_config_selectorImLb1EEEZNS1_14transform_implILb1ES3_S5_PmPlNS0_8identityIvEEEE10hipError_tT2_T3_mT4_P12ihipStream_tbEUlT_E_NS1_11comp_targetILNS1_3genE8ELNS1_11target_archE1030ELNS1_3gpuE2ELNS1_3repE0EEENS1_30default_config_static_selectorELNS0_4arch9wavefront6targetE1EEEvT1_
	.globl	_ZN7rocprim17ROCPRIM_400000_NS6detail17trampoline_kernelINS0_14default_configENS1_25transform_config_selectorImLb1EEEZNS1_14transform_implILb1ES3_S5_PmPlNS0_8identityIvEEEE10hipError_tT2_T3_mT4_P12ihipStream_tbEUlT_E_NS1_11comp_targetILNS1_3genE8ELNS1_11target_archE1030ELNS1_3gpuE2ELNS1_3repE0EEENS1_30default_config_static_selectorELNS0_4arch9wavefront6targetE1EEEvT1_
	.p2align	8
	.type	_ZN7rocprim17ROCPRIM_400000_NS6detail17trampoline_kernelINS0_14default_configENS1_25transform_config_selectorImLb1EEEZNS1_14transform_implILb1ES3_S5_PmPlNS0_8identityIvEEEE10hipError_tT2_T3_mT4_P12ihipStream_tbEUlT_E_NS1_11comp_targetILNS1_3genE8ELNS1_11target_archE1030ELNS1_3gpuE2ELNS1_3repE0EEENS1_30default_config_static_selectorELNS0_4arch9wavefront6targetE1EEEvT1_,@function
_ZN7rocprim17ROCPRIM_400000_NS6detail17trampoline_kernelINS0_14default_configENS1_25transform_config_selectorImLb1EEEZNS1_14transform_implILb1ES3_S5_PmPlNS0_8identityIvEEEE10hipError_tT2_T3_mT4_P12ihipStream_tbEUlT_E_NS1_11comp_targetILNS1_3genE8ELNS1_11target_archE1030ELNS1_3gpuE2ELNS1_3repE0EEENS1_30default_config_static_selectorELNS0_4arch9wavefront6targetE1EEEvT1_: ; @_ZN7rocprim17ROCPRIM_400000_NS6detail17trampoline_kernelINS0_14default_configENS1_25transform_config_selectorImLb1EEEZNS1_14transform_implILb1ES3_S5_PmPlNS0_8identityIvEEEE10hipError_tT2_T3_mT4_P12ihipStream_tbEUlT_E_NS1_11comp_targetILNS1_3genE8ELNS1_11target_archE1030ELNS1_3gpuE2ELNS1_3repE0EEENS1_30default_config_static_selectorELNS0_4arch9wavefront6targetE1EEEvT1_
; %bb.0:
	.section	.rodata,"a",@progbits
	.p2align	6, 0x0
	.amdhsa_kernel _ZN7rocprim17ROCPRIM_400000_NS6detail17trampoline_kernelINS0_14default_configENS1_25transform_config_selectorImLb1EEEZNS1_14transform_implILb1ES3_S5_PmPlNS0_8identityIvEEEE10hipError_tT2_T3_mT4_P12ihipStream_tbEUlT_E_NS1_11comp_targetILNS1_3genE8ELNS1_11target_archE1030ELNS1_3gpuE2ELNS1_3repE0EEENS1_30default_config_static_selectorELNS0_4arch9wavefront6targetE1EEEvT1_
		.amdhsa_group_segment_fixed_size 0
		.amdhsa_private_segment_fixed_size 0
		.amdhsa_kernarg_size 40
		.amdhsa_user_sgpr_count 6
		.amdhsa_user_sgpr_private_segment_buffer 1
		.amdhsa_user_sgpr_dispatch_ptr 0
		.amdhsa_user_sgpr_queue_ptr 0
		.amdhsa_user_sgpr_kernarg_segment_ptr 1
		.amdhsa_user_sgpr_dispatch_id 0
		.amdhsa_user_sgpr_flat_scratch_init 0
		.amdhsa_user_sgpr_private_segment_size 0
		.amdhsa_uses_dynamic_stack 0
		.amdhsa_system_sgpr_private_segment_wavefront_offset 0
		.amdhsa_system_sgpr_workgroup_id_x 1
		.amdhsa_system_sgpr_workgroup_id_y 0
		.amdhsa_system_sgpr_workgroup_id_z 0
		.amdhsa_system_sgpr_workgroup_info 0
		.amdhsa_system_vgpr_workitem_id 0
		.amdhsa_next_free_vgpr 1
		.amdhsa_next_free_sgpr 0
		.amdhsa_reserve_vcc 0
		.amdhsa_reserve_flat_scratch 0
		.amdhsa_float_round_mode_32 0
		.amdhsa_float_round_mode_16_64 0
		.amdhsa_float_denorm_mode_32 3
		.amdhsa_float_denorm_mode_16_64 3
		.amdhsa_dx10_clamp 1
		.amdhsa_ieee_mode 1
		.amdhsa_fp16_overflow 0
		.amdhsa_exception_fp_ieee_invalid_op 0
		.amdhsa_exception_fp_denorm_src 0
		.amdhsa_exception_fp_ieee_div_zero 0
		.amdhsa_exception_fp_ieee_overflow 0
		.amdhsa_exception_fp_ieee_underflow 0
		.amdhsa_exception_fp_ieee_inexact 0
		.amdhsa_exception_int_div_zero 0
	.end_amdhsa_kernel
	.section	.text._ZN7rocprim17ROCPRIM_400000_NS6detail17trampoline_kernelINS0_14default_configENS1_25transform_config_selectorImLb1EEEZNS1_14transform_implILb1ES3_S5_PmPlNS0_8identityIvEEEE10hipError_tT2_T3_mT4_P12ihipStream_tbEUlT_E_NS1_11comp_targetILNS1_3genE8ELNS1_11target_archE1030ELNS1_3gpuE2ELNS1_3repE0EEENS1_30default_config_static_selectorELNS0_4arch9wavefront6targetE1EEEvT1_,"axG",@progbits,_ZN7rocprim17ROCPRIM_400000_NS6detail17trampoline_kernelINS0_14default_configENS1_25transform_config_selectorImLb1EEEZNS1_14transform_implILb1ES3_S5_PmPlNS0_8identityIvEEEE10hipError_tT2_T3_mT4_P12ihipStream_tbEUlT_E_NS1_11comp_targetILNS1_3genE8ELNS1_11target_archE1030ELNS1_3gpuE2ELNS1_3repE0EEENS1_30default_config_static_selectorELNS0_4arch9wavefront6targetE1EEEvT1_,comdat
.Lfunc_end52:
	.size	_ZN7rocprim17ROCPRIM_400000_NS6detail17trampoline_kernelINS0_14default_configENS1_25transform_config_selectorImLb1EEEZNS1_14transform_implILb1ES3_S5_PmPlNS0_8identityIvEEEE10hipError_tT2_T3_mT4_P12ihipStream_tbEUlT_E_NS1_11comp_targetILNS1_3genE8ELNS1_11target_archE1030ELNS1_3gpuE2ELNS1_3repE0EEENS1_30default_config_static_selectorELNS0_4arch9wavefront6targetE1EEEvT1_, .Lfunc_end52-_ZN7rocprim17ROCPRIM_400000_NS6detail17trampoline_kernelINS0_14default_configENS1_25transform_config_selectorImLb1EEEZNS1_14transform_implILb1ES3_S5_PmPlNS0_8identityIvEEEE10hipError_tT2_T3_mT4_P12ihipStream_tbEUlT_E_NS1_11comp_targetILNS1_3genE8ELNS1_11target_archE1030ELNS1_3gpuE2ELNS1_3repE0EEENS1_30default_config_static_selectorELNS0_4arch9wavefront6targetE1EEEvT1_
                                        ; -- End function
	.set _ZN7rocprim17ROCPRIM_400000_NS6detail17trampoline_kernelINS0_14default_configENS1_25transform_config_selectorImLb1EEEZNS1_14transform_implILb1ES3_S5_PmPlNS0_8identityIvEEEE10hipError_tT2_T3_mT4_P12ihipStream_tbEUlT_E_NS1_11comp_targetILNS1_3genE8ELNS1_11target_archE1030ELNS1_3gpuE2ELNS1_3repE0EEENS1_30default_config_static_selectorELNS0_4arch9wavefront6targetE1EEEvT1_.num_vgpr, 0
	.set _ZN7rocprim17ROCPRIM_400000_NS6detail17trampoline_kernelINS0_14default_configENS1_25transform_config_selectorImLb1EEEZNS1_14transform_implILb1ES3_S5_PmPlNS0_8identityIvEEEE10hipError_tT2_T3_mT4_P12ihipStream_tbEUlT_E_NS1_11comp_targetILNS1_3genE8ELNS1_11target_archE1030ELNS1_3gpuE2ELNS1_3repE0EEENS1_30default_config_static_selectorELNS0_4arch9wavefront6targetE1EEEvT1_.num_agpr, 0
	.set _ZN7rocprim17ROCPRIM_400000_NS6detail17trampoline_kernelINS0_14default_configENS1_25transform_config_selectorImLb1EEEZNS1_14transform_implILb1ES3_S5_PmPlNS0_8identityIvEEEE10hipError_tT2_T3_mT4_P12ihipStream_tbEUlT_E_NS1_11comp_targetILNS1_3genE8ELNS1_11target_archE1030ELNS1_3gpuE2ELNS1_3repE0EEENS1_30default_config_static_selectorELNS0_4arch9wavefront6targetE1EEEvT1_.numbered_sgpr, 0
	.set _ZN7rocprim17ROCPRIM_400000_NS6detail17trampoline_kernelINS0_14default_configENS1_25transform_config_selectorImLb1EEEZNS1_14transform_implILb1ES3_S5_PmPlNS0_8identityIvEEEE10hipError_tT2_T3_mT4_P12ihipStream_tbEUlT_E_NS1_11comp_targetILNS1_3genE8ELNS1_11target_archE1030ELNS1_3gpuE2ELNS1_3repE0EEENS1_30default_config_static_selectorELNS0_4arch9wavefront6targetE1EEEvT1_.num_named_barrier, 0
	.set _ZN7rocprim17ROCPRIM_400000_NS6detail17trampoline_kernelINS0_14default_configENS1_25transform_config_selectorImLb1EEEZNS1_14transform_implILb1ES3_S5_PmPlNS0_8identityIvEEEE10hipError_tT2_T3_mT4_P12ihipStream_tbEUlT_E_NS1_11comp_targetILNS1_3genE8ELNS1_11target_archE1030ELNS1_3gpuE2ELNS1_3repE0EEENS1_30default_config_static_selectorELNS0_4arch9wavefront6targetE1EEEvT1_.private_seg_size, 0
	.set _ZN7rocprim17ROCPRIM_400000_NS6detail17trampoline_kernelINS0_14default_configENS1_25transform_config_selectorImLb1EEEZNS1_14transform_implILb1ES3_S5_PmPlNS0_8identityIvEEEE10hipError_tT2_T3_mT4_P12ihipStream_tbEUlT_E_NS1_11comp_targetILNS1_3genE8ELNS1_11target_archE1030ELNS1_3gpuE2ELNS1_3repE0EEENS1_30default_config_static_selectorELNS0_4arch9wavefront6targetE1EEEvT1_.uses_vcc, 0
	.set _ZN7rocprim17ROCPRIM_400000_NS6detail17trampoline_kernelINS0_14default_configENS1_25transform_config_selectorImLb1EEEZNS1_14transform_implILb1ES3_S5_PmPlNS0_8identityIvEEEE10hipError_tT2_T3_mT4_P12ihipStream_tbEUlT_E_NS1_11comp_targetILNS1_3genE8ELNS1_11target_archE1030ELNS1_3gpuE2ELNS1_3repE0EEENS1_30default_config_static_selectorELNS0_4arch9wavefront6targetE1EEEvT1_.uses_flat_scratch, 0
	.set _ZN7rocprim17ROCPRIM_400000_NS6detail17trampoline_kernelINS0_14default_configENS1_25transform_config_selectorImLb1EEEZNS1_14transform_implILb1ES3_S5_PmPlNS0_8identityIvEEEE10hipError_tT2_T3_mT4_P12ihipStream_tbEUlT_E_NS1_11comp_targetILNS1_3genE8ELNS1_11target_archE1030ELNS1_3gpuE2ELNS1_3repE0EEENS1_30default_config_static_selectorELNS0_4arch9wavefront6targetE1EEEvT1_.has_dyn_sized_stack, 0
	.set _ZN7rocprim17ROCPRIM_400000_NS6detail17trampoline_kernelINS0_14default_configENS1_25transform_config_selectorImLb1EEEZNS1_14transform_implILb1ES3_S5_PmPlNS0_8identityIvEEEE10hipError_tT2_T3_mT4_P12ihipStream_tbEUlT_E_NS1_11comp_targetILNS1_3genE8ELNS1_11target_archE1030ELNS1_3gpuE2ELNS1_3repE0EEENS1_30default_config_static_selectorELNS0_4arch9wavefront6targetE1EEEvT1_.has_recursion, 0
	.set _ZN7rocprim17ROCPRIM_400000_NS6detail17trampoline_kernelINS0_14default_configENS1_25transform_config_selectorImLb1EEEZNS1_14transform_implILb1ES3_S5_PmPlNS0_8identityIvEEEE10hipError_tT2_T3_mT4_P12ihipStream_tbEUlT_E_NS1_11comp_targetILNS1_3genE8ELNS1_11target_archE1030ELNS1_3gpuE2ELNS1_3repE0EEENS1_30default_config_static_selectorELNS0_4arch9wavefront6targetE1EEEvT1_.has_indirect_call, 0
	.section	.AMDGPU.csdata,"",@progbits
; Kernel info:
; codeLenInByte = 0
; TotalNumSgprs: 4
; NumVgprs: 0
; ScratchSize: 0
; MemoryBound: 0
; FloatMode: 240
; IeeeMode: 1
; LDSByteSize: 0 bytes/workgroup (compile time only)
; SGPRBlocks: 0
; VGPRBlocks: 0
; NumSGPRsForWavesPerEU: 4
; NumVGPRsForWavesPerEU: 1
; Occupancy: 10
; WaveLimiterHint : 0
; COMPUTE_PGM_RSRC2:SCRATCH_EN: 0
; COMPUTE_PGM_RSRC2:USER_SGPR: 6
; COMPUTE_PGM_RSRC2:TRAP_HANDLER: 0
; COMPUTE_PGM_RSRC2:TGID_X_EN: 1
; COMPUTE_PGM_RSRC2:TGID_Y_EN: 0
; COMPUTE_PGM_RSRC2:TGID_Z_EN: 0
; COMPUTE_PGM_RSRC2:TIDIG_COMP_CNT: 0
	.section	.text._ZN7rocprim17ROCPRIM_400000_NS6detail31init_lookback_scan_state_kernelINS1_19lookback_scan_stateImLb1ELb1EEENS1_16block_id_wrapperIjLb1EEEEEvT_jT0_jPNS7_10value_typeE,"axG",@progbits,_ZN7rocprim17ROCPRIM_400000_NS6detail31init_lookback_scan_state_kernelINS1_19lookback_scan_stateImLb1ELb1EEENS1_16block_id_wrapperIjLb1EEEEEvT_jT0_jPNS7_10value_typeE,comdat
	.protected	_ZN7rocprim17ROCPRIM_400000_NS6detail31init_lookback_scan_state_kernelINS1_19lookback_scan_stateImLb1ELb1EEENS1_16block_id_wrapperIjLb1EEEEEvT_jT0_jPNS7_10value_typeE ; -- Begin function _ZN7rocprim17ROCPRIM_400000_NS6detail31init_lookback_scan_state_kernelINS1_19lookback_scan_stateImLb1ELb1EEENS1_16block_id_wrapperIjLb1EEEEEvT_jT0_jPNS7_10value_typeE
	.globl	_ZN7rocprim17ROCPRIM_400000_NS6detail31init_lookback_scan_state_kernelINS1_19lookback_scan_stateImLb1ELb1EEENS1_16block_id_wrapperIjLb1EEEEEvT_jT0_jPNS7_10value_typeE
	.p2align	8
	.type	_ZN7rocprim17ROCPRIM_400000_NS6detail31init_lookback_scan_state_kernelINS1_19lookback_scan_stateImLb1ELb1EEENS1_16block_id_wrapperIjLb1EEEEEvT_jT0_jPNS7_10value_typeE,@function
_ZN7rocprim17ROCPRIM_400000_NS6detail31init_lookback_scan_state_kernelINS1_19lookback_scan_stateImLb1ELb1EEENS1_16block_id_wrapperIjLb1EEEEEvT_jT0_jPNS7_10value_typeE: ; @_ZN7rocprim17ROCPRIM_400000_NS6detail31init_lookback_scan_state_kernelINS1_19lookback_scan_stateImLb1ELb1EEENS1_16block_id_wrapperIjLb1EEEEEvT_jT0_jPNS7_10value_typeE
; %bb.0:
	s_load_dword s7, s[4:5], 0x34
	s_load_dwordx2 s[2:3], s[4:5], 0x20
	s_load_dwordx2 s[0:1], s[4:5], 0x0
	s_load_dword s14, s[4:5], 0x8
	s_waitcnt lgkmcnt(0)
	s_and_b32 s7, s7, 0xffff
	s_mul_i32 s6, s6, s7
	s_cmp_eq_u64 s[2:3], 0
	v_add_u32_e32 v0, s6, v0
	s_cbranch_scc1 .LBB53_10
; %bb.1:
	s_load_dword s8, s[4:5], 0x18
	s_mov_b32 s9, 0
	s_waitcnt lgkmcnt(0)
	s_cmp_lt_u32 s8, s14
	s_cselect_b32 s6, s8, 0
	v_cmp_eq_u32_e32 vcc, s6, v0
	s_and_saveexec_b64 s[6:7], vcc
	s_cbranch_execz .LBB53_9
; %bb.2:
	s_add_i32 s8, s8, 64
	s_lshl_b64 s[8:9], s[8:9], 4
	s_add_u32 s12, s0, s8
	s_addc_u32 s13, s1, s9
	v_mov_b32_e32 v1, s12
	v_mov_b32_e32 v2, s13
	;;#ASMSTART
	global_load_dwordx4 v[1:4], v[1:2] off glc	
s_waitcnt vmcnt(0)
	;;#ASMEND
	v_and_b32_e32 v4, 0xff, v3
	v_mov_b32_e32 v5, 0
	v_cmp_eq_u64_e32 vcc, 0, v[4:5]
	s_mov_b64 s[10:11], 0
	s_and_saveexec_b64 s[8:9], vcc
	s_cbranch_execz .LBB53_8
; %bb.3:
	v_mov_b32_e32 v6, s12
	s_mov_b32 s15, 1
	v_mov_b32_e32 v7, s13
.LBB53_4:                               ; =>This Loop Header: Depth=1
                                        ;     Child Loop BB53_5 Depth 2
	s_mov_b32 s12, s15
.LBB53_5:                               ;   Parent Loop BB53_4 Depth=1
                                        ; =>  This Inner Loop Header: Depth=2
	s_add_i32 s12, s12, -1
	s_cmp_eq_u32 s12, 0
	s_sleep 1
	s_cbranch_scc0 .LBB53_5
; %bb.6:                                ;   in Loop: Header=BB53_4 Depth=1
	s_cmp_lt_u32 s15, 32
	;;#ASMSTART
	global_load_dwordx4 v[1:4], v[6:7] off glc	
s_waitcnt vmcnt(0)
	;;#ASMEND
	s_cselect_b64 s[12:13], -1, 0
	v_and_b32_e32 v4, 0xff, v3
	s_cmp_lg_u64 s[12:13], 0
	v_cmp_ne_u64_e32 vcc, 0, v[4:5]
	s_addc_u32 s15, s15, 0
	s_or_b64 s[10:11], vcc, s[10:11]
	s_andn2_b64 exec, exec, s[10:11]
	s_cbranch_execnz .LBB53_4
; %bb.7:
	s_or_b64 exec, exec, s[10:11]
.LBB53_8:
	s_or_b64 exec, exec, s[8:9]
	v_mov_b32_e32 v3, 0
	global_store_dwordx2 v3, v[1:2], s[2:3]
.LBB53_9:
	s_or_b64 exec, exec, s[6:7]
.LBB53_10:
	v_cmp_eq_u32_e32 vcc, 0, v0
	s_and_saveexec_b64 s[2:3], vcc
	s_cbranch_execnz .LBB53_14
; %bb.11:
	s_or_b64 exec, exec, s[2:3]
	v_cmp_gt_u32_e32 vcc, s14, v0
	s_and_saveexec_b64 s[2:3], vcc
	s_cbranch_execnz .LBB53_15
.LBB53_12:
	s_or_b64 exec, exec, s[2:3]
	v_cmp_gt_u32_e32 vcc, 64, v0
	s_and_saveexec_b64 s[2:3], vcc
	s_cbranch_execnz .LBB53_16
.LBB53_13:
	s_endpgm
.LBB53_14:
	s_load_dwordx2 s[4:5], s[4:5], 0x10
	v_mov_b32_e32 v1, 0
	s_waitcnt lgkmcnt(0)
	global_store_dword v1, v1, s[4:5]
	s_or_b64 exec, exec, s[2:3]
	v_cmp_gt_u32_e32 vcc, s14, v0
	s_and_saveexec_b64 s[2:3], vcc
	s_cbranch_execz .LBB53_12
.LBB53_15:
	v_add_u32_e32 v1, 64, v0
	v_mov_b32_e32 v2, 0
	v_lshlrev_b64 v[3:4], 4, v[1:2]
	v_mov_b32_e32 v1, s1
	v_add_co_u32_e32 v5, vcc, s0, v3
	v_addc_co_u32_e32 v6, vcc, v1, v4, vcc
	v_mov_b32_e32 v1, v2
	v_mov_b32_e32 v3, v2
	;; [unrolled: 1-line block ×3, first 2 shown]
	global_store_dwordx4 v[5:6], v[1:4], off
	s_or_b64 exec, exec, s[2:3]
	v_cmp_gt_u32_e32 vcc, 64, v0
	s_and_saveexec_b64 s[2:3], vcc
	s_cbranch_execz .LBB53_13
.LBB53_16:
	v_mov_b32_e32 v1, 0
	v_lshlrev_b64 v[2:3], 4, v[0:1]
	v_mov_b32_e32 v0, s1
	v_add_co_u32_e32 v4, vcc, s0, v2
	v_addc_co_u32_e32 v5, vcc, v0, v3, vcc
	v_mov_b32_e32 v2, 0xff
	v_mov_b32_e32 v0, v1
	;; [unrolled: 1-line block ×3, first 2 shown]
	global_store_dwordx4 v[4:5], v[0:3], off
	s_endpgm
	.section	.rodata,"a",@progbits
	.p2align	6, 0x0
	.amdhsa_kernel _ZN7rocprim17ROCPRIM_400000_NS6detail31init_lookback_scan_state_kernelINS1_19lookback_scan_stateImLb1ELb1EEENS1_16block_id_wrapperIjLb1EEEEEvT_jT0_jPNS7_10value_typeE
		.amdhsa_group_segment_fixed_size 0
		.amdhsa_private_segment_fixed_size 0
		.amdhsa_kernarg_size 296
		.amdhsa_user_sgpr_count 6
		.amdhsa_user_sgpr_private_segment_buffer 1
		.amdhsa_user_sgpr_dispatch_ptr 0
		.amdhsa_user_sgpr_queue_ptr 0
		.amdhsa_user_sgpr_kernarg_segment_ptr 1
		.amdhsa_user_sgpr_dispatch_id 0
		.amdhsa_user_sgpr_flat_scratch_init 0
		.amdhsa_user_sgpr_private_segment_size 0
		.amdhsa_uses_dynamic_stack 0
		.amdhsa_system_sgpr_private_segment_wavefront_offset 0
		.amdhsa_system_sgpr_workgroup_id_x 1
		.amdhsa_system_sgpr_workgroup_id_y 0
		.amdhsa_system_sgpr_workgroup_id_z 0
		.amdhsa_system_sgpr_workgroup_info 0
		.amdhsa_system_vgpr_workitem_id 0
		.amdhsa_next_free_vgpr 8
		.amdhsa_next_free_sgpr 16
		.amdhsa_reserve_vcc 1
		.amdhsa_reserve_flat_scratch 0
		.amdhsa_float_round_mode_32 0
		.amdhsa_float_round_mode_16_64 0
		.amdhsa_float_denorm_mode_32 3
		.amdhsa_float_denorm_mode_16_64 3
		.amdhsa_dx10_clamp 1
		.amdhsa_ieee_mode 1
		.amdhsa_fp16_overflow 0
		.amdhsa_exception_fp_ieee_invalid_op 0
		.amdhsa_exception_fp_denorm_src 0
		.amdhsa_exception_fp_ieee_div_zero 0
		.amdhsa_exception_fp_ieee_overflow 0
		.amdhsa_exception_fp_ieee_underflow 0
		.amdhsa_exception_fp_ieee_inexact 0
		.amdhsa_exception_int_div_zero 0
	.end_amdhsa_kernel
	.section	.text._ZN7rocprim17ROCPRIM_400000_NS6detail31init_lookback_scan_state_kernelINS1_19lookback_scan_stateImLb1ELb1EEENS1_16block_id_wrapperIjLb1EEEEEvT_jT0_jPNS7_10value_typeE,"axG",@progbits,_ZN7rocprim17ROCPRIM_400000_NS6detail31init_lookback_scan_state_kernelINS1_19lookback_scan_stateImLb1ELb1EEENS1_16block_id_wrapperIjLb1EEEEEvT_jT0_jPNS7_10value_typeE,comdat
.Lfunc_end53:
	.size	_ZN7rocprim17ROCPRIM_400000_NS6detail31init_lookback_scan_state_kernelINS1_19lookback_scan_stateImLb1ELb1EEENS1_16block_id_wrapperIjLb1EEEEEvT_jT0_jPNS7_10value_typeE, .Lfunc_end53-_ZN7rocprim17ROCPRIM_400000_NS6detail31init_lookback_scan_state_kernelINS1_19lookback_scan_stateImLb1ELb1EEENS1_16block_id_wrapperIjLb1EEEEEvT_jT0_jPNS7_10value_typeE
                                        ; -- End function
	.set _ZN7rocprim17ROCPRIM_400000_NS6detail31init_lookback_scan_state_kernelINS1_19lookback_scan_stateImLb1ELb1EEENS1_16block_id_wrapperIjLb1EEEEEvT_jT0_jPNS7_10value_typeE.num_vgpr, 8
	.set _ZN7rocprim17ROCPRIM_400000_NS6detail31init_lookback_scan_state_kernelINS1_19lookback_scan_stateImLb1ELb1EEENS1_16block_id_wrapperIjLb1EEEEEvT_jT0_jPNS7_10value_typeE.num_agpr, 0
	.set _ZN7rocprim17ROCPRIM_400000_NS6detail31init_lookback_scan_state_kernelINS1_19lookback_scan_stateImLb1ELb1EEENS1_16block_id_wrapperIjLb1EEEEEvT_jT0_jPNS7_10value_typeE.numbered_sgpr, 16
	.set _ZN7rocprim17ROCPRIM_400000_NS6detail31init_lookback_scan_state_kernelINS1_19lookback_scan_stateImLb1ELb1EEENS1_16block_id_wrapperIjLb1EEEEEvT_jT0_jPNS7_10value_typeE.num_named_barrier, 0
	.set _ZN7rocprim17ROCPRIM_400000_NS6detail31init_lookback_scan_state_kernelINS1_19lookback_scan_stateImLb1ELb1EEENS1_16block_id_wrapperIjLb1EEEEEvT_jT0_jPNS7_10value_typeE.private_seg_size, 0
	.set _ZN7rocprim17ROCPRIM_400000_NS6detail31init_lookback_scan_state_kernelINS1_19lookback_scan_stateImLb1ELb1EEENS1_16block_id_wrapperIjLb1EEEEEvT_jT0_jPNS7_10value_typeE.uses_vcc, 1
	.set _ZN7rocprim17ROCPRIM_400000_NS6detail31init_lookback_scan_state_kernelINS1_19lookback_scan_stateImLb1ELb1EEENS1_16block_id_wrapperIjLb1EEEEEvT_jT0_jPNS7_10value_typeE.uses_flat_scratch, 0
	.set _ZN7rocprim17ROCPRIM_400000_NS6detail31init_lookback_scan_state_kernelINS1_19lookback_scan_stateImLb1ELb1EEENS1_16block_id_wrapperIjLb1EEEEEvT_jT0_jPNS7_10value_typeE.has_dyn_sized_stack, 0
	.set _ZN7rocprim17ROCPRIM_400000_NS6detail31init_lookback_scan_state_kernelINS1_19lookback_scan_stateImLb1ELb1EEENS1_16block_id_wrapperIjLb1EEEEEvT_jT0_jPNS7_10value_typeE.has_recursion, 0
	.set _ZN7rocprim17ROCPRIM_400000_NS6detail31init_lookback_scan_state_kernelINS1_19lookback_scan_stateImLb1ELb1EEENS1_16block_id_wrapperIjLb1EEEEEvT_jT0_jPNS7_10value_typeE.has_indirect_call, 0
	.section	.AMDGPU.csdata,"",@progbits
; Kernel info:
; codeLenInByte = 480
; TotalNumSgprs: 20
; NumVgprs: 8
; ScratchSize: 0
; MemoryBound: 0
; FloatMode: 240
; IeeeMode: 1
; LDSByteSize: 0 bytes/workgroup (compile time only)
; SGPRBlocks: 2
; VGPRBlocks: 1
; NumSGPRsForWavesPerEU: 20
; NumVGPRsForWavesPerEU: 8
; Occupancy: 10
; WaveLimiterHint : 0
; COMPUTE_PGM_RSRC2:SCRATCH_EN: 0
; COMPUTE_PGM_RSRC2:USER_SGPR: 6
; COMPUTE_PGM_RSRC2:TRAP_HANDLER: 0
; COMPUTE_PGM_RSRC2:TGID_X_EN: 1
; COMPUTE_PGM_RSRC2:TGID_Y_EN: 0
; COMPUTE_PGM_RSRC2:TGID_Z_EN: 0
; COMPUTE_PGM_RSRC2:TIDIG_COMP_CNT: 0
	.section	.text._ZN7rocprim17ROCPRIM_400000_NS6detail17trampoline_kernelINS0_14default_configENS1_25partition_config_selectorILNS1_17partition_subalgoE5ElNS0_10empty_typeEbEEZZNS1_14partition_implILS5_5ELb0ES3_mN6hipcub16HIPCUB_304000_NS21CountingInputIteratorIllEEPS6_NSA_22TransformInputIteratorIb7NonZeroIaEPalEENS0_5tupleIJPlS6_EEENSJ_IJSD_SD_EEES6_SK_JS6_EEE10hipError_tPvRmT3_T4_T5_T6_T7_T9_mT8_P12ihipStream_tbDpT10_ENKUlT_T0_E_clISt17integral_constantIbLb1EES16_EEDaS11_S12_EUlS11_E_NS1_11comp_targetILNS1_3genE0ELNS1_11target_archE4294967295ELNS1_3gpuE0ELNS1_3repE0EEENS1_30default_config_static_selectorELNS0_4arch9wavefront6targetE1EEEvT1_,"axG",@progbits,_ZN7rocprim17ROCPRIM_400000_NS6detail17trampoline_kernelINS0_14default_configENS1_25partition_config_selectorILNS1_17partition_subalgoE5ElNS0_10empty_typeEbEEZZNS1_14partition_implILS5_5ELb0ES3_mN6hipcub16HIPCUB_304000_NS21CountingInputIteratorIllEEPS6_NSA_22TransformInputIteratorIb7NonZeroIaEPalEENS0_5tupleIJPlS6_EEENSJ_IJSD_SD_EEES6_SK_JS6_EEE10hipError_tPvRmT3_T4_T5_T6_T7_T9_mT8_P12ihipStream_tbDpT10_ENKUlT_T0_E_clISt17integral_constantIbLb1EES16_EEDaS11_S12_EUlS11_E_NS1_11comp_targetILNS1_3genE0ELNS1_11target_archE4294967295ELNS1_3gpuE0ELNS1_3repE0EEENS1_30default_config_static_selectorELNS0_4arch9wavefront6targetE1EEEvT1_,comdat
	.protected	_ZN7rocprim17ROCPRIM_400000_NS6detail17trampoline_kernelINS0_14default_configENS1_25partition_config_selectorILNS1_17partition_subalgoE5ElNS0_10empty_typeEbEEZZNS1_14partition_implILS5_5ELb0ES3_mN6hipcub16HIPCUB_304000_NS21CountingInputIteratorIllEEPS6_NSA_22TransformInputIteratorIb7NonZeroIaEPalEENS0_5tupleIJPlS6_EEENSJ_IJSD_SD_EEES6_SK_JS6_EEE10hipError_tPvRmT3_T4_T5_T6_T7_T9_mT8_P12ihipStream_tbDpT10_ENKUlT_T0_E_clISt17integral_constantIbLb1EES16_EEDaS11_S12_EUlS11_E_NS1_11comp_targetILNS1_3genE0ELNS1_11target_archE4294967295ELNS1_3gpuE0ELNS1_3repE0EEENS1_30default_config_static_selectorELNS0_4arch9wavefront6targetE1EEEvT1_ ; -- Begin function _ZN7rocprim17ROCPRIM_400000_NS6detail17trampoline_kernelINS0_14default_configENS1_25partition_config_selectorILNS1_17partition_subalgoE5ElNS0_10empty_typeEbEEZZNS1_14partition_implILS5_5ELb0ES3_mN6hipcub16HIPCUB_304000_NS21CountingInputIteratorIllEEPS6_NSA_22TransformInputIteratorIb7NonZeroIaEPalEENS0_5tupleIJPlS6_EEENSJ_IJSD_SD_EEES6_SK_JS6_EEE10hipError_tPvRmT3_T4_T5_T6_T7_T9_mT8_P12ihipStream_tbDpT10_ENKUlT_T0_E_clISt17integral_constantIbLb1EES16_EEDaS11_S12_EUlS11_E_NS1_11comp_targetILNS1_3genE0ELNS1_11target_archE4294967295ELNS1_3gpuE0ELNS1_3repE0EEENS1_30default_config_static_selectorELNS0_4arch9wavefront6targetE1EEEvT1_
	.globl	_ZN7rocprim17ROCPRIM_400000_NS6detail17trampoline_kernelINS0_14default_configENS1_25partition_config_selectorILNS1_17partition_subalgoE5ElNS0_10empty_typeEbEEZZNS1_14partition_implILS5_5ELb0ES3_mN6hipcub16HIPCUB_304000_NS21CountingInputIteratorIllEEPS6_NSA_22TransformInputIteratorIb7NonZeroIaEPalEENS0_5tupleIJPlS6_EEENSJ_IJSD_SD_EEES6_SK_JS6_EEE10hipError_tPvRmT3_T4_T5_T6_T7_T9_mT8_P12ihipStream_tbDpT10_ENKUlT_T0_E_clISt17integral_constantIbLb1EES16_EEDaS11_S12_EUlS11_E_NS1_11comp_targetILNS1_3genE0ELNS1_11target_archE4294967295ELNS1_3gpuE0ELNS1_3repE0EEENS1_30default_config_static_selectorELNS0_4arch9wavefront6targetE1EEEvT1_
	.p2align	8
	.type	_ZN7rocprim17ROCPRIM_400000_NS6detail17trampoline_kernelINS0_14default_configENS1_25partition_config_selectorILNS1_17partition_subalgoE5ElNS0_10empty_typeEbEEZZNS1_14partition_implILS5_5ELb0ES3_mN6hipcub16HIPCUB_304000_NS21CountingInputIteratorIllEEPS6_NSA_22TransformInputIteratorIb7NonZeroIaEPalEENS0_5tupleIJPlS6_EEENSJ_IJSD_SD_EEES6_SK_JS6_EEE10hipError_tPvRmT3_T4_T5_T6_T7_T9_mT8_P12ihipStream_tbDpT10_ENKUlT_T0_E_clISt17integral_constantIbLb1EES16_EEDaS11_S12_EUlS11_E_NS1_11comp_targetILNS1_3genE0ELNS1_11target_archE4294967295ELNS1_3gpuE0ELNS1_3repE0EEENS1_30default_config_static_selectorELNS0_4arch9wavefront6targetE1EEEvT1_,@function
_ZN7rocprim17ROCPRIM_400000_NS6detail17trampoline_kernelINS0_14default_configENS1_25partition_config_selectorILNS1_17partition_subalgoE5ElNS0_10empty_typeEbEEZZNS1_14partition_implILS5_5ELb0ES3_mN6hipcub16HIPCUB_304000_NS21CountingInputIteratorIllEEPS6_NSA_22TransformInputIteratorIb7NonZeroIaEPalEENS0_5tupleIJPlS6_EEENSJ_IJSD_SD_EEES6_SK_JS6_EEE10hipError_tPvRmT3_T4_T5_T6_T7_T9_mT8_P12ihipStream_tbDpT10_ENKUlT_T0_E_clISt17integral_constantIbLb1EES16_EEDaS11_S12_EUlS11_E_NS1_11comp_targetILNS1_3genE0ELNS1_11target_archE4294967295ELNS1_3gpuE0ELNS1_3repE0EEENS1_30default_config_static_selectorELNS0_4arch9wavefront6targetE1EEEvT1_: ; @_ZN7rocprim17ROCPRIM_400000_NS6detail17trampoline_kernelINS0_14default_configENS1_25partition_config_selectorILNS1_17partition_subalgoE5ElNS0_10empty_typeEbEEZZNS1_14partition_implILS5_5ELb0ES3_mN6hipcub16HIPCUB_304000_NS21CountingInputIteratorIllEEPS6_NSA_22TransformInputIteratorIb7NonZeroIaEPalEENS0_5tupleIJPlS6_EEENSJ_IJSD_SD_EEES6_SK_JS6_EEE10hipError_tPvRmT3_T4_T5_T6_T7_T9_mT8_P12ihipStream_tbDpT10_ENKUlT_T0_E_clISt17integral_constantIbLb1EES16_EEDaS11_S12_EUlS11_E_NS1_11comp_targetILNS1_3genE0ELNS1_11target_archE4294967295ELNS1_3gpuE0ELNS1_3repE0EEENS1_30default_config_static_selectorELNS0_4arch9wavefront6targetE1EEEvT1_
; %bb.0:
	.section	.rodata,"a",@progbits
	.p2align	6, 0x0
	.amdhsa_kernel _ZN7rocprim17ROCPRIM_400000_NS6detail17trampoline_kernelINS0_14default_configENS1_25partition_config_selectorILNS1_17partition_subalgoE5ElNS0_10empty_typeEbEEZZNS1_14partition_implILS5_5ELb0ES3_mN6hipcub16HIPCUB_304000_NS21CountingInputIteratorIllEEPS6_NSA_22TransformInputIteratorIb7NonZeroIaEPalEENS0_5tupleIJPlS6_EEENSJ_IJSD_SD_EEES6_SK_JS6_EEE10hipError_tPvRmT3_T4_T5_T6_T7_T9_mT8_P12ihipStream_tbDpT10_ENKUlT_T0_E_clISt17integral_constantIbLb1EES16_EEDaS11_S12_EUlS11_E_NS1_11comp_targetILNS1_3genE0ELNS1_11target_archE4294967295ELNS1_3gpuE0ELNS1_3repE0EEENS1_30default_config_static_selectorELNS0_4arch9wavefront6targetE1EEEvT1_
		.amdhsa_group_segment_fixed_size 0
		.amdhsa_private_segment_fixed_size 0
		.amdhsa_kernarg_size 136
		.amdhsa_user_sgpr_count 6
		.amdhsa_user_sgpr_private_segment_buffer 1
		.amdhsa_user_sgpr_dispatch_ptr 0
		.amdhsa_user_sgpr_queue_ptr 0
		.amdhsa_user_sgpr_kernarg_segment_ptr 1
		.amdhsa_user_sgpr_dispatch_id 0
		.amdhsa_user_sgpr_flat_scratch_init 0
		.amdhsa_user_sgpr_private_segment_size 0
		.amdhsa_uses_dynamic_stack 0
		.amdhsa_system_sgpr_private_segment_wavefront_offset 0
		.amdhsa_system_sgpr_workgroup_id_x 1
		.amdhsa_system_sgpr_workgroup_id_y 0
		.amdhsa_system_sgpr_workgroup_id_z 0
		.amdhsa_system_sgpr_workgroup_info 0
		.amdhsa_system_vgpr_workitem_id 0
		.amdhsa_next_free_vgpr 1
		.amdhsa_next_free_sgpr 0
		.amdhsa_reserve_vcc 0
		.amdhsa_reserve_flat_scratch 0
		.amdhsa_float_round_mode_32 0
		.amdhsa_float_round_mode_16_64 0
		.amdhsa_float_denorm_mode_32 3
		.amdhsa_float_denorm_mode_16_64 3
		.amdhsa_dx10_clamp 1
		.amdhsa_ieee_mode 1
		.amdhsa_fp16_overflow 0
		.amdhsa_exception_fp_ieee_invalid_op 0
		.amdhsa_exception_fp_denorm_src 0
		.amdhsa_exception_fp_ieee_div_zero 0
		.amdhsa_exception_fp_ieee_overflow 0
		.amdhsa_exception_fp_ieee_underflow 0
		.amdhsa_exception_fp_ieee_inexact 0
		.amdhsa_exception_int_div_zero 0
	.end_amdhsa_kernel
	.section	.text._ZN7rocprim17ROCPRIM_400000_NS6detail17trampoline_kernelINS0_14default_configENS1_25partition_config_selectorILNS1_17partition_subalgoE5ElNS0_10empty_typeEbEEZZNS1_14partition_implILS5_5ELb0ES3_mN6hipcub16HIPCUB_304000_NS21CountingInputIteratorIllEEPS6_NSA_22TransformInputIteratorIb7NonZeroIaEPalEENS0_5tupleIJPlS6_EEENSJ_IJSD_SD_EEES6_SK_JS6_EEE10hipError_tPvRmT3_T4_T5_T6_T7_T9_mT8_P12ihipStream_tbDpT10_ENKUlT_T0_E_clISt17integral_constantIbLb1EES16_EEDaS11_S12_EUlS11_E_NS1_11comp_targetILNS1_3genE0ELNS1_11target_archE4294967295ELNS1_3gpuE0ELNS1_3repE0EEENS1_30default_config_static_selectorELNS0_4arch9wavefront6targetE1EEEvT1_,"axG",@progbits,_ZN7rocprim17ROCPRIM_400000_NS6detail17trampoline_kernelINS0_14default_configENS1_25partition_config_selectorILNS1_17partition_subalgoE5ElNS0_10empty_typeEbEEZZNS1_14partition_implILS5_5ELb0ES3_mN6hipcub16HIPCUB_304000_NS21CountingInputIteratorIllEEPS6_NSA_22TransformInputIteratorIb7NonZeroIaEPalEENS0_5tupleIJPlS6_EEENSJ_IJSD_SD_EEES6_SK_JS6_EEE10hipError_tPvRmT3_T4_T5_T6_T7_T9_mT8_P12ihipStream_tbDpT10_ENKUlT_T0_E_clISt17integral_constantIbLb1EES16_EEDaS11_S12_EUlS11_E_NS1_11comp_targetILNS1_3genE0ELNS1_11target_archE4294967295ELNS1_3gpuE0ELNS1_3repE0EEENS1_30default_config_static_selectorELNS0_4arch9wavefront6targetE1EEEvT1_,comdat
.Lfunc_end54:
	.size	_ZN7rocprim17ROCPRIM_400000_NS6detail17trampoline_kernelINS0_14default_configENS1_25partition_config_selectorILNS1_17partition_subalgoE5ElNS0_10empty_typeEbEEZZNS1_14partition_implILS5_5ELb0ES3_mN6hipcub16HIPCUB_304000_NS21CountingInputIteratorIllEEPS6_NSA_22TransformInputIteratorIb7NonZeroIaEPalEENS0_5tupleIJPlS6_EEENSJ_IJSD_SD_EEES6_SK_JS6_EEE10hipError_tPvRmT3_T4_T5_T6_T7_T9_mT8_P12ihipStream_tbDpT10_ENKUlT_T0_E_clISt17integral_constantIbLb1EES16_EEDaS11_S12_EUlS11_E_NS1_11comp_targetILNS1_3genE0ELNS1_11target_archE4294967295ELNS1_3gpuE0ELNS1_3repE0EEENS1_30default_config_static_selectorELNS0_4arch9wavefront6targetE1EEEvT1_, .Lfunc_end54-_ZN7rocprim17ROCPRIM_400000_NS6detail17trampoline_kernelINS0_14default_configENS1_25partition_config_selectorILNS1_17partition_subalgoE5ElNS0_10empty_typeEbEEZZNS1_14partition_implILS5_5ELb0ES3_mN6hipcub16HIPCUB_304000_NS21CountingInputIteratorIllEEPS6_NSA_22TransformInputIteratorIb7NonZeroIaEPalEENS0_5tupleIJPlS6_EEENSJ_IJSD_SD_EEES6_SK_JS6_EEE10hipError_tPvRmT3_T4_T5_T6_T7_T9_mT8_P12ihipStream_tbDpT10_ENKUlT_T0_E_clISt17integral_constantIbLb1EES16_EEDaS11_S12_EUlS11_E_NS1_11comp_targetILNS1_3genE0ELNS1_11target_archE4294967295ELNS1_3gpuE0ELNS1_3repE0EEENS1_30default_config_static_selectorELNS0_4arch9wavefront6targetE1EEEvT1_
                                        ; -- End function
	.set _ZN7rocprim17ROCPRIM_400000_NS6detail17trampoline_kernelINS0_14default_configENS1_25partition_config_selectorILNS1_17partition_subalgoE5ElNS0_10empty_typeEbEEZZNS1_14partition_implILS5_5ELb0ES3_mN6hipcub16HIPCUB_304000_NS21CountingInputIteratorIllEEPS6_NSA_22TransformInputIteratorIb7NonZeroIaEPalEENS0_5tupleIJPlS6_EEENSJ_IJSD_SD_EEES6_SK_JS6_EEE10hipError_tPvRmT3_T4_T5_T6_T7_T9_mT8_P12ihipStream_tbDpT10_ENKUlT_T0_E_clISt17integral_constantIbLb1EES16_EEDaS11_S12_EUlS11_E_NS1_11comp_targetILNS1_3genE0ELNS1_11target_archE4294967295ELNS1_3gpuE0ELNS1_3repE0EEENS1_30default_config_static_selectorELNS0_4arch9wavefront6targetE1EEEvT1_.num_vgpr, 0
	.set _ZN7rocprim17ROCPRIM_400000_NS6detail17trampoline_kernelINS0_14default_configENS1_25partition_config_selectorILNS1_17partition_subalgoE5ElNS0_10empty_typeEbEEZZNS1_14partition_implILS5_5ELb0ES3_mN6hipcub16HIPCUB_304000_NS21CountingInputIteratorIllEEPS6_NSA_22TransformInputIteratorIb7NonZeroIaEPalEENS0_5tupleIJPlS6_EEENSJ_IJSD_SD_EEES6_SK_JS6_EEE10hipError_tPvRmT3_T4_T5_T6_T7_T9_mT8_P12ihipStream_tbDpT10_ENKUlT_T0_E_clISt17integral_constantIbLb1EES16_EEDaS11_S12_EUlS11_E_NS1_11comp_targetILNS1_3genE0ELNS1_11target_archE4294967295ELNS1_3gpuE0ELNS1_3repE0EEENS1_30default_config_static_selectorELNS0_4arch9wavefront6targetE1EEEvT1_.num_agpr, 0
	.set _ZN7rocprim17ROCPRIM_400000_NS6detail17trampoline_kernelINS0_14default_configENS1_25partition_config_selectorILNS1_17partition_subalgoE5ElNS0_10empty_typeEbEEZZNS1_14partition_implILS5_5ELb0ES3_mN6hipcub16HIPCUB_304000_NS21CountingInputIteratorIllEEPS6_NSA_22TransformInputIteratorIb7NonZeroIaEPalEENS0_5tupleIJPlS6_EEENSJ_IJSD_SD_EEES6_SK_JS6_EEE10hipError_tPvRmT3_T4_T5_T6_T7_T9_mT8_P12ihipStream_tbDpT10_ENKUlT_T0_E_clISt17integral_constantIbLb1EES16_EEDaS11_S12_EUlS11_E_NS1_11comp_targetILNS1_3genE0ELNS1_11target_archE4294967295ELNS1_3gpuE0ELNS1_3repE0EEENS1_30default_config_static_selectorELNS0_4arch9wavefront6targetE1EEEvT1_.numbered_sgpr, 0
	.set _ZN7rocprim17ROCPRIM_400000_NS6detail17trampoline_kernelINS0_14default_configENS1_25partition_config_selectorILNS1_17partition_subalgoE5ElNS0_10empty_typeEbEEZZNS1_14partition_implILS5_5ELb0ES3_mN6hipcub16HIPCUB_304000_NS21CountingInputIteratorIllEEPS6_NSA_22TransformInputIteratorIb7NonZeroIaEPalEENS0_5tupleIJPlS6_EEENSJ_IJSD_SD_EEES6_SK_JS6_EEE10hipError_tPvRmT3_T4_T5_T6_T7_T9_mT8_P12ihipStream_tbDpT10_ENKUlT_T0_E_clISt17integral_constantIbLb1EES16_EEDaS11_S12_EUlS11_E_NS1_11comp_targetILNS1_3genE0ELNS1_11target_archE4294967295ELNS1_3gpuE0ELNS1_3repE0EEENS1_30default_config_static_selectorELNS0_4arch9wavefront6targetE1EEEvT1_.num_named_barrier, 0
	.set _ZN7rocprim17ROCPRIM_400000_NS6detail17trampoline_kernelINS0_14default_configENS1_25partition_config_selectorILNS1_17partition_subalgoE5ElNS0_10empty_typeEbEEZZNS1_14partition_implILS5_5ELb0ES3_mN6hipcub16HIPCUB_304000_NS21CountingInputIteratorIllEEPS6_NSA_22TransformInputIteratorIb7NonZeroIaEPalEENS0_5tupleIJPlS6_EEENSJ_IJSD_SD_EEES6_SK_JS6_EEE10hipError_tPvRmT3_T4_T5_T6_T7_T9_mT8_P12ihipStream_tbDpT10_ENKUlT_T0_E_clISt17integral_constantIbLb1EES16_EEDaS11_S12_EUlS11_E_NS1_11comp_targetILNS1_3genE0ELNS1_11target_archE4294967295ELNS1_3gpuE0ELNS1_3repE0EEENS1_30default_config_static_selectorELNS0_4arch9wavefront6targetE1EEEvT1_.private_seg_size, 0
	.set _ZN7rocprim17ROCPRIM_400000_NS6detail17trampoline_kernelINS0_14default_configENS1_25partition_config_selectorILNS1_17partition_subalgoE5ElNS0_10empty_typeEbEEZZNS1_14partition_implILS5_5ELb0ES3_mN6hipcub16HIPCUB_304000_NS21CountingInputIteratorIllEEPS6_NSA_22TransformInputIteratorIb7NonZeroIaEPalEENS0_5tupleIJPlS6_EEENSJ_IJSD_SD_EEES6_SK_JS6_EEE10hipError_tPvRmT3_T4_T5_T6_T7_T9_mT8_P12ihipStream_tbDpT10_ENKUlT_T0_E_clISt17integral_constantIbLb1EES16_EEDaS11_S12_EUlS11_E_NS1_11comp_targetILNS1_3genE0ELNS1_11target_archE4294967295ELNS1_3gpuE0ELNS1_3repE0EEENS1_30default_config_static_selectorELNS0_4arch9wavefront6targetE1EEEvT1_.uses_vcc, 0
	.set _ZN7rocprim17ROCPRIM_400000_NS6detail17trampoline_kernelINS0_14default_configENS1_25partition_config_selectorILNS1_17partition_subalgoE5ElNS0_10empty_typeEbEEZZNS1_14partition_implILS5_5ELb0ES3_mN6hipcub16HIPCUB_304000_NS21CountingInputIteratorIllEEPS6_NSA_22TransformInputIteratorIb7NonZeroIaEPalEENS0_5tupleIJPlS6_EEENSJ_IJSD_SD_EEES6_SK_JS6_EEE10hipError_tPvRmT3_T4_T5_T6_T7_T9_mT8_P12ihipStream_tbDpT10_ENKUlT_T0_E_clISt17integral_constantIbLb1EES16_EEDaS11_S12_EUlS11_E_NS1_11comp_targetILNS1_3genE0ELNS1_11target_archE4294967295ELNS1_3gpuE0ELNS1_3repE0EEENS1_30default_config_static_selectorELNS0_4arch9wavefront6targetE1EEEvT1_.uses_flat_scratch, 0
	.set _ZN7rocprim17ROCPRIM_400000_NS6detail17trampoline_kernelINS0_14default_configENS1_25partition_config_selectorILNS1_17partition_subalgoE5ElNS0_10empty_typeEbEEZZNS1_14partition_implILS5_5ELb0ES3_mN6hipcub16HIPCUB_304000_NS21CountingInputIteratorIllEEPS6_NSA_22TransformInputIteratorIb7NonZeroIaEPalEENS0_5tupleIJPlS6_EEENSJ_IJSD_SD_EEES6_SK_JS6_EEE10hipError_tPvRmT3_T4_T5_T6_T7_T9_mT8_P12ihipStream_tbDpT10_ENKUlT_T0_E_clISt17integral_constantIbLb1EES16_EEDaS11_S12_EUlS11_E_NS1_11comp_targetILNS1_3genE0ELNS1_11target_archE4294967295ELNS1_3gpuE0ELNS1_3repE0EEENS1_30default_config_static_selectorELNS0_4arch9wavefront6targetE1EEEvT1_.has_dyn_sized_stack, 0
	.set _ZN7rocprim17ROCPRIM_400000_NS6detail17trampoline_kernelINS0_14default_configENS1_25partition_config_selectorILNS1_17partition_subalgoE5ElNS0_10empty_typeEbEEZZNS1_14partition_implILS5_5ELb0ES3_mN6hipcub16HIPCUB_304000_NS21CountingInputIteratorIllEEPS6_NSA_22TransformInputIteratorIb7NonZeroIaEPalEENS0_5tupleIJPlS6_EEENSJ_IJSD_SD_EEES6_SK_JS6_EEE10hipError_tPvRmT3_T4_T5_T6_T7_T9_mT8_P12ihipStream_tbDpT10_ENKUlT_T0_E_clISt17integral_constantIbLb1EES16_EEDaS11_S12_EUlS11_E_NS1_11comp_targetILNS1_3genE0ELNS1_11target_archE4294967295ELNS1_3gpuE0ELNS1_3repE0EEENS1_30default_config_static_selectorELNS0_4arch9wavefront6targetE1EEEvT1_.has_recursion, 0
	.set _ZN7rocprim17ROCPRIM_400000_NS6detail17trampoline_kernelINS0_14default_configENS1_25partition_config_selectorILNS1_17partition_subalgoE5ElNS0_10empty_typeEbEEZZNS1_14partition_implILS5_5ELb0ES3_mN6hipcub16HIPCUB_304000_NS21CountingInputIteratorIllEEPS6_NSA_22TransformInputIteratorIb7NonZeroIaEPalEENS0_5tupleIJPlS6_EEENSJ_IJSD_SD_EEES6_SK_JS6_EEE10hipError_tPvRmT3_T4_T5_T6_T7_T9_mT8_P12ihipStream_tbDpT10_ENKUlT_T0_E_clISt17integral_constantIbLb1EES16_EEDaS11_S12_EUlS11_E_NS1_11comp_targetILNS1_3genE0ELNS1_11target_archE4294967295ELNS1_3gpuE0ELNS1_3repE0EEENS1_30default_config_static_selectorELNS0_4arch9wavefront6targetE1EEEvT1_.has_indirect_call, 0
	.section	.AMDGPU.csdata,"",@progbits
; Kernel info:
; codeLenInByte = 0
; TotalNumSgprs: 4
; NumVgprs: 0
; ScratchSize: 0
; MemoryBound: 0
; FloatMode: 240
; IeeeMode: 1
; LDSByteSize: 0 bytes/workgroup (compile time only)
; SGPRBlocks: 0
; VGPRBlocks: 0
; NumSGPRsForWavesPerEU: 4
; NumVGPRsForWavesPerEU: 1
; Occupancy: 10
; WaveLimiterHint : 0
; COMPUTE_PGM_RSRC2:SCRATCH_EN: 0
; COMPUTE_PGM_RSRC2:USER_SGPR: 6
; COMPUTE_PGM_RSRC2:TRAP_HANDLER: 0
; COMPUTE_PGM_RSRC2:TGID_X_EN: 1
; COMPUTE_PGM_RSRC2:TGID_Y_EN: 0
; COMPUTE_PGM_RSRC2:TGID_Z_EN: 0
; COMPUTE_PGM_RSRC2:TIDIG_COMP_CNT: 0
	.section	.text._ZN7rocprim17ROCPRIM_400000_NS6detail17trampoline_kernelINS0_14default_configENS1_25partition_config_selectorILNS1_17partition_subalgoE5ElNS0_10empty_typeEbEEZZNS1_14partition_implILS5_5ELb0ES3_mN6hipcub16HIPCUB_304000_NS21CountingInputIteratorIllEEPS6_NSA_22TransformInputIteratorIb7NonZeroIaEPalEENS0_5tupleIJPlS6_EEENSJ_IJSD_SD_EEES6_SK_JS6_EEE10hipError_tPvRmT3_T4_T5_T6_T7_T9_mT8_P12ihipStream_tbDpT10_ENKUlT_T0_E_clISt17integral_constantIbLb1EES16_EEDaS11_S12_EUlS11_E_NS1_11comp_targetILNS1_3genE5ELNS1_11target_archE942ELNS1_3gpuE9ELNS1_3repE0EEENS1_30default_config_static_selectorELNS0_4arch9wavefront6targetE1EEEvT1_,"axG",@progbits,_ZN7rocprim17ROCPRIM_400000_NS6detail17trampoline_kernelINS0_14default_configENS1_25partition_config_selectorILNS1_17partition_subalgoE5ElNS0_10empty_typeEbEEZZNS1_14partition_implILS5_5ELb0ES3_mN6hipcub16HIPCUB_304000_NS21CountingInputIteratorIllEEPS6_NSA_22TransformInputIteratorIb7NonZeroIaEPalEENS0_5tupleIJPlS6_EEENSJ_IJSD_SD_EEES6_SK_JS6_EEE10hipError_tPvRmT3_T4_T5_T6_T7_T9_mT8_P12ihipStream_tbDpT10_ENKUlT_T0_E_clISt17integral_constantIbLb1EES16_EEDaS11_S12_EUlS11_E_NS1_11comp_targetILNS1_3genE5ELNS1_11target_archE942ELNS1_3gpuE9ELNS1_3repE0EEENS1_30default_config_static_selectorELNS0_4arch9wavefront6targetE1EEEvT1_,comdat
	.protected	_ZN7rocprim17ROCPRIM_400000_NS6detail17trampoline_kernelINS0_14default_configENS1_25partition_config_selectorILNS1_17partition_subalgoE5ElNS0_10empty_typeEbEEZZNS1_14partition_implILS5_5ELb0ES3_mN6hipcub16HIPCUB_304000_NS21CountingInputIteratorIllEEPS6_NSA_22TransformInputIteratorIb7NonZeroIaEPalEENS0_5tupleIJPlS6_EEENSJ_IJSD_SD_EEES6_SK_JS6_EEE10hipError_tPvRmT3_T4_T5_T6_T7_T9_mT8_P12ihipStream_tbDpT10_ENKUlT_T0_E_clISt17integral_constantIbLb1EES16_EEDaS11_S12_EUlS11_E_NS1_11comp_targetILNS1_3genE5ELNS1_11target_archE942ELNS1_3gpuE9ELNS1_3repE0EEENS1_30default_config_static_selectorELNS0_4arch9wavefront6targetE1EEEvT1_ ; -- Begin function _ZN7rocprim17ROCPRIM_400000_NS6detail17trampoline_kernelINS0_14default_configENS1_25partition_config_selectorILNS1_17partition_subalgoE5ElNS0_10empty_typeEbEEZZNS1_14partition_implILS5_5ELb0ES3_mN6hipcub16HIPCUB_304000_NS21CountingInputIteratorIllEEPS6_NSA_22TransformInputIteratorIb7NonZeroIaEPalEENS0_5tupleIJPlS6_EEENSJ_IJSD_SD_EEES6_SK_JS6_EEE10hipError_tPvRmT3_T4_T5_T6_T7_T9_mT8_P12ihipStream_tbDpT10_ENKUlT_T0_E_clISt17integral_constantIbLb1EES16_EEDaS11_S12_EUlS11_E_NS1_11comp_targetILNS1_3genE5ELNS1_11target_archE942ELNS1_3gpuE9ELNS1_3repE0EEENS1_30default_config_static_selectorELNS0_4arch9wavefront6targetE1EEEvT1_
	.globl	_ZN7rocprim17ROCPRIM_400000_NS6detail17trampoline_kernelINS0_14default_configENS1_25partition_config_selectorILNS1_17partition_subalgoE5ElNS0_10empty_typeEbEEZZNS1_14partition_implILS5_5ELb0ES3_mN6hipcub16HIPCUB_304000_NS21CountingInputIteratorIllEEPS6_NSA_22TransformInputIteratorIb7NonZeroIaEPalEENS0_5tupleIJPlS6_EEENSJ_IJSD_SD_EEES6_SK_JS6_EEE10hipError_tPvRmT3_T4_T5_T6_T7_T9_mT8_P12ihipStream_tbDpT10_ENKUlT_T0_E_clISt17integral_constantIbLb1EES16_EEDaS11_S12_EUlS11_E_NS1_11comp_targetILNS1_3genE5ELNS1_11target_archE942ELNS1_3gpuE9ELNS1_3repE0EEENS1_30default_config_static_selectorELNS0_4arch9wavefront6targetE1EEEvT1_
	.p2align	8
	.type	_ZN7rocprim17ROCPRIM_400000_NS6detail17trampoline_kernelINS0_14default_configENS1_25partition_config_selectorILNS1_17partition_subalgoE5ElNS0_10empty_typeEbEEZZNS1_14partition_implILS5_5ELb0ES3_mN6hipcub16HIPCUB_304000_NS21CountingInputIteratorIllEEPS6_NSA_22TransformInputIteratorIb7NonZeroIaEPalEENS0_5tupleIJPlS6_EEENSJ_IJSD_SD_EEES6_SK_JS6_EEE10hipError_tPvRmT3_T4_T5_T6_T7_T9_mT8_P12ihipStream_tbDpT10_ENKUlT_T0_E_clISt17integral_constantIbLb1EES16_EEDaS11_S12_EUlS11_E_NS1_11comp_targetILNS1_3genE5ELNS1_11target_archE942ELNS1_3gpuE9ELNS1_3repE0EEENS1_30default_config_static_selectorELNS0_4arch9wavefront6targetE1EEEvT1_,@function
_ZN7rocprim17ROCPRIM_400000_NS6detail17trampoline_kernelINS0_14default_configENS1_25partition_config_selectorILNS1_17partition_subalgoE5ElNS0_10empty_typeEbEEZZNS1_14partition_implILS5_5ELb0ES3_mN6hipcub16HIPCUB_304000_NS21CountingInputIteratorIllEEPS6_NSA_22TransformInputIteratorIb7NonZeroIaEPalEENS0_5tupleIJPlS6_EEENSJ_IJSD_SD_EEES6_SK_JS6_EEE10hipError_tPvRmT3_T4_T5_T6_T7_T9_mT8_P12ihipStream_tbDpT10_ENKUlT_T0_E_clISt17integral_constantIbLb1EES16_EEDaS11_S12_EUlS11_E_NS1_11comp_targetILNS1_3genE5ELNS1_11target_archE942ELNS1_3gpuE9ELNS1_3repE0EEENS1_30default_config_static_selectorELNS0_4arch9wavefront6targetE1EEEvT1_: ; @_ZN7rocprim17ROCPRIM_400000_NS6detail17trampoline_kernelINS0_14default_configENS1_25partition_config_selectorILNS1_17partition_subalgoE5ElNS0_10empty_typeEbEEZZNS1_14partition_implILS5_5ELb0ES3_mN6hipcub16HIPCUB_304000_NS21CountingInputIteratorIllEEPS6_NSA_22TransformInputIteratorIb7NonZeroIaEPalEENS0_5tupleIJPlS6_EEENSJ_IJSD_SD_EEES6_SK_JS6_EEE10hipError_tPvRmT3_T4_T5_T6_T7_T9_mT8_P12ihipStream_tbDpT10_ENKUlT_T0_E_clISt17integral_constantIbLb1EES16_EEDaS11_S12_EUlS11_E_NS1_11comp_targetILNS1_3genE5ELNS1_11target_archE942ELNS1_3gpuE9ELNS1_3repE0EEENS1_30default_config_static_selectorELNS0_4arch9wavefront6targetE1EEEvT1_
; %bb.0:
	.section	.rodata,"a",@progbits
	.p2align	6, 0x0
	.amdhsa_kernel _ZN7rocprim17ROCPRIM_400000_NS6detail17trampoline_kernelINS0_14default_configENS1_25partition_config_selectorILNS1_17partition_subalgoE5ElNS0_10empty_typeEbEEZZNS1_14partition_implILS5_5ELb0ES3_mN6hipcub16HIPCUB_304000_NS21CountingInputIteratorIllEEPS6_NSA_22TransformInputIteratorIb7NonZeroIaEPalEENS0_5tupleIJPlS6_EEENSJ_IJSD_SD_EEES6_SK_JS6_EEE10hipError_tPvRmT3_T4_T5_T6_T7_T9_mT8_P12ihipStream_tbDpT10_ENKUlT_T0_E_clISt17integral_constantIbLb1EES16_EEDaS11_S12_EUlS11_E_NS1_11comp_targetILNS1_3genE5ELNS1_11target_archE942ELNS1_3gpuE9ELNS1_3repE0EEENS1_30default_config_static_selectorELNS0_4arch9wavefront6targetE1EEEvT1_
		.amdhsa_group_segment_fixed_size 0
		.amdhsa_private_segment_fixed_size 0
		.amdhsa_kernarg_size 136
		.amdhsa_user_sgpr_count 6
		.amdhsa_user_sgpr_private_segment_buffer 1
		.amdhsa_user_sgpr_dispatch_ptr 0
		.amdhsa_user_sgpr_queue_ptr 0
		.amdhsa_user_sgpr_kernarg_segment_ptr 1
		.amdhsa_user_sgpr_dispatch_id 0
		.amdhsa_user_sgpr_flat_scratch_init 0
		.amdhsa_user_sgpr_private_segment_size 0
		.amdhsa_uses_dynamic_stack 0
		.amdhsa_system_sgpr_private_segment_wavefront_offset 0
		.amdhsa_system_sgpr_workgroup_id_x 1
		.amdhsa_system_sgpr_workgroup_id_y 0
		.amdhsa_system_sgpr_workgroup_id_z 0
		.amdhsa_system_sgpr_workgroup_info 0
		.amdhsa_system_vgpr_workitem_id 0
		.amdhsa_next_free_vgpr 1
		.amdhsa_next_free_sgpr 0
		.amdhsa_reserve_vcc 0
		.amdhsa_reserve_flat_scratch 0
		.amdhsa_float_round_mode_32 0
		.amdhsa_float_round_mode_16_64 0
		.amdhsa_float_denorm_mode_32 3
		.amdhsa_float_denorm_mode_16_64 3
		.amdhsa_dx10_clamp 1
		.amdhsa_ieee_mode 1
		.amdhsa_fp16_overflow 0
		.amdhsa_exception_fp_ieee_invalid_op 0
		.amdhsa_exception_fp_denorm_src 0
		.amdhsa_exception_fp_ieee_div_zero 0
		.amdhsa_exception_fp_ieee_overflow 0
		.amdhsa_exception_fp_ieee_underflow 0
		.amdhsa_exception_fp_ieee_inexact 0
		.amdhsa_exception_int_div_zero 0
	.end_amdhsa_kernel
	.section	.text._ZN7rocprim17ROCPRIM_400000_NS6detail17trampoline_kernelINS0_14default_configENS1_25partition_config_selectorILNS1_17partition_subalgoE5ElNS0_10empty_typeEbEEZZNS1_14partition_implILS5_5ELb0ES3_mN6hipcub16HIPCUB_304000_NS21CountingInputIteratorIllEEPS6_NSA_22TransformInputIteratorIb7NonZeroIaEPalEENS0_5tupleIJPlS6_EEENSJ_IJSD_SD_EEES6_SK_JS6_EEE10hipError_tPvRmT3_T4_T5_T6_T7_T9_mT8_P12ihipStream_tbDpT10_ENKUlT_T0_E_clISt17integral_constantIbLb1EES16_EEDaS11_S12_EUlS11_E_NS1_11comp_targetILNS1_3genE5ELNS1_11target_archE942ELNS1_3gpuE9ELNS1_3repE0EEENS1_30default_config_static_selectorELNS0_4arch9wavefront6targetE1EEEvT1_,"axG",@progbits,_ZN7rocprim17ROCPRIM_400000_NS6detail17trampoline_kernelINS0_14default_configENS1_25partition_config_selectorILNS1_17partition_subalgoE5ElNS0_10empty_typeEbEEZZNS1_14partition_implILS5_5ELb0ES3_mN6hipcub16HIPCUB_304000_NS21CountingInputIteratorIllEEPS6_NSA_22TransformInputIteratorIb7NonZeroIaEPalEENS0_5tupleIJPlS6_EEENSJ_IJSD_SD_EEES6_SK_JS6_EEE10hipError_tPvRmT3_T4_T5_T6_T7_T9_mT8_P12ihipStream_tbDpT10_ENKUlT_T0_E_clISt17integral_constantIbLb1EES16_EEDaS11_S12_EUlS11_E_NS1_11comp_targetILNS1_3genE5ELNS1_11target_archE942ELNS1_3gpuE9ELNS1_3repE0EEENS1_30default_config_static_selectorELNS0_4arch9wavefront6targetE1EEEvT1_,comdat
.Lfunc_end55:
	.size	_ZN7rocprim17ROCPRIM_400000_NS6detail17trampoline_kernelINS0_14default_configENS1_25partition_config_selectorILNS1_17partition_subalgoE5ElNS0_10empty_typeEbEEZZNS1_14partition_implILS5_5ELb0ES3_mN6hipcub16HIPCUB_304000_NS21CountingInputIteratorIllEEPS6_NSA_22TransformInputIteratorIb7NonZeroIaEPalEENS0_5tupleIJPlS6_EEENSJ_IJSD_SD_EEES6_SK_JS6_EEE10hipError_tPvRmT3_T4_T5_T6_T7_T9_mT8_P12ihipStream_tbDpT10_ENKUlT_T0_E_clISt17integral_constantIbLb1EES16_EEDaS11_S12_EUlS11_E_NS1_11comp_targetILNS1_3genE5ELNS1_11target_archE942ELNS1_3gpuE9ELNS1_3repE0EEENS1_30default_config_static_selectorELNS0_4arch9wavefront6targetE1EEEvT1_, .Lfunc_end55-_ZN7rocprim17ROCPRIM_400000_NS6detail17trampoline_kernelINS0_14default_configENS1_25partition_config_selectorILNS1_17partition_subalgoE5ElNS0_10empty_typeEbEEZZNS1_14partition_implILS5_5ELb0ES3_mN6hipcub16HIPCUB_304000_NS21CountingInputIteratorIllEEPS6_NSA_22TransformInputIteratorIb7NonZeroIaEPalEENS0_5tupleIJPlS6_EEENSJ_IJSD_SD_EEES6_SK_JS6_EEE10hipError_tPvRmT3_T4_T5_T6_T7_T9_mT8_P12ihipStream_tbDpT10_ENKUlT_T0_E_clISt17integral_constantIbLb1EES16_EEDaS11_S12_EUlS11_E_NS1_11comp_targetILNS1_3genE5ELNS1_11target_archE942ELNS1_3gpuE9ELNS1_3repE0EEENS1_30default_config_static_selectorELNS0_4arch9wavefront6targetE1EEEvT1_
                                        ; -- End function
	.set _ZN7rocprim17ROCPRIM_400000_NS6detail17trampoline_kernelINS0_14default_configENS1_25partition_config_selectorILNS1_17partition_subalgoE5ElNS0_10empty_typeEbEEZZNS1_14partition_implILS5_5ELb0ES3_mN6hipcub16HIPCUB_304000_NS21CountingInputIteratorIllEEPS6_NSA_22TransformInputIteratorIb7NonZeroIaEPalEENS0_5tupleIJPlS6_EEENSJ_IJSD_SD_EEES6_SK_JS6_EEE10hipError_tPvRmT3_T4_T5_T6_T7_T9_mT8_P12ihipStream_tbDpT10_ENKUlT_T0_E_clISt17integral_constantIbLb1EES16_EEDaS11_S12_EUlS11_E_NS1_11comp_targetILNS1_3genE5ELNS1_11target_archE942ELNS1_3gpuE9ELNS1_3repE0EEENS1_30default_config_static_selectorELNS0_4arch9wavefront6targetE1EEEvT1_.num_vgpr, 0
	.set _ZN7rocprim17ROCPRIM_400000_NS6detail17trampoline_kernelINS0_14default_configENS1_25partition_config_selectorILNS1_17partition_subalgoE5ElNS0_10empty_typeEbEEZZNS1_14partition_implILS5_5ELb0ES3_mN6hipcub16HIPCUB_304000_NS21CountingInputIteratorIllEEPS6_NSA_22TransformInputIteratorIb7NonZeroIaEPalEENS0_5tupleIJPlS6_EEENSJ_IJSD_SD_EEES6_SK_JS6_EEE10hipError_tPvRmT3_T4_T5_T6_T7_T9_mT8_P12ihipStream_tbDpT10_ENKUlT_T0_E_clISt17integral_constantIbLb1EES16_EEDaS11_S12_EUlS11_E_NS1_11comp_targetILNS1_3genE5ELNS1_11target_archE942ELNS1_3gpuE9ELNS1_3repE0EEENS1_30default_config_static_selectorELNS0_4arch9wavefront6targetE1EEEvT1_.num_agpr, 0
	.set _ZN7rocprim17ROCPRIM_400000_NS6detail17trampoline_kernelINS0_14default_configENS1_25partition_config_selectorILNS1_17partition_subalgoE5ElNS0_10empty_typeEbEEZZNS1_14partition_implILS5_5ELb0ES3_mN6hipcub16HIPCUB_304000_NS21CountingInputIteratorIllEEPS6_NSA_22TransformInputIteratorIb7NonZeroIaEPalEENS0_5tupleIJPlS6_EEENSJ_IJSD_SD_EEES6_SK_JS6_EEE10hipError_tPvRmT3_T4_T5_T6_T7_T9_mT8_P12ihipStream_tbDpT10_ENKUlT_T0_E_clISt17integral_constantIbLb1EES16_EEDaS11_S12_EUlS11_E_NS1_11comp_targetILNS1_3genE5ELNS1_11target_archE942ELNS1_3gpuE9ELNS1_3repE0EEENS1_30default_config_static_selectorELNS0_4arch9wavefront6targetE1EEEvT1_.numbered_sgpr, 0
	.set _ZN7rocprim17ROCPRIM_400000_NS6detail17trampoline_kernelINS0_14default_configENS1_25partition_config_selectorILNS1_17partition_subalgoE5ElNS0_10empty_typeEbEEZZNS1_14partition_implILS5_5ELb0ES3_mN6hipcub16HIPCUB_304000_NS21CountingInputIteratorIllEEPS6_NSA_22TransformInputIteratorIb7NonZeroIaEPalEENS0_5tupleIJPlS6_EEENSJ_IJSD_SD_EEES6_SK_JS6_EEE10hipError_tPvRmT3_T4_T5_T6_T7_T9_mT8_P12ihipStream_tbDpT10_ENKUlT_T0_E_clISt17integral_constantIbLb1EES16_EEDaS11_S12_EUlS11_E_NS1_11comp_targetILNS1_3genE5ELNS1_11target_archE942ELNS1_3gpuE9ELNS1_3repE0EEENS1_30default_config_static_selectorELNS0_4arch9wavefront6targetE1EEEvT1_.num_named_barrier, 0
	.set _ZN7rocprim17ROCPRIM_400000_NS6detail17trampoline_kernelINS0_14default_configENS1_25partition_config_selectorILNS1_17partition_subalgoE5ElNS0_10empty_typeEbEEZZNS1_14partition_implILS5_5ELb0ES3_mN6hipcub16HIPCUB_304000_NS21CountingInputIteratorIllEEPS6_NSA_22TransformInputIteratorIb7NonZeroIaEPalEENS0_5tupleIJPlS6_EEENSJ_IJSD_SD_EEES6_SK_JS6_EEE10hipError_tPvRmT3_T4_T5_T6_T7_T9_mT8_P12ihipStream_tbDpT10_ENKUlT_T0_E_clISt17integral_constantIbLb1EES16_EEDaS11_S12_EUlS11_E_NS1_11comp_targetILNS1_3genE5ELNS1_11target_archE942ELNS1_3gpuE9ELNS1_3repE0EEENS1_30default_config_static_selectorELNS0_4arch9wavefront6targetE1EEEvT1_.private_seg_size, 0
	.set _ZN7rocprim17ROCPRIM_400000_NS6detail17trampoline_kernelINS0_14default_configENS1_25partition_config_selectorILNS1_17partition_subalgoE5ElNS0_10empty_typeEbEEZZNS1_14partition_implILS5_5ELb0ES3_mN6hipcub16HIPCUB_304000_NS21CountingInputIteratorIllEEPS6_NSA_22TransformInputIteratorIb7NonZeroIaEPalEENS0_5tupleIJPlS6_EEENSJ_IJSD_SD_EEES6_SK_JS6_EEE10hipError_tPvRmT3_T4_T5_T6_T7_T9_mT8_P12ihipStream_tbDpT10_ENKUlT_T0_E_clISt17integral_constantIbLb1EES16_EEDaS11_S12_EUlS11_E_NS1_11comp_targetILNS1_3genE5ELNS1_11target_archE942ELNS1_3gpuE9ELNS1_3repE0EEENS1_30default_config_static_selectorELNS0_4arch9wavefront6targetE1EEEvT1_.uses_vcc, 0
	.set _ZN7rocprim17ROCPRIM_400000_NS6detail17trampoline_kernelINS0_14default_configENS1_25partition_config_selectorILNS1_17partition_subalgoE5ElNS0_10empty_typeEbEEZZNS1_14partition_implILS5_5ELb0ES3_mN6hipcub16HIPCUB_304000_NS21CountingInputIteratorIllEEPS6_NSA_22TransformInputIteratorIb7NonZeroIaEPalEENS0_5tupleIJPlS6_EEENSJ_IJSD_SD_EEES6_SK_JS6_EEE10hipError_tPvRmT3_T4_T5_T6_T7_T9_mT8_P12ihipStream_tbDpT10_ENKUlT_T0_E_clISt17integral_constantIbLb1EES16_EEDaS11_S12_EUlS11_E_NS1_11comp_targetILNS1_3genE5ELNS1_11target_archE942ELNS1_3gpuE9ELNS1_3repE0EEENS1_30default_config_static_selectorELNS0_4arch9wavefront6targetE1EEEvT1_.uses_flat_scratch, 0
	.set _ZN7rocprim17ROCPRIM_400000_NS6detail17trampoline_kernelINS0_14default_configENS1_25partition_config_selectorILNS1_17partition_subalgoE5ElNS0_10empty_typeEbEEZZNS1_14partition_implILS5_5ELb0ES3_mN6hipcub16HIPCUB_304000_NS21CountingInputIteratorIllEEPS6_NSA_22TransformInputIteratorIb7NonZeroIaEPalEENS0_5tupleIJPlS6_EEENSJ_IJSD_SD_EEES6_SK_JS6_EEE10hipError_tPvRmT3_T4_T5_T6_T7_T9_mT8_P12ihipStream_tbDpT10_ENKUlT_T0_E_clISt17integral_constantIbLb1EES16_EEDaS11_S12_EUlS11_E_NS1_11comp_targetILNS1_3genE5ELNS1_11target_archE942ELNS1_3gpuE9ELNS1_3repE0EEENS1_30default_config_static_selectorELNS0_4arch9wavefront6targetE1EEEvT1_.has_dyn_sized_stack, 0
	.set _ZN7rocprim17ROCPRIM_400000_NS6detail17trampoline_kernelINS0_14default_configENS1_25partition_config_selectorILNS1_17partition_subalgoE5ElNS0_10empty_typeEbEEZZNS1_14partition_implILS5_5ELb0ES3_mN6hipcub16HIPCUB_304000_NS21CountingInputIteratorIllEEPS6_NSA_22TransformInputIteratorIb7NonZeroIaEPalEENS0_5tupleIJPlS6_EEENSJ_IJSD_SD_EEES6_SK_JS6_EEE10hipError_tPvRmT3_T4_T5_T6_T7_T9_mT8_P12ihipStream_tbDpT10_ENKUlT_T0_E_clISt17integral_constantIbLb1EES16_EEDaS11_S12_EUlS11_E_NS1_11comp_targetILNS1_3genE5ELNS1_11target_archE942ELNS1_3gpuE9ELNS1_3repE0EEENS1_30default_config_static_selectorELNS0_4arch9wavefront6targetE1EEEvT1_.has_recursion, 0
	.set _ZN7rocprim17ROCPRIM_400000_NS6detail17trampoline_kernelINS0_14default_configENS1_25partition_config_selectorILNS1_17partition_subalgoE5ElNS0_10empty_typeEbEEZZNS1_14partition_implILS5_5ELb0ES3_mN6hipcub16HIPCUB_304000_NS21CountingInputIteratorIllEEPS6_NSA_22TransformInputIteratorIb7NonZeroIaEPalEENS0_5tupleIJPlS6_EEENSJ_IJSD_SD_EEES6_SK_JS6_EEE10hipError_tPvRmT3_T4_T5_T6_T7_T9_mT8_P12ihipStream_tbDpT10_ENKUlT_T0_E_clISt17integral_constantIbLb1EES16_EEDaS11_S12_EUlS11_E_NS1_11comp_targetILNS1_3genE5ELNS1_11target_archE942ELNS1_3gpuE9ELNS1_3repE0EEENS1_30default_config_static_selectorELNS0_4arch9wavefront6targetE1EEEvT1_.has_indirect_call, 0
	.section	.AMDGPU.csdata,"",@progbits
; Kernel info:
; codeLenInByte = 0
; TotalNumSgprs: 4
; NumVgprs: 0
; ScratchSize: 0
; MemoryBound: 0
; FloatMode: 240
; IeeeMode: 1
; LDSByteSize: 0 bytes/workgroup (compile time only)
; SGPRBlocks: 0
; VGPRBlocks: 0
; NumSGPRsForWavesPerEU: 4
; NumVGPRsForWavesPerEU: 1
; Occupancy: 10
; WaveLimiterHint : 0
; COMPUTE_PGM_RSRC2:SCRATCH_EN: 0
; COMPUTE_PGM_RSRC2:USER_SGPR: 6
; COMPUTE_PGM_RSRC2:TRAP_HANDLER: 0
; COMPUTE_PGM_RSRC2:TGID_X_EN: 1
; COMPUTE_PGM_RSRC2:TGID_Y_EN: 0
; COMPUTE_PGM_RSRC2:TGID_Z_EN: 0
; COMPUTE_PGM_RSRC2:TIDIG_COMP_CNT: 0
	.section	.text._ZN7rocprim17ROCPRIM_400000_NS6detail17trampoline_kernelINS0_14default_configENS1_25partition_config_selectorILNS1_17partition_subalgoE5ElNS0_10empty_typeEbEEZZNS1_14partition_implILS5_5ELb0ES3_mN6hipcub16HIPCUB_304000_NS21CountingInputIteratorIllEEPS6_NSA_22TransformInputIteratorIb7NonZeroIaEPalEENS0_5tupleIJPlS6_EEENSJ_IJSD_SD_EEES6_SK_JS6_EEE10hipError_tPvRmT3_T4_T5_T6_T7_T9_mT8_P12ihipStream_tbDpT10_ENKUlT_T0_E_clISt17integral_constantIbLb1EES16_EEDaS11_S12_EUlS11_E_NS1_11comp_targetILNS1_3genE4ELNS1_11target_archE910ELNS1_3gpuE8ELNS1_3repE0EEENS1_30default_config_static_selectorELNS0_4arch9wavefront6targetE1EEEvT1_,"axG",@progbits,_ZN7rocprim17ROCPRIM_400000_NS6detail17trampoline_kernelINS0_14default_configENS1_25partition_config_selectorILNS1_17partition_subalgoE5ElNS0_10empty_typeEbEEZZNS1_14partition_implILS5_5ELb0ES3_mN6hipcub16HIPCUB_304000_NS21CountingInputIteratorIllEEPS6_NSA_22TransformInputIteratorIb7NonZeroIaEPalEENS0_5tupleIJPlS6_EEENSJ_IJSD_SD_EEES6_SK_JS6_EEE10hipError_tPvRmT3_T4_T5_T6_T7_T9_mT8_P12ihipStream_tbDpT10_ENKUlT_T0_E_clISt17integral_constantIbLb1EES16_EEDaS11_S12_EUlS11_E_NS1_11comp_targetILNS1_3genE4ELNS1_11target_archE910ELNS1_3gpuE8ELNS1_3repE0EEENS1_30default_config_static_selectorELNS0_4arch9wavefront6targetE1EEEvT1_,comdat
	.protected	_ZN7rocprim17ROCPRIM_400000_NS6detail17trampoline_kernelINS0_14default_configENS1_25partition_config_selectorILNS1_17partition_subalgoE5ElNS0_10empty_typeEbEEZZNS1_14partition_implILS5_5ELb0ES3_mN6hipcub16HIPCUB_304000_NS21CountingInputIteratorIllEEPS6_NSA_22TransformInputIteratorIb7NonZeroIaEPalEENS0_5tupleIJPlS6_EEENSJ_IJSD_SD_EEES6_SK_JS6_EEE10hipError_tPvRmT3_T4_T5_T6_T7_T9_mT8_P12ihipStream_tbDpT10_ENKUlT_T0_E_clISt17integral_constantIbLb1EES16_EEDaS11_S12_EUlS11_E_NS1_11comp_targetILNS1_3genE4ELNS1_11target_archE910ELNS1_3gpuE8ELNS1_3repE0EEENS1_30default_config_static_selectorELNS0_4arch9wavefront6targetE1EEEvT1_ ; -- Begin function _ZN7rocprim17ROCPRIM_400000_NS6detail17trampoline_kernelINS0_14default_configENS1_25partition_config_selectorILNS1_17partition_subalgoE5ElNS0_10empty_typeEbEEZZNS1_14partition_implILS5_5ELb0ES3_mN6hipcub16HIPCUB_304000_NS21CountingInputIteratorIllEEPS6_NSA_22TransformInputIteratorIb7NonZeroIaEPalEENS0_5tupleIJPlS6_EEENSJ_IJSD_SD_EEES6_SK_JS6_EEE10hipError_tPvRmT3_T4_T5_T6_T7_T9_mT8_P12ihipStream_tbDpT10_ENKUlT_T0_E_clISt17integral_constantIbLb1EES16_EEDaS11_S12_EUlS11_E_NS1_11comp_targetILNS1_3genE4ELNS1_11target_archE910ELNS1_3gpuE8ELNS1_3repE0EEENS1_30default_config_static_selectorELNS0_4arch9wavefront6targetE1EEEvT1_
	.globl	_ZN7rocprim17ROCPRIM_400000_NS6detail17trampoline_kernelINS0_14default_configENS1_25partition_config_selectorILNS1_17partition_subalgoE5ElNS0_10empty_typeEbEEZZNS1_14partition_implILS5_5ELb0ES3_mN6hipcub16HIPCUB_304000_NS21CountingInputIteratorIllEEPS6_NSA_22TransformInputIteratorIb7NonZeroIaEPalEENS0_5tupleIJPlS6_EEENSJ_IJSD_SD_EEES6_SK_JS6_EEE10hipError_tPvRmT3_T4_T5_T6_T7_T9_mT8_P12ihipStream_tbDpT10_ENKUlT_T0_E_clISt17integral_constantIbLb1EES16_EEDaS11_S12_EUlS11_E_NS1_11comp_targetILNS1_3genE4ELNS1_11target_archE910ELNS1_3gpuE8ELNS1_3repE0EEENS1_30default_config_static_selectorELNS0_4arch9wavefront6targetE1EEEvT1_
	.p2align	8
	.type	_ZN7rocprim17ROCPRIM_400000_NS6detail17trampoline_kernelINS0_14default_configENS1_25partition_config_selectorILNS1_17partition_subalgoE5ElNS0_10empty_typeEbEEZZNS1_14partition_implILS5_5ELb0ES3_mN6hipcub16HIPCUB_304000_NS21CountingInputIteratorIllEEPS6_NSA_22TransformInputIteratorIb7NonZeroIaEPalEENS0_5tupleIJPlS6_EEENSJ_IJSD_SD_EEES6_SK_JS6_EEE10hipError_tPvRmT3_T4_T5_T6_T7_T9_mT8_P12ihipStream_tbDpT10_ENKUlT_T0_E_clISt17integral_constantIbLb1EES16_EEDaS11_S12_EUlS11_E_NS1_11comp_targetILNS1_3genE4ELNS1_11target_archE910ELNS1_3gpuE8ELNS1_3repE0EEENS1_30default_config_static_selectorELNS0_4arch9wavefront6targetE1EEEvT1_,@function
_ZN7rocprim17ROCPRIM_400000_NS6detail17trampoline_kernelINS0_14default_configENS1_25partition_config_selectorILNS1_17partition_subalgoE5ElNS0_10empty_typeEbEEZZNS1_14partition_implILS5_5ELb0ES3_mN6hipcub16HIPCUB_304000_NS21CountingInputIteratorIllEEPS6_NSA_22TransformInputIteratorIb7NonZeroIaEPalEENS0_5tupleIJPlS6_EEENSJ_IJSD_SD_EEES6_SK_JS6_EEE10hipError_tPvRmT3_T4_T5_T6_T7_T9_mT8_P12ihipStream_tbDpT10_ENKUlT_T0_E_clISt17integral_constantIbLb1EES16_EEDaS11_S12_EUlS11_E_NS1_11comp_targetILNS1_3genE4ELNS1_11target_archE910ELNS1_3gpuE8ELNS1_3repE0EEENS1_30default_config_static_selectorELNS0_4arch9wavefront6targetE1EEEvT1_: ; @_ZN7rocprim17ROCPRIM_400000_NS6detail17trampoline_kernelINS0_14default_configENS1_25partition_config_selectorILNS1_17partition_subalgoE5ElNS0_10empty_typeEbEEZZNS1_14partition_implILS5_5ELb0ES3_mN6hipcub16HIPCUB_304000_NS21CountingInputIteratorIllEEPS6_NSA_22TransformInputIteratorIb7NonZeroIaEPalEENS0_5tupleIJPlS6_EEENSJ_IJSD_SD_EEES6_SK_JS6_EEE10hipError_tPvRmT3_T4_T5_T6_T7_T9_mT8_P12ihipStream_tbDpT10_ENKUlT_T0_E_clISt17integral_constantIbLb1EES16_EEDaS11_S12_EUlS11_E_NS1_11comp_targetILNS1_3genE4ELNS1_11target_archE910ELNS1_3gpuE8ELNS1_3repE0EEENS1_30default_config_static_selectorELNS0_4arch9wavefront6targetE1EEEvT1_
; %bb.0:
	.section	.rodata,"a",@progbits
	.p2align	6, 0x0
	.amdhsa_kernel _ZN7rocprim17ROCPRIM_400000_NS6detail17trampoline_kernelINS0_14default_configENS1_25partition_config_selectorILNS1_17partition_subalgoE5ElNS0_10empty_typeEbEEZZNS1_14partition_implILS5_5ELb0ES3_mN6hipcub16HIPCUB_304000_NS21CountingInputIteratorIllEEPS6_NSA_22TransformInputIteratorIb7NonZeroIaEPalEENS0_5tupleIJPlS6_EEENSJ_IJSD_SD_EEES6_SK_JS6_EEE10hipError_tPvRmT3_T4_T5_T6_T7_T9_mT8_P12ihipStream_tbDpT10_ENKUlT_T0_E_clISt17integral_constantIbLb1EES16_EEDaS11_S12_EUlS11_E_NS1_11comp_targetILNS1_3genE4ELNS1_11target_archE910ELNS1_3gpuE8ELNS1_3repE0EEENS1_30default_config_static_selectorELNS0_4arch9wavefront6targetE1EEEvT1_
		.amdhsa_group_segment_fixed_size 0
		.amdhsa_private_segment_fixed_size 0
		.amdhsa_kernarg_size 136
		.amdhsa_user_sgpr_count 6
		.amdhsa_user_sgpr_private_segment_buffer 1
		.amdhsa_user_sgpr_dispatch_ptr 0
		.amdhsa_user_sgpr_queue_ptr 0
		.amdhsa_user_sgpr_kernarg_segment_ptr 1
		.amdhsa_user_sgpr_dispatch_id 0
		.amdhsa_user_sgpr_flat_scratch_init 0
		.amdhsa_user_sgpr_private_segment_size 0
		.amdhsa_uses_dynamic_stack 0
		.amdhsa_system_sgpr_private_segment_wavefront_offset 0
		.amdhsa_system_sgpr_workgroup_id_x 1
		.amdhsa_system_sgpr_workgroup_id_y 0
		.amdhsa_system_sgpr_workgroup_id_z 0
		.amdhsa_system_sgpr_workgroup_info 0
		.amdhsa_system_vgpr_workitem_id 0
		.amdhsa_next_free_vgpr 1
		.amdhsa_next_free_sgpr 0
		.amdhsa_reserve_vcc 0
		.amdhsa_reserve_flat_scratch 0
		.amdhsa_float_round_mode_32 0
		.amdhsa_float_round_mode_16_64 0
		.amdhsa_float_denorm_mode_32 3
		.amdhsa_float_denorm_mode_16_64 3
		.amdhsa_dx10_clamp 1
		.amdhsa_ieee_mode 1
		.amdhsa_fp16_overflow 0
		.amdhsa_exception_fp_ieee_invalid_op 0
		.amdhsa_exception_fp_denorm_src 0
		.amdhsa_exception_fp_ieee_div_zero 0
		.amdhsa_exception_fp_ieee_overflow 0
		.amdhsa_exception_fp_ieee_underflow 0
		.amdhsa_exception_fp_ieee_inexact 0
		.amdhsa_exception_int_div_zero 0
	.end_amdhsa_kernel
	.section	.text._ZN7rocprim17ROCPRIM_400000_NS6detail17trampoline_kernelINS0_14default_configENS1_25partition_config_selectorILNS1_17partition_subalgoE5ElNS0_10empty_typeEbEEZZNS1_14partition_implILS5_5ELb0ES3_mN6hipcub16HIPCUB_304000_NS21CountingInputIteratorIllEEPS6_NSA_22TransformInputIteratorIb7NonZeroIaEPalEENS0_5tupleIJPlS6_EEENSJ_IJSD_SD_EEES6_SK_JS6_EEE10hipError_tPvRmT3_T4_T5_T6_T7_T9_mT8_P12ihipStream_tbDpT10_ENKUlT_T0_E_clISt17integral_constantIbLb1EES16_EEDaS11_S12_EUlS11_E_NS1_11comp_targetILNS1_3genE4ELNS1_11target_archE910ELNS1_3gpuE8ELNS1_3repE0EEENS1_30default_config_static_selectorELNS0_4arch9wavefront6targetE1EEEvT1_,"axG",@progbits,_ZN7rocprim17ROCPRIM_400000_NS6detail17trampoline_kernelINS0_14default_configENS1_25partition_config_selectorILNS1_17partition_subalgoE5ElNS0_10empty_typeEbEEZZNS1_14partition_implILS5_5ELb0ES3_mN6hipcub16HIPCUB_304000_NS21CountingInputIteratorIllEEPS6_NSA_22TransformInputIteratorIb7NonZeroIaEPalEENS0_5tupleIJPlS6_EEENSJ_IJSD_SD_EEES6_SK_JS6_EEE10hipError_tPvRmT3_T4_T5_T6_T7_T9_mT8_P12ihipStream_tbDpT10_ENKUlT_T0_E_clISt17integral_constantIbLb1EES16_EEDaS11_S12_EUlS11_E_NS1_11comp_targetILNS1_3genE4ELNS1_11target_archE910ELNS1_3gpuE8ELNS1_3repE0EEENS1_30default_config_static_selectorELNS0_4arch9wavefront6targetE1EEEvT1_,comdat
.Lfunc_end56:
	.size	_ZN7rocprim17ROCPRIM_400000_NS6detail17trampoline_kernelINS0_14default_configENS1_25partition_config_selectorILNS1_17partition_subalgoE5ElNS0_10empty_typeEbEEZZNS1_14partition_implILS5_5ELb0ES3_mN6hipcub16HIPCUB_304000_NS21CountingInputIteratorIllEEPS6_NSA_22TransformInputIteratorIb7NonZeroIaEPalEENS0_5tupleIJPlS6_EEENSJ_IJSD_SD_EEES6_SK_JS6_EEE10hipError_tPvRmT3_T4_T5_T6_T7_T9_mT8_P12ihipStream_tbDpT10_ENKUlT_T0_E_clISt17integral_constantIbLb1EES16_EEDaS11_S12_EUlS11_E_NS1_11comp_targetILNS1_3genE4ELNS1_11target_archE910ELNS1_3gpuE8ELNS1_3repE0EEENS1_30default_config_static_selectorELNS0_4arch9wavefront6targetE1EEEvT1_, .Lfunc_end56-_ZN7rocprim17ROCPRIM_400000_NS6detail17trampoline_kernelINS0_14default_configENS1_25partition_config_selectorILNS1_17partition_subalgoE5ElNS0_10empty_typeEbEEZZNS1_14partition_implILS5_5ELb0ES3_mN6hipcub16HIPCUB_304000_NS21CountingInputIteratorIllEEPS6_NSA_22TransformInputIteratorIb7NonZeroIaEPalEENS0_5tupleIJPlS6_EEENSJ_IJSD_SD_EEES6_SK_JS6_EEE10hipError_tPvRmT3_T4_T5_T6_T7_T9_mT8_P12ihipStream_tbDpT10_ENKUlT_T0_E_clISt17integral_constantIbLb1EES16_EEDaS11_S12_EUlS11_E_NS1_11comp_targetILNS1_3genE4ELNS1_11target_archE910ELNS1_3gpuE8ELNS1_3repE0EEENS1_30default_config_static_selectorELNS0_4arch9wavefront6targetE1EEEvT1_
                                        ; -- End function
	.set _ZN7rocprim17ROCPRIM_400000_NS6detail17trampoline_kernelINS0_14default_configENS1_25partition_config_selectorILNS1_17partition_subalgoE5ElNS0_10empty_typeEbEEZZNS1_14partition_implILS5_5ELb0ES3_mN6hipcub16HIPCUB_304000_NS21CountingInputIteratorIllEEPS6_NSA_22TransformInputIteratorIb7NonZeroIaEPalEENS0_5tupleIJPlS6_EEENSJ_IJSD_SD_EEES6_SK_JS6_EEE10hipError_tPvRmT3_T4_T5_T6_T7_T9_mT8_P12ihipStream_tbDpT10_ENKUlT_T0_E_clISt17integral_constantIbLb1EES16_EEDaS11_S12_EUlS11_E_NS1_11comp_targetILNS1_3genE4ELNS1_11target_archE910ELNS1_3gpuE8ELNS1_3repE0EEENS1_30default_config_static_selectorELNS0_4arch9wavefront6targetE1EEEvT1_.num_vgpr, 0
	.set _ZN7rocprim17ROCPRIM_400000_NS6detail17trampoline_kernelINS0_14default_configENS1_25partition_config_selectorILNS1_17partition_subalgoE5ElNS0_10empty_typeEbEEZZNS1_14partition_implILS5_5ELb0ES3_mN6hipcub16HIPCUB_304000_NS21CountingInputIteratorIllEEPS6_NSA_22TransformInputIteratorIb7NonZeroIaEPalEENS0_5tupleIJPlS6_EEENSJ_IJSD_SD_EEES6_SK_JS6_EEE10hipError_tPvRmT3_T4_T5_T6_T7_T9_mT8_P12ihipStream_tbDpT10_ENKUlT_T0_E_clISt17integral_constantIbLb1EES16_EEDaS11_S12_EUlS11_E_NS1_11comp_targetILNS1_3genE4ELNS1_11target_archE910ELNS1_3gpuE8ELNS1_3repE0EEENS1_30default_config_static_selectorELNS0_4arch9wavefront6targetE1EEEvT1_.num_agpr, 0
	.set _ZN7rocprim17ROCPRIM_400000_NS6detail17trampoline_kernelINS0_14default_configENS1_25partition_config_selectorILNS1_17partition_subalgoE5ElNS0_10empty_typeEbEEZZNS1_14partition_implILS5_5ELb0ES3_mN6hipcub16HIPCUB_304000_NS21CountingInputIteratorIllEEPS6_NSA_22TransformInputIteratorIb7NonZeroIaEPalEENS0_5tupleIJPlS6_EEENSJ_IJSD_SD_EEES6_SK_JS6_EEE10hipError_tPvRmT3_T4_T5_T6_T7_T9_mT8_P12ihipStream_tbDpT10_ENKUlT_T0_E_clISt17integral_constantIbLb1EES16_EEDaS11_S12_EUlS11_E_NS1_11comp_targetILNS1_3genE4ELNS1_11target_archE910ELNS1_3gpuE8ELNS1_3repE0EEENS1_30default_config_static_selectorELNS0_4arch9wavefront6targetE1EEEvT1_.numbered_sgpr, 0
	.set _ZN7rocprim17ROCPRIM_400000_NS6detail17trampoline_kernelINS0_14default_configENS1_25partition_config_selectorILNS1_17partition_subalgoE5ElNS0_10empty_typeEbEEZZNS1_14partition_implILS5_5ELb0ES3_mN6hipcub16HIPCUB_304000_NS21CountingInputIteratorIllEEPS6_NSA_22TransformInputIteratorIb7NonZeroIaEPalEENS0_5tupleIJPlS6_EEENSJ_IJSD_SD_EEES6_SK_JS6_EEE10hipError_tPvRmT3_T4_T5_T6_T7_T9_mT8_P12ihipStream_tbDpT10_ENKUlT_T0_E_clISt17integral_constantIbLb1EES16_EEDaS11_S12_EUlS11_E_NS1_11comp_targetILNS1_3genE4ELNS1_11target_archE910ELNS1_3gpuE8ELNS1_3repE0EEENS1_30default_config_static_selectorELNS0_4arch9wavefront6targetE1EEEvT1_.num_named_barrier, 0
	.set _ZN7rocprim17ROCPRIM_400000_NS6detail17trampoline_kernelINS0_14default_configENS1_25partition_config_selectorILNS1_17partition_subalgoE5ElNS0_10empty_typeEbEEZZNS1_14partition_implILS5_5ELb0ES3_mN6hipcub16HIPCUB_304000_NS21CountingInputIteratorIllEEPS6_NSA_22TransformInputIteratorIb7NonZeroIaEPalEENS0_5tupleIJPlS6_EEENSJ_IJSD_SD_EEES6_SK_JS6_EEE10hipError_tPvRmT3_T4_T5_T6_T7_T9_mT8_P12ihipStream_tbDpT10_ENKUlT_T0_E_clISt17integral_constantIbLb1EES16_EEDaS11_S12_EUlS11_E_NS1_11comp_targetILNS1_3genE4ELNS1_11target_archE910ELNS1_3gpuE8ELNS1_3repE0EEENS1_30default_config_static_selectorELNS0_4arch9wavefront6targetE1EEEvT1_.private_seg_size, 0
	.set _ZN7rocprim17ROCPRIM_400000_NS6detail17trampoline_kernelINS0_14default_configENS1_25partition_config_selectorILNS1_17partition_subalgoE5ElNS0_10empty_typeEbEEZZNS1_14partition_implILS5_5ELb0ES3_mN6hipcub16HIPCUB_304000_NS21CountingInputIteratorIllEEPS6_NSA_22TransformInputIteratorIb7NonZeroIaEPalEENS0_5tupleIJPlS6_EEENSJ_IJSD_SD_EEES6_SK_JS6_EEE10hipError_tPvRmT3_T4_T5_T6_T7_T9_mT8_P12ihipStream_tbDpT10_ENKUlT_T0_E_clISt17integral_constantIbLb1EES16_EEDaS11_S12_EUlS11_E_NS1_11comp_targetILNS1_3genE4ELNS1_11target_archE910ELNS1_3gpuE8ELNS1_3repE0EEENS1_30default_config_static_selectorELNS0_4arch9wavefront6targetE1EEEvT1_.uses_vcc, 0
	.set _ZN7rocprim17ROCPRIM_400000_NS6detail17trampoline_kernelINS0_14default_configENS1_25partition_config_selectorILNS1_17partition_subalgoE5ElNS0_10empty_typeEbEEZZNS1_14partition_implILS5_5ELb0ES3_mN6hipcub16HIPCUB_304000_NS21CountingInputIteratorIllEEPS6_NSA_22TransformInputIteratorIb7NonZeroIaEPalEENS0_5tupleIJPlS6_EEENSJ_IJSD_SD_EEES6_SK_JS6_EEE10hipError_tPvRmT3_T4_T5_T6_T7_T9_mT8_P12ihipStream_tbDpT10_ENKUlT_T0_E_clISt17integral_constantIbLb1EES16_EEDaS11_S12_EUlS11_E_NS1_11comp_targetILNS1_3genE4ELNS1_11target_archE910ELNS1_3gpuE8ELNS1_3repE0EEENS1_30default_config_static_selectorELNS0_4arch9wavefront6targetE1EEEvT1_.uses_flat_scratch, 0
	.set _ZN7rocprim17ROCPRIM_400000_NS6detail17trampoline_kernelINS0_14default_configENS1_25partition_config_selectorILNS1_17partition_subalgoE5ElNS0_10empty_typeEbEEZZNS1_14partition_implILS5_5ELb0ES3_mN6hipcub16HIPCUB_304000_NS21CountingInputIteratorIllEEPS6_NSA_22TransformInputIteratorIb7NonZeroIaEPalEENS0_5tupleIJPlS6_EEENSJ_IJSD_SD_EEES6_SK_JS6_EEE10hipError_tPvRmT3_T4_T5_T6_T7_T9_mT8_P12ihipStream_tbDpT10_ENKUlT_T0_E_clISt17integral_constantIbLb1EES16_EEDaS11_S12_EUlS11_E_NS1_11comp_targetILNS1_3genE4ELNS1_11target_archE910ELNS1_3gpuE8ELNS1_3repE0EEENS1_30default_config_static_selectorELNS0_4arch9wavefront6targetE1EEEvT1_.has_dyn_sized_stack, 0
	.set _ZN7rocprim17ROCPRIM_400000_NS6detail17trampoline_kernelINS0_14default_configENS1_25partition_config_selectorILNS1_17partition_subalgoE5ElNS0_10empty_typeEbEEZZNS1_14partition_implILS5_5ELb0ES3_mN6hipcub16HIPCUB_304000_NS21CountingInputIteratorIllEEPS6_NSA_22TransformInputIteratorIb7NonZeroIaEPalEENS0_5tupleIJPlS6_EEENSJ_IJSD_SD_EEES6_SK_JS6_EEE10hipError_tPvRmT3_T4_T5_T6_T7_T9_mT8_P12ihipStream_tbDpT10_ENKUlT_T0_E_clISt17integral_constantIbLb1EES16_EEDaS11_S12_EUlS11_E_NS1_11comp_targetILNS1_3genE4ELNS1_11target_archE910ELNS1_3gpuE8ELNS1_3repE0EEENS1_30default_config_static_selectorELNS0_4arch9wavefront6targetE1EEEvT1_.has_recursion, 0
	.set _ZN7rocprim17ROCPRIM_400000_NS6detail17trampoline_kernelINS0_14default_configENS1_25partition_config_selectorILNS1_17partition_subalgoE5ElNS0_10empty_typeEbEEZZNS1_14partition_implILS5_5ELb0ES3_mN6hipcub16HIPCUB_304000_NS21CountingInputIteratorIllEEPS6_NSA_22TransformInputIteratorIb7NonZeroIaEPalEENS0_5tupleIJPlS6_EEENSJ_IJSD_SD_EEES6_SK_JS6_EEE10hipError_tPvRmT3_T4_T5_T6_T7_T9_mT8_P12ihipStream_tbDpT10_ENKUlT_T0_E_clISt17integral_constantIbLb1EES16_EEDaS11_S12_EUlS11_E_NS1_11comp_targetILNS1_3genE4ELNS1_11target_archE910ELNS1_3gpuE8ELNS1_3repE0EEENS1_30default_config_static_selectorELNS0_4arch9wavefront6targetE1EEEvT1_.has_indirect_call, 0
	.section	.AMDGPU.csdata,"",@progbits
; Kernel info:
; codeLenInByte = 0
; TotalNumSgprs: 4
; NumVgprs: 0
; ScratchSize: 0
; MemoryBound: 0
; FloatMode: 240
; IeeeMode: 1
; LDSByteSize: 0 bytes/workgroup (compile time only)
; SGPRBlocks: 0
; VGPRBlocks: 0
; NumSGPRsForWavesPerEU: 4
; NumVGPRsForWavesPerEU: 1
; Occupancy: 10
; WaveLimiterHint : 0
; COMPUTE_PGM_RSRC2:SCRATCH_EN: 0
; COMPUTE_PGM_RSRC2:USER_SGPR: 6
; COMPUTE_PGM_RSRC2:TRAP_HANDLER: 0
; COMPUTE_PGM_RSRC2:TGID_X_EN: 1
; COMPUTE_PGM_RSRC2:TGID_Y_EN: 0
; COMPUTE_PGM_RSRC2:TGID_Z_EN: 0
; COMPUTE_PGM_RSRC2:TIDIG_COMP_CNT: 0
	.section	.text._ZN7rocprim17ROCPRIM_400000_NS6detail17trampoline_kernelINS0_14default_configENS1_25partition_config_selectorILNS1_17partition_subalgoE5ElNS0_10empty_typeEbEEZZNS1_14partition_implILS5_5ELb0ES3_mN6hipcub16HIPCUB_304000_NS21CountingInputIteratorIllEEPS6_NSA_22TransformInputIteratorIb7NonZeroIaEPalEENS0_5tupleIJPlS6_EEENSJ_IJSD_SD_EEES6_SK_JS6_EEE10hipError_tPvRmT3_T4_T5_T6_T7_T9_mT8_P12ihipStream_tbDpT10_ENKUlT_T0_E_clISt17integral_constantIbLb1EES16_EEDaS11_S12_EUlS11_E_NS1_11comp_targetILNS1_3genE3ELNS1_11target_archE908ELNS1_3gpuE7ELNS1_3repE0EEENS1_30default_config_static_selectorELNS0_4arch9wavefront6targetE1EEEvT1_,"axG",@progbits,_ZN7rocprim17ROCPRIM_400000_NS6detail17trampoline_kernelINS0_14default_configENS1_25partition_config_selectorILNS1_17partition_subalgoE5ElNS0_10empty_typeEbEEZZNS1_14partition_implILS5_5ELb0ES3_mN6hipcub16HIPCUB_304000_NS21CountingInputIteratorIllEEPS6_NSA_22TransformInputIteratorIb7NonZeroIaEPalEENS0_5tupleIJPlS6_EEENSJ_IJSD_SD_EEES6_SK_JS6_EEE10hipError_tPvRmT3_T4_T5_T6_T7_T9_mT8_P12ihipStream_tbDpT10_ENKUlT_T0_E_clISt17integral_constantIbLb1EES16_EEDaS11_S12_EUlS11_E_NS1_11comp_targetILNS1_3genE3ELNS1_11target_archE908ELNS1_3gpuE7ELNS1_3repE0EEENS1_30default_config_static_selectorELNS0_4arch9wavefront6targetE1EEEvT1_,comdat
	.protected	_ZN7rocprim17ROCPRIM_400000_NS6detail17trampoline_kernelINS0_14default_configENS1_25partition_config_selectorILNS1_17partition_subalgoE5ElNS0_10empty_typeEbEEZZNS1_14partition_implILS5_5ELb0ES3_mN6hipcub16HIPCUB_304000_NS21CountingInputIteratorIllEEPS6_NSA_22TransformInputIteratorIb7NonZeroIaEPalEENS0_5tupleIJPlS6_EEENSJ_IJSD_SD_EEES6_SK_JS6_EEE10hipError_tPvRmT3_T4_T5_T6_T7_T9_mT8_P12ihipStream_tbDpT10_ENKUlT_T0_E_clISt17integral_constantIbLb1EES16_EEDaS11_S12_EUlS11_E_NS1_11comp_targetILNS1_3genE3ELNS1_11target_archE908ELNS1_3gpuE7ELNS1_3repE0EEENS1_30default_config_static_selectorELNS0_4arch9wavefront6targetE1EEEvT1_ ; -- Begin function _ZN7rocprim17ROCPRIM_400000_NS6detail17trampoline_kernelINS0_14default_configENS1_25partition_config_selectorILNS1_17partition_subalgoE5ElNS0_10empty_typeEbEEZZNS1_14partition_implILS5_5ELb0ES3_mN6hipcub16HIPCUB_304000_NS21CountingInputIteratorIllEEPS6_NSA_22TransformInputIteratorIb7NonZeroIaEPalEENS0_5tupleIJPlS6_EEENSJ_IJSD_SD_EEES6_SK_JS6_EEE10hipError_tPvRmT3_T4_T5_T6_T7_T9_mT8_P12ihipStream_tbDpT10_ENKUlT_T0_E_clISt17integral_constantIbLb1EES16_EEDaS11_S12_EUlS11_E_NS1_11comp_targetILNS1_3genE3ELNS1_11target_archE908ELNS1_3gpuE7ELNS1_3repE0EEENS1_30default_config_static_selectorELNS0_4arch9wavefront6targetE1EEEvT1_
	.globl	_ZN7rocprim17ROCPRIM_400000_NS6detail17trampoline_kernelINS0_14default_configENS1_25partition_config_selectorILNS1_17partition_subalgoE5ElNS0_10empty_typeEbEEZZNS1_14partition_implILS5_5ELb0ES3_mN6hipcub16HIPCUB_304000_NS21CountingInputIteratorIllEEPS6_NSA_22TransformInputIteratorIb7NonZeroIaEPalEENS0_5tupleIJPlS6_EEENSJ_IJSD_SD_EEES6_SK_JS6_EEE10hipError_tPvRmT3_T4_T5_T6_T7_T9_mT8_P12ihipStream_tbDpT10_ENKUlT_T0_E_clISt17integral_constantIbLb1EES16_EEDaS11_S12_EUlS11_E_NS1_11comp_targetILNS1_3genE3ELNS1_11target_archE908ELNS1_3gpuE7ELNS1_3repE0EEENS1_30default_config_static_selectorELNS0_4arch9wavefront6targetE1EEEvT1_
	.p2align	8
	.type	_ZN7rocprim17ROCPRIM_400000_NS6detail17trampoline_kernelINS0_14default_configENS1_25partition_config_selectorILNS1_17partition_subalgoE5ElNS0_10empty_typeEbEEZZNS1_14partition_implILS5_5ELb0ES3_mN6hipcub16HIPCUB_304000_NS21CountingInputIteratorIllEEPS6_NSA_22TransformInputIteratorIb7NonZeroIaEPalEENS0_5tupleIJPlS6_EEENSJ_IJSD_SD_EEES6_SK_JS6_EEE10hipError_tPvRmT3_T4_T5_T6_T7_T9_mT8_P12ihipStream_tbDpT10_ENKUlT_T0_E_clISt17integral_constantIbLb1EES16_EEDaS11_S12_EUlS11_E_NS1_11comp_targetILNS1_3genE3ELNS1_11target_archE908ELNS1_3gpuE7ELNS1_3repE0EEENS1_30default_config_static_selectorELNS0_4arch9wavefront6targetE1EEEvT1_,@function
_ZN7rocprim17ROCPRIM_400000_NS6detail17trampoline_kernelINS0_14default_configENS1_25partition_config_selectorILNS1_17partition_subalgoE5ElNS0_10empty_typeEbEEZZNS1_14partition_implILS5_5ELb0ES3_mN6hipcub16HIPCUB_304000_NS21CountingInputIteratorIllEEPS6_NSA_22TransformInputIteratorIb7NonZeroIaEPalEENS0_5tupleIJPlS6_EEENSJ_IJSD_SD_EEES6_SK_JS6_EEE10hipError_tPvRmT3_T4_T5_T6_T7_T9_mT8_P12ihipStream_tbDpT10_ENKUlT_T0_E_clISt17integral_constantIbLb1EES16_EEDaS11_S12_EUlS11_E_NS1_11comp_targetILNS1_3genE3ELNS1_11target_archE908ELNS1_3gpuE7ELNS1_3repE0EEENS1_30default_config_static_selectorELNS0_4arch9wavefront6targetE1EEEvT1_: ; @_ZN7rocprim17ROCPRIM_400000_NS6detail17trampoline_kernelINS0_14default_configENS1_25partition_config_selectorILNS1_17partition_subalgoE5ElNS0_10empty_typeEbEEZZNS1_14partition_implILS5_5ELb0ES3_mN6hipcub16HIPCUB_304000_NS21CountingInputIteratorIllEEPS6_NSA_22TransformInputIteratorIb7NonZeroIaEPalEENS0_5tupleIJPlS6_EEENSJ_IJSD_SD_EEES6_SK_JS6_EEE10hipError_tPvRmT3_T4_T5_T6_T7_T9_mT8_P12ihipStream_tbDpT10_ENKUlT_T0_E_clISt17integral_constantIbLb1EES16_EEDaS11_S12_EUlS11_E_NS1_11comp_targetILNS1_3genE3ELNS1_11target_archE908ELNS1_3gpuE7ELNS1_3repE0EEENS1_30default_config_static_selectorELNS0_4arch9wavefront6targetE1EEEvT1_
; %bb.0:
	.section	.rodata,"a",@progbits
	.p2align	6, 0x0
	.amdhsa_kernel _ZN7rocprim17ROCPRIM_400000_NS6detail17trampoline_kernelINS0_14default_configENS1_25partition_config_selectorILNS1_17partition_subalgoE5ElNS0_10empty_typeEbEEZZNS1_14partition_implILS5_5ELb0ES3_mN6hipcub16HIPCUB_304000_NS21CountingInputIteratorIllEEPS6_NSA_22TransformInputIteratorIb7NonZeroIaEPalEENS0_5tupleIJPlS6_EEENSJ_IJSD_SD_EEES6_SK_JS6_EEE10hipError_tPvRmT3_T4_T5_T6_T7_T9_mT8_P12ihipStream_tbDpT10_ENKUlT_T0_E_clISt17integral_constantIbLb1EES16_EEDaS11_S12_EUlS11_E_NS1_11comp_targetILNS1_3genE3ELNS1_11target_archE908ELNS1_3gpuE7ELNS1_3repE0EEENS1_30default_config_static_selectorELNS0_4arch9wavefront6targetE1EEEvT1_
		.amdhsa_group_segment_fixed_size 0
		.amdhsa_private_segment_fixed_size 0
		.amdhsa_kernarg_size 136
		.amdhsa_user_sgpr_count 6
		.amdhsa_user_sgpr_private_segment_buffer 1
		.amdhsa_user_sgpr_dispatch_ptr 0
		.amdhsa_user_sgpr_queue_ptr 0
		.amdhsa_user_sgpr_kernarg_segment_ptr 1
		.amdhsa_user_sgpr_dispatch_id 0
		.amdhsa_user_sgpr_flat_scratch_init 0
		.amdhsa_user_sgpr_private_segment_size 0
		.amdhsa_uses_dynamic_stack 0
		.amdhsa_system_sgpr_private_segment_wavefront_offset 0
		.amdhsa_system_sgpr_workgroup_id_x 1
		.amdhsa_system_sgpr_workgroup_id_y 0
		.amdhsa_system_sgpr_workgroup_id_z 0
		.amdhsa_system_sgpr_workgroup_info 0
		.amdhsa_system_vgpr_workitem_id 0
		.amdhsa_next_free_vgpr 1
		.amdhsa_next_free_sgpr 0
		.amdhsa_reserve_vcc 0
		.amdhsa_reserve_flat_scratch 0
		.amdhsa_float_round_mode_32 0
		.amdhsa_float_round_mode_16_64 0
		.amdhsa_float_denorm_mode_32 3
		.amdhsa_float_denorm_mode_16_64 3
		.amdhsa_dx10_clamp 1
		.amdhsa_ieee_mode 1
		.amdhsa_fp16_overflow 0
		.amdhsa_exception_fp_ieee_invalid_op 0
		.amdhsa_exception_fp_denorm_src 0
		.amdhsa_exception_fp_ieee_div_zero 0
		.amdhsa_exception_fp_ieee_overflow 0
		.amdhsa_exception_fp_ieee_underflow 0
		.amdhsa_exception_fp_ieee_inexact 0
		.amdhsa_exception_int_div_zero 0
	.end_amdhsa_kernel
	.section	.text._ZN7rocprim17ROCPRIM_400000_NS6detail17trampoline_kernelINS0_14default_configENS1_25partition_config_selectorILNS1_17partition_subalgoE5ElNS0_10empty_typeEbEEZZNS1_14partition_implILS5_5ELb0ES3_mN6hipcub16HIPCUB_304000_NS21CountingInputIteratorIllEEPS6_NSA_22TransformInputIteratorIb7NonZeroIaEPalEENS0_5tupleIJPlS6_EEENSJ_IJSD_SD_EEES6_SK_JS6_EEE10hipError_tPvRmT3_T4_T5_T6_T7_T9_mT8_P12ihipStream_tbDpT10_ENKUlT_T0_E_clISt17integral_constantIbLb1EES16_EEDaS11_S12_EUlS11_E_NS1_11comp_targetILNS1_3genE3ELNS1_11target_archE908ELNS1_3gpuE7ELNS1_3repE0EEENS1_30default_config_static_selectorELNS0_4arch9wavefront6targetE1EEEvT1_,"axG",@progbits,_ZN7rocprim17ROCPRIM_400000_NS6detail17trampoline_kernelINS0_14default_configENS1_25partition_config_selectorILNS1_17partition_subalgoE5ElNS0_10empty_typeEbEEZZNS1_14partition_implILS5_5ELb0ES3_mN6hipcub16HIPCUB_304000_NS21CountingInputIteratorIllEEPS6_NSA_22TransformInputIteratorIb7NonZeroIaEPalEENS0_5tupleIJPlS6_EEENSJ_IJSD_SD_EEES6_SK_JS6_EEE10hipError_tPvRmT3_T4_T5_T6_T7_T9_mT8_P12ihipStream_tbDpT10_ENKUlT_T0_E_clISt17integral_constantIbLb1EES16_EEDaS11_S12_EUlS11_E_NS1_11comp_targetILNS1_3genE3ELNS1_11target_archE908ELNS1_3gpuE7ELNS1_3repE0EEENS1_30default_config_static_selectorELNS0_4arch9wavefront6targetE1EEEvT1_,comdat
.Lfunc_end57:
	.size	_ZN7rocprim17ROCPRIM_400000_NS6detail17trampoline_kernelINS0_14default_configENS1_25partition_config_selectorILNS1_17partition_subalgoE5ElNS0_10empty_typeEbEEZZNS1_14partition_implILS5_5ELb0ES3_mN6hipcub16HIPCUB_304000_NS21CountingInputIteratorIllEEPS6_NSA_22TransformInputIteratorIb7NonZeroIaEPalEENS0_5tupleIJPlS6_EEENSJ_IJSD_SD_EEES6_SK_JS6_EEE10hipError_tPvRmT3_T4_T5_T6_T7_T9_mT8_P12ihipStream_tbDpT10_ENKUlT_T0_E_clISt17integral_constantIbLb1EES16_EEDaS11_S12_EUlS11_E_NS1_11comp_targetILNS1_3genE3ELNS1_11target_archE908ELNS1_3gpuE7ELNS1_3repE0EEENS1_30default_config_static_selectorELNS0_4arch9wavefront6targetE1EEEvT1_, .Lfunc_end57-_ZN7rocprim17ROCPRIM_400000_NS6detail17trampoline_kernelINS0_14default_configENS1_25partition_config_selectorILNS1_17partition_subalgoE5ElNS0_10empty_typeEbEEZZNS1_14partition_implILS5_5ELb0ES3_mN6hipcub16HIPCUB_304000_NS21CountingInputIteratorIllEEPS6_NSA_22TransformInputIteratorIb7NonZeroIaEPalEENS0_5tupleIJPlS6_EEENSJ_IJSD_SD_EEES6_SK_JS6_EEE10hipError_tPvRmT3_T4_T5_T6_T7_T9_mT8_P12ihipStream_tbDpT10_ENKUlT_T0_E_clISt17integral_constantIbLb1EES16_EEDaS11_S12_EUlS11_E_NS1_11comp_targetILNS1_3genE3ELNS1_11target_archE908ELNS1_3gpuE7ELNS1_3repE0EEENS1_30default_config_static_selectorELNS0_4arch9wavefront6targetE1EEEvT1_
                                        ; -- End function
	.set _ZN7rocprim17ROCPRIM_400000_NS6detail17trampoline_kernelINS0_14default_configENS1_25partition_config_selectorILNS1_17partition_subalgoE5ElNS0_10empty_typeEbEEZZNS1_14partition_implILS5_5ELb0ES3_mN6hipcub16HIPCUB_304000_NS21CountingInputIteratorIllEEPS6_NSA_22TransformInputIteratorIb7NonZeroIaEPalEENS0_5tupleIJPlS6_EEENSJ_IJSD_SD_EEES6_SK_JS6_EEE10hipError_tPvRmT3_T4_T5_T6_T7_T9_mT8_P12ihipStream_tbDpT10_ENKUlT_T0_E_clISt17integral_constantIbLb1EES16_EEDaS11_S12_EUlS11_E_NS1_11comp_targetILNS1_3genE3ELNS1_11target_archE908ELNS1_3gpuE7ELNS1_3repE0EEENS1_30default_config_static_selectorELNS0_4arch9wavefront6targetE1EEEvT1_.num_vgpr, 0
	.set _ZN7rocprim17ROCPRIM_400000_NS6detail17trampoline_kernelINS0_14default_configENS1_25partition_config_selectorILNS1_17partition_subalgoE5ElNS0_10empty_typeEbEEZZNS1_14partition_implILS5_5ELb0ES3_mN6hipcub16HIPCUB_304000_NS21CountingInputIteratorIllEEPS6_NSA_22TransformInputIteratorIb7NonZeroIaEPalEENS0_5tupleIJPlS6_EEENSJ_IJSD_SD_EEES6_SK_JS6_EEE10hipError_tPvRmT3_T4_T5_T6_T7_T9_mT8_P12ihipStream_tbDpT10_ENKUlT_T0_E_clISt17integral_constantIbLb1EES16_EEDaS11_S12_EUlS11_E_NS1_11comp_targetILNS1_3genE3ELNS1_11target_archE908ELNS1_3gpuE7ELNS1_3repE0EEENS1_30default_config_static_selectorELNS0_4arch9wavefront6targetE1EEEvT1_.num_agpr, 0
	.set _ZN7rocprim17ROCPRIM_400000_NS6detail17trampoline_kernelINS0_14default_configENS1_25partition_config_selectorILNS1_17partition_subalgoE5ElNS0_10empty_typeEbEEZZNS1_14partition_implILS5_5ELb0ES3_mN6hipcub16HIPCUB_304000_NS21CountingInputIteratorIllEEPS6_NSA_22TransformInputIteratorIb7NonZeroIaEPalEENS0_5tupleIJPlS6_EEENSJ_IJSD_SD_EEES6_SK_JS6_EEE10hipError_tPvRmT3_T4_T5_T6_T7_T9_mT8_P12ihipStream_tbDpT10_ENKUlT_T0_E_clISt17integral_constantIbLb1EES16_EEDaS11_S12_EUlS11_E_NS1_11comp_targetILNS1_3genE3ELNS1_11target_archE908ELNS1_3gpuE7ELNS1_3repE0EEENS1_30default_config_static_selectorELNS0_4arch9wavefront6targetE1EEEvT1_.numbered_sgpr, 0
	.set _ZN7rocprim17ROCPRIM_400000_NS6detail17trampoline_kernelINS0_14default_configENS1_25partition_config_selectorILNS1_17partition_subalgoE5ElNS0_10empty_typeEbEEZZNS1_14partition_implILS5_5ELb0ES3_mN6hipcub16HIPCUB_304000_NS21CountingInputIteratorIllEEPS6_NSA_22TransformInputIteratorIb7NonZeroIaEPalEENS0_5tupleIJPlS6_EEENSJ_IJSD_SD_EEES6_SK_JS6_EEE10hipError_tPvRmT3_T4_T5_T6_T7_T9_mT8_P12ihipStream_tbDpT10_ENKUlT_T0_E_clISt17integral_constantIbLb1EES16_EEDaS11_S12_EUlS11_E_NS1_11comp_targetILNS1_3genE3ELNS1_11target_archE908ELNS1_3gpuE7ELNS1_3repE0EEENS1_30default_config_static_selectorELNS0_4arch9wavefront6targetE1EEEvT1_.num_named_barrier, 0
	.set _ZN7rocprim17ROCPRIM_400000_NS6detail17trampoline_kernelINS0_14default_configENS1_25partition_config_selectorILNS1_17partition_subalgoE5ElNS0_10empty_typeEbEEZZNS1_14partition_implILS5_5ELb0ES3_mN6hipcub16HIPCUB_304000_NS21CountingInputIteratorIllEEPS6_NSA_22TransformInputIteratorIb7NonZeroIaEPalEENS0_5tupleIJPlS6_EEENSJ_IJSD_SD_EEES6_SK_JS6_EEE10hipError_tPvRmT3_T4_T5_T6_T7_T9_mT8_P12ihipStream_tbDpT10_ENKUlT_T0_E_clISt17integral_constantIbLb1EES16_EEDaS11_S12_EUlS11_E_NS1_11comp_targetILNS1_3genE3ELNS1_11target_archE908ELNS1_3gpuE7ELNS1_3repE0EEENS1_30default_config_static_selectorELNS0_4arch9wavefront6targetE1EEEvT1_.private_seg_size, 0
	.set _ZN7rocprim17ROCPRIM_400000_NS6detail17trampoline_kernelINS0_14default_configENS1_25partition_config_selectorILNS1_17partition_subalgoE5ElNS0_10empty_typeEbEEZZNS1_14partition_implILS5_5ELb0ES3_mN6hipcub16HIPCUB_304000_NS21CountingInputIteratorIllEEPS6_NSA_22TransformInputIteratorIb7NonZeroIaEPalEENS0_5tupleIJPlS6_EEENSJ_IJSD_SD_EEES6_SK_JS6_EEE10hipError_tPvRmT3_T4_T5_T6_T7_T9_mT8_P12ihipStream_tbDpT10_ENKUlT_T0_E_clISt17integral_constantIbLb1EES16_EEDaS11_S12_EUlS11_E_NS1_11comp_targetILNS1_3genE3ELNS1_11target_archE908ELNS1_3gpuE7ELNS1_3repE0EEENS1_30default_config_static_selectorELNS0_4arch9wavefront6targetE1EEEvT1_.uses_vcc, 0
	.set _ZN7rocprim17ROCPRIM_400000_NS6detail17trampoline_kernelINS0_14default_configENS1_25partition_config_selectorILNS1_17partition_subalgoE5ElNS0_10empty_typeEbEEZZNS1_14partition_implILS5_5ELb0ES3_mN6hipcub16HIPCUB_304000_NS21CountingInputIteratorIllEEPS6_NSA_22TransformInputIteratorIb7NonZeroIaEPalEENS0_5tupleIJPlS6_EEENSJ_IJSD_SD_EEES6_SK_JS6_EEE10hipError_tPvRmT3_T4_T5_T6_T7_T9_mT8_P12ihipStream_tbDpT10_ENKUlT_T0_E_clISt17integral_constantIbLb1EES16_EEDaS11_S12_EUlS11_E_NS1_11comp_targetILNS1_3genE3ELNS1_11target_archE908ELNS1_3gpuE7ELNS1_3repE0EEENS1_30default_config_static_selectorELNS0_4arch9wavefront6targetE1EEEvT1_.uses_flat_scratch, 0
	.set _ZN7rocprim17ROCPRIM_400000_NS6detail17trampoline_kernelINS0_14default_configENS1_25partition_config_selectorILNS1_17partition_subalgoE5ElNS0_10empty_typeEbEEZZNS1_14partition_implILS5_5ELb0ES3_mN6hipcub16HIPCUB_304000_NS21CountingInputIteratorIllEEPS6_NSA_22TransformInputIteratorIb7NonZeroIaEPalEENS0_5tupleIJPlS6_EEENSJ_IJSD_SD_EEES6_SK_JS6_EEE10hipError_tPvRmT3_T4_T5_T6_T7_T9_mT8_P12ihipStream_tbDpT10_ENKUlT_T0_E_clISt17integral_constantIbLb1EES16_EEDaS11_S12_EUlS11_E_NS1_11comp_targetILNS1_3genE3ELNS1_11target_archE908ELNS1_3gpuE7ELNS1_3repE0EEENS1_30default_config_static_selectorELNS0_4arch9wavefront6targetE1EEEvT1_.has_dyn_sized_stack, 0
	.set _ZN7rocprim17ROCPRIM_400000_NS6detail17trampoline_kernelINS0_14default_configENS1_25partition_config_selectorILNS1_17partition_subalgoE5ElNS0_10empty_typeEbEEZZNS1_14partition_implILS5_5ELb0ES3_mN6hipcub16HIPCUB_304000_NS21CountingInputIteratorIllEEPS6_NSA_22TransformInputIteratorIb7NonZeroIaEPalEENS0_5tupleIJPlS6_EEENSJ_IJSD_SD_EEES6_SK_JS6_EEE10hipError_tPvRmT3_T4_T5_T6_T7_T9_mT8_P12ihipStream_tbDpT10_ENKUlT_T0_E_clISt17integral_constantIbLb1EES16_EEDaS11_S12_EUlS11_E_NS1_11comp_targetILNS1_3genE3ELNS1_11target_archE908ELNS1_3gpuE7ELNS1_3repE0EEENS1_30default_config_static_selectorELNS0_4arch9wavefront6targetE1EEEvT1_.has_recursion, 0
	.set _ZN7rocprim17ROCPRIM_400000_NS6detail17trampoline_kernelINS0_14default_configENS1_25partition_config_selectorILNS1_17partition_subalgoE5ElNS0_10empty_typeEbEEZZNS1_14partition_implILS5_5ELb0ES3_mN6hipcub16HIPCUB_304000_NS21CountingInputIteratorIllEEPS6_NSA_22TransformInputIteratorIb7NonZeroIaEPalEENS0_5tupleIJPlS6_EEENSJ_IJSD_SD_EEES6_SK_JS6_EEE10hipError_tPvRmT3_T4_T5_T6_T7_T9_mT8_P12ihipStream_tbDpT10_ENKUlT_T0_E_clISt17integral_constantIbLb1EES16_EEDaS11_S12_EUlS11_E_NS1_11comp_targetILNS1_3genE3ELNS1_11target_archE908ELNS1_3gpuE7ELNS1_3repE0EEENS1_30default_config_static_selectorELNS0_4arch9wavefront6targetE1EEEvT1_.has_indirect_call, 0
	.section	.AMDGPU.csdata,"",@progbits
; Kernel info:
; codeLenInByte = 0
; TotalNumSgprs: 4
; NumVgprs: 0
; ScratchSize: 0
; MemoryBound: 0
; FloatMode: 240
; IeeeMode: 1
; LDSByteSize: 0 bytes/workgroup (compile time only)
; SGPRBlocks: 0
; VGPRBlocks: 0
; NumSGPRsForWavesPerEU: 4
; NumVGPRsForWavesPerEU: 1
; Occupancy: 10
; WaveLimiterHint : 0
; COMPUTE_PGM_RSRC2:SCRATCH_EN: 0
; COMPUTE_PGM_RSRC2:USER_SGPR: 6
; COMPUTE_PGM_RSRC2:TRAP_HANDLER: 0
; COMPUTE_PGM_RSRC2:TGID_X_EN: 1
; COMPUTE_PGM_RSRC2:TGID_Y_EN: 0
; COMPUTE_PGM_RSRC2:TGID_Z_EN: 0
; COMPUTE_PGM_RSRC2:TIDIG_COMP_CNT: 0
	.section	.text._ZN7rocprim17ROCPRIM_400000_NS6detail17trampoline_kernelINS0_14default_configENS1_25partition_config_selectorILNS1_17partition_subalgoE5ElNS0_10empty_typeEbEEZZNS1_14partition_implILS5_5ELb0ES3_mN6hipcub16HIPCUB_304000_NS21CountingInputIteratorIllEEPS6_NSA_22TransformInputIteratorIb7NonZeroIaEPalEENS0_5tupleIJPlS6_EEENSJ_IJSD_SD_EEES6_SK_JS6_EEE10hipError_tPvRmT3_T4_T5_T6_T7_T9_mT8_P12ihipStream_tbDpT10_ENKUlT_T0_E_clISt17integral_constantIbLb1EES16_EEDaS11_S12_EUlS11_E_NS1_11comp_targetILNS1_3genE2ELNS1_11target_archE906ELNS1_3gpuE6ELNS1_3repE0EEENS1_30default_config_static_selectorELNS0_4arch9wavefront6targetE1EEEvT1_,"axG",@progbits,_ZN7rocprim17ROCPRIM_400000_NS6detail17trampoline_kernelINS0_14default_configENS1_25partition_config_selectorILNS1_17partition_subalgoE5ElNS0_10empty_typeEbEEZZNS1_14partition_implILS5_5ELb0ES3_mN6hipcub16HIPCUB_304000_NS21CountingInputIteratorIllEEPS6_NSA_22TransformInputIteratorIb7NonZeroIaEPalEENS0_5tupleIJPlS6_EEENSJ_IJSD_SD_EEES6_SK_JS6_EEE10hipError_tPvRmT3_T4_T5_T6_T7_T9_mT8_P12ihipStream_tbDpT10_ENKUlT_T0_E_clISt17integral_constantIbLb1EES16_EEDaS11_S12_EUlS11_E_NS1_11comp_targetILNS1_3genE2ELNS1_11target_archE906ELNS1_3gpuE6ELNS1_3repE0EEENS1_30default_config_static_selectorELNS0_4arch9wavefront6targetE1EEEvT1_,comdat
	.protected	_ZN7rocprim17ROCPRIM_400000_NS6detail17trampoline_kernelINS0_14default_configENS1_25partition_config_selectorILNS1_17partition_subalgoE5ElNS0_10empty_typeEbEEZZNS1_14partition_implILS5_5ELb0ES3_mN6hipcub16HIPCUB_304000_NS21CountingInputIteratorIllEEPS6_NSA_22TransformInputIteratorIb7NonZeroIaEPalEENS0_5tupleIJPlS6_EEENSJ_IJSD_SD_EEES6_SK_JS6_EEE10hipError_tPvRmT3_T4_T5_T6_T7_T9_mT8_P12ihipStream_tbDpT10_ENKUlT_T0_E_clISt17integral_constantIbLb1EES16_EEDaS11_S12_EUlS11_E_NS1_11comp_targetILNS1_3genE2ELNS1_11target_archE906ELNS1_3gpuE6ELNS1_3repE0EEENS1_30default_config_static_selectorELNS0_4arch9wavefront6targetE1EEEvT1_ ; -- Begin function _ZN7rocprim17ROCPRIM_400000_NS6detail17trampoline_kernelINS0_14default_configENS1_25partition_config_selectorILNS1_17partition_subalgoE5ElNS0_10empty_typeEbEEZZNS1_14partition_implILS5_5ELb0ES3_mN6hipcub16HIPCUB_304000_NS21CountingInputIteratorIllEEPS6_NSA_22TransformInputIteratorIb7NonZeroIaEPalEENS0_5tupleIJPlS6_EEENSJ_IJSD_SD_EEES6_SK_JS6_EEE10hipError_tPvRmT3_T4_T5_T6_T7_T9_mT8_P12ihipStream_tbDpT10_ENKUlT_T0_E_clISt17integral_constantIbLb1EES16_EEDaS11_S12_EUlS11_E_NS1_11comp_targetILNS1_3genE2ELNS1_11target_archE906ELNS1_3gpuE6ELNS1_3repE0EEENS1_30default_config_static_selectorELNS0_4arch9wavefront6targetE1EEEvT1_
	.globl	_ZN7rocprim17ROCPRIM_400000_NS6detail17trampoline_kernelINS0_14default_configENS1_25partition_config_selectorILNS1_17partition_subalgoE5ElNS0_10empty_typeEbEEZZNS1_14partition_implILS5_5ELb0ES3_mN6hipcub16HIPCUB_304000_NS21CountingInputIteratorIllEEPS6_NSA_22TransformInputIteratorIb7NonZeroIaEPalEENS0_5tupleIJPlS6_EEENSJ_IJSD_SD_EEES6_SK_JS6_EEE10hipError_tPvRmT3_T4_T5_T6_T7_T9_mT8_P12ihipStream_tbDpT10_ENKUlT_T0_E_clISt17integral_constantIbLb1EES16_EEDaS11_S12_EUlS11_E_NS1_11comp_targetILNS1_3genE2ELNS1_11target_archE906ELNS1_3gpuE6ELNS1_3repE0EEENS1_30default_config_static_selectorELNS0_4arch9wavefront6targetE1EEEvT1_
	.p2align	8
	.type	_ZN7rocprim17ROCPRIM_400000_NS6detail17trampoline_kernelINS0_14default_configENS1_25partition_config_selectorILNS1_17partition_subalgoE5ElNS0_10empty_typeEbEEZZNS1_14partition_implILS5_5ELb0ES3_mN6hipcub16HIPCUB_304000_NS21CountingInputIteratorIllEEPS6_NSA_22TransformInputIteratorIb7NonZeroIaEPalEENS0_5tupleIJPlS6_EEENSJ_IJSD_SD_EEES6_SK_JS6_EEE10hipError_tPvRmT3_T4_T5_T6_T7_T9_mT8_P12ihipStream_tbDpT10_ENKUlT_T0_E_clISt17integral_constantIbLb1EES16_EEDaS11_S12_EUlS11_E_NS1_11comp_targetILNS1_3genE2ELNS1_11target_archE906ELNS1_3gpuE6ELNS1_3repE0EEENS1_30default_config_static_selectorELNS0_4arch9wavefront6targetE1EEEvT1_,@function
_ZN7rocprim17ROCPRIM_400000_NS6detail17trampoline_kernelINS0_14default_configENS1_25partition_config_selectorILNS1_17partition_subalgoE5ElNS0_10empty_typeEbEEZZNS1_14partition_implILS5_5ELb0ES3_mN6hipcub16HIPCUB_304000_NS21CountingInputIteratorIllEEPS6_NSA_22TransformInputIteratorIb7NonZeroIaEPalEENS0_5tupleIJPlS6_EEENSJ_IJSD_SD_EEES6_SK_JS6_EEE10hipError_tPvRmT3_T4_T5_T6_T7_T9_mT8_P12ihipStream_tbDpT10_ENKUlT_T0_E_clISt17integral_constantIbLb1EES16_EEDaS11_S12_EUlS11_E_NS1_11comp_targetILNS1_3genE2ELNS1_11target_archE906ELNS1_3gpuE6ELNS1_3repE0EEENS1_30default_config_static_selectorELNS0_4arch9wavefront6targetE1EEEvT1_: ; @_ZN7rocprim17ROCPRIM_400000_NS6detail17trampoline_kernelINS0_14default_configENS1_25partition_config_selectorILNS1_17partition_subalgoE5ElNS0_10empty_typeEbEEZZNS1_14partition_implILS5_5ELb0ES3_mN6hipcub16HIPCUB_304000_NS21CountingInputIteratorIllEEPS6_NSA_22TransformInputIteratorIb7NonZeroIaEPalEENS0_5tupleIJPlS6_EEENSJ_IJSD_SD_EEES6_SK_JS6_EEE10hipError_tPvRmT3_T4_T5_T6_T7_T9_mT8_P12ihipStream_tbDpT10_ENKUlT_T0_E_clISt17integral_constantIbLb1EES16_EEDaS11_S12_EUlS11_E_NS1_11comp_targetILNS1_3genE2ELNS1_11target_archE906ELNS1_3gpuE6ELNS1_3repE0EEENS1_30default_config_static_selectorELNS0_4arch9wavefront6targetE1EEEvT1_
; %bb.0:
	s_endpgm
	.section	.rodata,"a",@progbits
	.p2align	6, 0x0
	.amdhsa_kernel _ZN7rocprim17ROCPRIM_400000_NS6detail17trampoline_kernelINS0_14default_configENS1_25partition_config_selectorILNS1_17partition_subalgoE5ElNS0_10empty_typeEbEEZZNS1_14partition_implILS5_5ELb0ES3_mN6hipcub16HIPCUB_304000_NS21CountingInputIteratorIllEEPS6_NSA_22TransformInputIteratorIb7NonZeroIaEPalEENS0_5tupleIJPlS6_EEENSJ_IJSD_SD_EEES6_SK_JS6_EEE10hipError_tPvRmT3_T4_T5_T6_T7_T9_mT8_P12ihipStream_tbDpT10_ENKUlT_T0_E_clISt17integral_constantIbLb1EES16_EEDaS11_S12_EUlS11_E_NS1_11comp_targetILNS1_3genE2ELNS1_11target_archE906ELNS1_3gpuE6ELNS1_3repE0EEENS1_30default_config_static_selectorELNS0_4arch9wavefront6targetE1EEEvT1_
		.amdhsa_group_segment_fixed_size 0
		.amdhsa_private_segment_fixed_size 0
		.amdhsa_kernarg_size 136
		.amdhsa_user_sgpr_count 6
		.amdhsa_user_sgpr_private_segment_buffer 1
		.amdhsa_user_sgpr_dispatch_ptr 0
		.amdhsa_user_sgpr_queue_ptr 0
		.amdhsa_user_sgpr_kernarg_segment_ptr 1
		.amdhsa_user_sgpr_dispatch_id 0
		.amdhsa_user_sgpr_flat_scratch_init 0
		.amdhsa_user_sgpr_private_segment_size 0
		.amdhsa_uses_dynamic_stack 0
		.amdhsa_system_sgpr_private_segment_wavefront_offset 0
		.amdhsa_system_sgpr_workgroup_id_x 1
		.amdhsa_system_sgpr_workgroup_id_y 0
		.amdhsa_system_sgpr_workgroup_id_z 0
		.amdhsa_system_sgpr_workgroup_info 0
		.amdhsa_system_vgpr_workitem_id 0
		.amdhsa_next_free_vgpr 1
		.amdhsa_next_free_sgpr 0
		.amdhsa_reserve_vcc 0
		.amdhsa_reserve_flat_scratch 0
		.amdhsa_float_round_mode_32 0
		.amdhsa_float_round_mode_16_64 0
		.amdhsa_float_denorm_mode_32 3
		.amdhsa_float_denorm_mode_16_64 3
		.amdhsa_dx10_clamp 1
		.amdhsa_ieee_mode 1
		.amdhsa_fp16_overflow 0
		.amdhsa_exception_fp_ieee_invalid_op 0
		.amdhsa_exception_fp_denorm_src 0
		.amdhsa_exception_fp_ieee_div_zero 0
		.amdhsa_exception_fp_ieee_overflow 0
		.amdhsa_exception_fp_ieee_underflow 0
		.amdhsa_exception_fp_ieee_inexact 0
		.amdhsa_exception_int_div_zero 0
	.end_amdhsa_kernel
	.section	.text._ZN7rocprim17ROCPRIM_400000_NS6detail17trampoline_kernelINS0_14default_configENS1_25partition_config_selectorILNS1_17partition_subalgoE5ElNS0_10empty_typeEbEEZZNS1_14partition_implILS5_5ELb0ES3_mN6hipcub16HIPCUB_304000_NS21CountingInputIteratorIllEEPS6_NSA_22TransformInputIteratorIb7NonZeroIaEPalEENS0_5tupleIJPlS6_EEENSJ_IJSD_SD_EEES6_SK_JS6_EEE10hipError_tPvRmT3_T4_T5_T6_T7_T9_mT8_P12ihipStream_tbDpT10_ENKUlT_T0_E_clISt17integral_constantIbLb1EES16_EEDaS11_S12_EUlS11_E_NS1_11comp_targetILNS1_3genE2ELNS1_11target_archE906ELNS1_3gpuE6ELNS1_3repE0EEENS1_30default_config_static_selectorELNS0_4arch9wavefront6targetE1EEEvT1_,"axG",@progbits,_ZN7rocprim17ROCPRIM_400000_NS6detail17trampoline_kernelINS0_14default_configENS1_25partition_config_selectorILNS1_17partition_subalgoE5ElNS0_10empty_typeEbEEZZNS1_14partition_implILS5_5ELb0ES3_mN6hipcub16HIPCUB_304000_NS21CountingInputIteratorIllEEPS6_NSA_22TransformInputIteratorIb7NonZeroIaEPalEENS0_5tupleIJPlS6_EEENSJ_IJSD_SD_EEES6_SK_JS6_EEE10hipError_tPvRmT3_T4_T5_T6_T7_T9_mT8_P12ihipStream_tbDpT10_ENKUlT_T0_E_clISt17integral_constantIbLb1EES16_EEDaS11_S12_EUlS11_E_NS1_11comp_targetILNS1_3genE2ELNS1_11target_archE906ELNS1_3gpuE6ELNS1_3repE0EEENS1_30default_config_static_selectorELNS0_4arch9wavefront6targetE1EEEvT1_,comdat
.Lfunc_end58:
	.size	_ZN7rocprim17ROCPRIM_400000_NS6detail17trampoline_kernelINS0_14default_configENS1_25partition_config_selectorILNS1_17partition_subalgoE5ElNS0_10empty_typeEbEEZZNS1_14partition_implILS5_5ELb0ES3_mN6hipcub16HIPCUB_304000_NS21CountingInputIteratorIllEEPS6_NSA_22TransformInputIteratorIb7NonZeroIaEPalEENS0_5tupleIJPlS6_EEENSJ_IJSD_SD_EEES6_SK_JS6_EEE10hipError_tPvRmT3_T4_T5_T6_T7_T9_mT8_P12ihipStream_tbDpT10_ENKUlT_T0_E_clISt17integral_constantIbLb1EES16_EEDaS11_S12_EUlS11_E_NS1_11comp_targetILNS1_3genE2ELNS1_11target_archE906ELNS1_3gpuE6ELNS1_3repE0EEENS1_30default_config_static_selectorELNS0_4arch9wavefront6targetE1EEEvT1_, .Lfunc_end58-_ZN7rocprim17ROCPRIM_400000_NS6detail17trampoline_kernelINS0_14default_configENS1_25partition_config_selectorILNS1_17partition_subalgoE5ElNS0_10empty_typeEbEEZZNS1_14partition_implILS5_5ELb0ES3_mN6hipcub16HIPCUB_304000_NS21CountingInputIteratorIllEEPS6_NSA_22TransformInputIteratorIb7NonZeroIaEPalEENS0_5tupleIJPlS6_EEENSJ_IJSD_SD_EEES6_SK_JS6_EEE10hipError_tPvRmT3_T4_T5_T6_T7_T9_mT8_P12ihipStream_tbDpT10_ENKUlT_T0_E_clISt17integral_constantIbLb1EES16_EEDaS11_S12_EUlS11_E_NS1_11comp_targetILNS1_3genE2ELNS1_11target_archE906ELNS1_3gpuE6ELNS1_3repE0EEENS1_30default_config_static_selectorELNS0_4arch9wavefront6targetE1EEEvT1_
                                        ; -- End function
	.set _ZN7rocprim17ROCPRIM_400000_NS6detail17trampoline_kernelINS0_14default_configENS1_25partition_config_selectorILNS1_17partition_subalgoE5ElNS0_10empty_typeEbEEZZNS1_14partition_implILS5_5ELb0ES3_mN6hipcub16HIPCUB_304000_NS21CountingInputIteratorIllEEPS6_NSA_22TransformInputIteratorIb7NonZeroIaEPalEENS0_5tupleIJPlS6_EEENSJ_IJSD_SD_EEES6_SK_JS6_EEE10hipError_tPvRmT3_T4_T5_T6_T7_T9_mT8_P12ihipStream_tbDpT10_ENKUlT_T0_E_clISt17integral_constantIbLb1EES16_EEDaS11_S12_EUlS11_E_NS1_11comp_targetILNS1_3genE2ELNS1_11target_archE906ELNS1_3gpuE6ELNS1_3repE0EEENS1_30default_config_static_selectorELNS0_4arch9wavefront6targetE1EEEvT1_.num_vgpr, 0
	.set _ZN7rocprim17ROCPRIM_400000_NS6detail17trampoline_kernelINS0_14default_configENS1_25partition_config_selectorILNS1_17partition_subalgoE5ElNS0_10empty_typeEbEEZZNS1_14partition_implILS5_5ELb0ES3_mN6hipcub16HIPCUB_304000_NS21CountingInputIteratorIllEEPS6_NSA_22TransformInputIteratorIb7NonZeroIaEPalEENS0_5tupleIJPlS6_EEENSJ_IJSD_SD_EEES6_SK_JS6_EEE10hipError_tPvRmT3_T4_T5_T6_T7_T9_mT8_P12ihipStream_tbDpT10_ENKUlT_T0_E_clISt17integral_constantIbLb1EES16_EEDaS11_S12_EUlS11_E_NS1_11comp_targetILNS1_3genE2ELNS1_11target_archE906ELNS1_3gpuE6ELNS1_3repE0EEENS1_30default_config_static_selectorELNS0_4arch9wavefront6targetE1EEEvT1_.num_agpr, 0
	.set _ZN7rocprim17ROCPRIM_400000_NS6detail17trampoline_kernelINS0_14default_configENS1_25partition_config_selectorILNS1_17partition_subalgoE5ElNS0_10empty_typeEbEEZZNS1_14partition_implILS5_5ELb0ES3_mN6hipcub16HIPCUB_304000_NS21CountingInputIteratorIllEEPS6_NSA_22TransformInputIteratorIb7NonZeroIaEPalEENS0_5tupleIJPlS6_EEENSJ_IJSD_SD_EEES6_SK_JS6_EEE10hipError_tPvRmT3_T4_T5_T6_T7_T9_mT8_P12ihipStream_tbDpT10_ENKUlT_T0_E_clISt17integral_constantIbLb1EES16_EEDaS11_S12_EUlS11_E_NS1_11comp_targetILNS1_3genE2ELNS1_11target_archE906ELNS1_3gpuE6ELNS1_3repE0EEENS1_30default_config_static_selectorELNS0_4arch9wavefront6targetE1EEEvT1_.numbered_sgpr, 0
	.set _ZN7rocprim17ROCPRIM_400000_NS6detail17trampoline_kernelINS0_14default_configENS1_25partition_config_selectorILNS1_17partition_subalgoE5ElNS0_10empty_typeEbEEZZNS1_14partition_implILS5_5ELb0ES3_mN6hipcub16HIPCUB_304000_NS21CountingInputIteratorIllEEPS6_NSA_22TransformInputIteratorIb7NonZeroIaEPalEENS0_5tupleIJPlS6_EEENSJ_IJSD_SD_EEES6_SK_JS6_EEE10hipError_tPvRmT3_T4_T5_T6_T7_T9_mT8_P12ihipStream_tbDpT10_ENKUlT_T0_E_clISt17integral_constantIbLb1EES16_EEDaS11_S12_EUlS11_E_NS1_11comp_targetILNS1_3genE2ELNS1_11target_archE906ELNS1_3gpuE6ELNS1_3repE0EEENS1_30default_config_static_selectorELNS0_4arch9wavefront6targetE1EEEvT1_.num_named_barrier, 0
	.set _ZN7rocprim17ROCPRIM_400000_NS6detail17trampoline_kernelINS0_14default_configENS1_25partition_config_selectorILNS1_17partition_subalgoE5ElNS0_10empty_typeEbEEZZNS1_14partition_implILS5_5ELb0ES3_mN6hipcub16HIPCUB_304000_NS21CountingInputIteratorIllEEPS6_NSA_22TransformInputIteratorIb7NonZeroIaEPalEENS0_5tupleIJPlS6_EEENSJ_IJSD_SD_EEES6_SK_JS6_EEE10hipError_tPvRmT3_T4_T5_T6_T7_T9_mT8_P12ihipStream_tbDpT10_ENKUlT_T0_E_clISt17integral_constantIbLb1EES16_EEDaS11_S12_EUlS11_E_NS1_11comp_targetILNS1_3genE2ELNS1_11target_archE906ELNS1_3gpuE6ELNS1_3repE0EEENS1_30default_config_static_selectorELNS0_4arch9wavefront6targetE1EEEvT1_.private_seg_size, 0
	.set _ZN7rocprim17ROCPRIM_400000_NS6detail17trampoline_kernelINS0_14default_configENS1_25partition_config_selectorILNS1_17partition_subalgoE5ElNS0_10empty_typeEbEEZZNS1_14partition_implILS5_5ELb0ES3_mN6hipcub16HIPCUB_304000_NS21CountingInputIteratorIllEEPS6_NSA_22TransformInputIteratorIb7NonZeroIaEPalEENS0_5tupleIJPlS6_EEENSJ_IJSD_SD_EEES6_SK_JS6_EEE10hipError_tPvRmT3_T4_T5_T6_T7_T9_mT8_P12ihipStream_tbDpT10_ENKUlT_T0_E_clISt17integral_constantIbLb1EES16_EEDaS11_S12_EUlS11_E_NS1_11comp_targetILNS1_3genE2ELNS1_11target_archE906ELNS1_3gpuE6ELNS1_3repE0EEENS1_30default_config_static_selectorELNS0_4arch9wavefront6targetE1EEEvT1_.uses_vcc, 0
	.set _ZN7rocprim17ROCPRIM_400000_NS6detail17trampoline_kernelINS0_14default_configENS1_25partition_config_selectorILNS1_17partition_subalgoE5ElNS0_10empty_typeEbEEZZNS1_14partition_implILS5_5ELb0ES3_mN6hipcub16HIPCUB_304000_NS21CountingInputIteratorIllEEPS6_NSA_22TransformInputIteratorIb7NonZeroIaEPalEENS0_5tupleIJPlS6_EEENSJ_IJSD_SD_EEES6_SK_JS6_EEE10hipError_tPvRmT3_T4_T5_T6_T7_T9_mT8_P12ihipStream_tbDpT10_ENKUlT_T0_E_clISt17integral_constantIbLb1EES16_EEDaS11_S12_EUlS11_E_NS1_11comp_targetILNS1_3genE2ELNS1_11target_archE906ELNS1_3gpuE6ELNS1_3repE0EEENS1_30default_config_static_selectorELNS0_4arch9wavefront6targetE1EEEvT1_.uses_flat_scratch, 0
	.set _ZN7rocprim17ROCPRIM_400000_NS6detail17trampoline_kernelINS0_14default_configENS1_25partition_config_selectorILNS1_17partition_subalgoE5ElNS0_10empty_typeEbEEZZNS1_14partition_implILS5_5ELb0ES3_mN6hipcub16HIPCUB_304000_NS21CountingInputIteratorIllEEPS6_NSA_22TransformInputIteratorIb7NonZeroIaEPalEENS0_5tupleIJPlS6_EEENSJ_IJSD_SD_EEES6_SK_JS6_EEE10hipError_tPvRmT3_T4_T5_T6_T7_T9_mT8_P12ihipStream_tbDpT10_ENKUlT_T0_E_clISt17integral_constantIbLb1EES16_EEDaS11_S12_EUlS11_E_NS1_11comp_targetILNS1_3genE2ELNS1_11target_archE906ELNS1_3gpuE6ELNS1_3repE0EEENS1_30default_config_static_selectorELNS0_4arch9wavefront6targetE1EEEvT1_.has_dyn_sized_stack, 0
	.set _ZN7rocprim17ROCPRIM_400000_NS6detail17trampoline_kernelINS0_14default_configENS1_25partition_config_selectorILNS1_17partition_subalgoE5ElNS0_10empty_typeEbEEZZNS1_14partition_implILS5_5ELb0ES3_mN6hipcub16HIPCUB_304000_NS21CountingInputIteratorIllEEPS6_NSA_22TransformInputIteratorIb7NonZeroIaEPalEENS0_5tupleIJPlS6_EEENSJ_IJSD_SD_EEES6_SK_JS6_EEE10hipError_tPvRmT3_T4_T5_T6_T7_T9_mT8_P12ihipStream_tbDpT10_ENKUlT_T0_E_clISt17integral_constantIbLb1EES16_EEDaS11_S12_EUlS11_E_NS1_11comp_targetILNS1_3genE2ELNS1_11target_archE906ELNS1_3gpuE6ELNS1_3repE0EEENS1_30default_config_static_selectorELNS0_4arch9wavefront6targetE1EEEvT1_.has_recursion, 0
	.set _ZN7rocprim17ROCPRIM_400000_NS6detail17trampoline_kernelINS0_14default_configENS1_25partition_config_selectorILNS1_17partition_subalgoE5ElNS0_10empty_typeEbEEZZNS1_14partition_implILS5_5ELb0ES3_mN6hipcub16HIPCUB_304000_NS21CountingInputIteratorIllEEPS6_NSA_22TransformInputIteratorIb7NonZeroIaEPalEENS0_5tupleIJPlS6_EEENSJ_IJSD_SD_EEES6_SK_JS6_EEE10hipError_tPvRmT3_T4_T5_T6_T7_T9_mT8_P12ihipStream_tbDpT10_ENKUlT_T0_E_clISt17integral_constantIbLb1EES16_EEDaS11_S12_EUlS11_E_NS1_11comp_targetILNS1_3genE2ELNS1_11target_archE906ELNS1_3gpuE6ELNS1_3repE0EEENS1_30default_config_static_selectorELNS0_4arch9wavefront6targetE1EEEvT1_.has_indirect_call, 0
	.section	.AMDGPU.csdata,"",@progbits
; Kernel info:
; codeLenInByte = 4
; TotalNumSgprs: 4
; NumVgprs: 0
; ScratchSize: 0
; MemoryBound: 0
; FloatMode: 240
; IeeeMode: 1
; LDSByteSize: 0 bytes/workgroup (compile time only)
; SGPRBlocks: 0
; VGPRBlocks: 0
; NumSGPRsForWavesPerEU: 4
; NumVGPRsForWavesPerEU: 1
; Occupancy: 10
; WaveLimiterHint : 0
; COMPUTE_PGM_RSRC2:SCRATCH_EN: 0
; COMPUTE_PGM_RSRC2:USER_SGPR: 6
; COMPUTE_PGM_RSRC2:TRAP_HANDLER: 0
; COMPUTE_PGM_RSRC2:TGID_X_EN: 1
; COMPUTE_PGM_RSRC2:TGID_Y_EN: 0
; COMPUTE_PGM_RSRC2:TGID_Z_EN: 0
; COMPUTE_PGM_RSRC2:TIDIG_COMP_CNT: 0
	.section	.text._ZN7rocprim17ROCPRIM_400000_NS6detail17trampoline_kernelINS0_14default_configENS1_25partition_config_selectorILNS1_17partition_subalgoE5ElNS0_10empty_typeEbEEZZNS1_14partition_implILS5_5ELb0ES3_mN6hipcub16HIPCUB_304000_NS21CountingInputIteratorIllEEPS6_NSA_22TransformInputIteratorIb7NonZeroIaEPalEENS0_5tupleIJPlS6_EEENSJ_IJSD_SD_EEES6_SK_JS6_EEE10hipError_tPvRmT3_T4_T5_T6_T7_T9_mT8_P12ihipStream_tbDpT10_ENKUlT_T0_E_clISt17integral_constantIbLb1EES16_EEDaS11_S12_EUlS11_E_NS1_11comp_targetILNS1_3genE10ELNS1_11target_archE1200ELNS1_3gpuE4ELNS1_3repE0EEENS1_30default_config_static_selectorELNS0_4arch9wavefront6targetE1EEEvT1_,"axG",@progbits,_ZN7rocprim17ROCPRIM_400000_NS6detail17trampoline_kernelINS0_14default_configENS1_25partition_config_selectorILNS1_17partition_subalgoE5ElNS0_10empty_typeEbEEZZNS1_14partition_implILS5_5ELb0ES3_mN6hipcub16HIPCUB_304000_NS21CountingInputIteratorIllEEPS6_NSA_22TransformInputIteratorIb7NonZeroIaEPalEENS0_5tupleIJPlS6_EEENSJ_IJSD_SD_EEES6_SK_JS6_EEE10hipError_tPvRmT3_T4_T5_T6_T7_T9_mT8_P12ihipStream_tbDpT10_ENKUlT_T0_E_clISt17integral_constantIbLb1EES16_EEDaS11_S12_EUlS11_E_NS1_11comp_targetILNS1_3genE10ELNS1_11target_archE1200ELNS1_3gpuE4ELNS1_3repE0EEENS1_30default_config_static_selectorELNS0_4arch9wavefront6targetE1EEEvT1_,comdat
	.protected	_ZN7rocprim17ROCPRIM_400000_NS6detail17trampoline_kernelINS0_14default_configENS1_25partition_config_selectorILNS1_17partition_subalgoE5ElNS0_10empty_typeEbEEZZNS1_14partition_implILS5_5ELb0ES3_mN6hipcub16HIPCUB_304000_NS21CountingInputIteratorIllEEPS6_NSA_22TransformInputIteratorIb7NonZeroIaEPalEENS0_5tupleIJPlS6_EEENSJ_IJSD_SD_EEES6_SK_JS6_EEE10hipError_tPvRmT3_T4_T5_T6_T7_T9_mT8_P12ihipStream_tbDpT10_ENKUlT_T0_E_clISt17integral_constantIbLb1EES16_EEDaS11_S12_EUlS11_E_NS1_11comp_targetILNS1_3genE10ELNS1_11target_archE1200ELNS1_3gpuE4ELNS1_3repE0EEENS1_30default_config_static_selectorELNS0_4arch9wavefront6targetE1EEEvT1_ ; -- Begin function _ZN7rocprim17ROCPRIM_400000_NS6detail17trampoline_kernelINS0_14default_configENS1_25partition_config_selectorILNS1_17partition_subalgoE5ElNS0_10empty_typeEbEEZZNS1_14partition_implILS5_5ELb0ES3_mN6hipcub16HIPCUB_304000_NS21CountingInputIteratorIllEEPS6_NSA_22TransformInputIteratorIb7NonZeroIaEPalEENS0_5tupleIJPlS6_EEENSJ_IJSD_SD_EEES6_SK_JS6_EEE10hipError_tPvRmT3_T4_T5_T6_T7_T9_mT8_P12ihipStream_tbDpT10_ENKUlT_T0_E_clISt17integral_constantIbLb1EES16_EEDaS11_S12_EUlS11_E_NS1_11comp_targetILNS1_3genE10ELNS1_11target_archE1200ELNS1_3gpuE4ELNS1_3repE0EEENS1_30default_config_static_selectorELNS0_4arch9wavefront6targetE1EEEvT1_
	.globl	_ZN7rocprim17ROCPRIM_400000_NS6detail17trampoline_kernelINS0_14default_configENS1_25partition_config_selectorILNS1_17partition_subalgoE5ElNS0_10empty_typeEbEEZZNS1_14partition_implILS5_5ELb0ES3_mN6hipcub16HIPCUB_304000_NS21CountingInputIteratorIllEEPS6_NSA_22TransformInputIteratorIb7NonZeroIaEPalEENS0_5tupleIJPlS6_EEENSJ_IJSD_SD_EEES6_SK_JS6_EEE10hipError_tPvRmT3_T4_T5_T6_T7_T9_mT8_P12ihipStream_tbDpT10_ENKUlT_T0_E_clISt17integral_constantIbLb1EES16_EEDaS11_S12_EUlS11_E_NS1_11comp_targetILNS1_3genE10ELNS1_11target_archE1200ELNS1_3gpuE4ELNS1_3repE0EEENS1_30default_config_static_selectorELNS0_4arch9wavefront6targetE1EEEvT1_
	.p2align	8
	.type	_ZN7rocprim17ROCPRIM_400000_NS6detail17trampoline_kernelINS0_14default_configENS1_25partition_config_selectorILNS1_17partition_subalgoE5ElNS0_10empty_typeEbEEZZNS1_14partition_implILS5_5ELb0ES3_mN6hipcub16HIPCUB_304000_NS21CountingInputIteratorIllEEPS6_NSA_22TransformInputIteratorIb7NonZeroIaEPalEENS0_5tupleIJPlS6_EEENSJ_IJSD_SD_EEES6_SK_JS6_EEE10hipError_tPvRmT3_T4_T5_T6_T7_T9_mT8_P12ihipStream_tbDpT10_ENKUlT_T0_E_clISt17integral_constantIbLb1EES16_EEDaS11_S12_EUlS11_E_NS1_11comp_targetILNS1_3genE10ELNS1_11target_archE1200ELNS1_3gpuE4ELNS1_3repE0EEENS1_30default_config_static_selectorELNS0_4arch9wavefront6targetE1EEEvT1_,@function
_ZN7rocprim17ROCPRIM_400000_NS6detail17trampoline_kernelINS0_14default_configENS1_25partition_config_selectorILNS1_17partition_subalgoE5ElNS0_10empty_typeEbEEZZNS1_14partition_implILS5_5ELb0ES3_mN6hipcub16HIPCUB_304000_NS21CountingInputIteratorIllEEPS6_NSA_22TransformInputIteratorIb7NonZeroIaEPalEENS0_5tupleIJPlS6_EEENSJ_IJSD_SD_EEES6_SK_JS6_EEE10hipError_tPvRmT3_T4_T5_T6_T7_T9_mT8_P12ihipStream_tbDpT10_ENKUlT_T0_E_clISt17integral_constantIbLb1EES16_EEDaS11_S12_EUlS11_E_NS1_11comp_targetILNS1_3genE10ELNS1_11target_archE1200ELNS1_3gpuE4ELNS1_3repE0EEENS1_30default_config_static_selectorELNS0_4arch9wavefront6targetE1EEEvT1_: ; @_ZN7rocprim17ROCPRIM_400000_NS6detail17trampoline_kernelINS0_14default_configENS1_25partition_config_selectorILNS1_17partition_subalgoE5ElNS0_10empty_typeEbEEZZNS1_14partition_implILS5_5ELb0ES3_mN6hipcub16HIPCUB_304000_NS21CountingInputIteratorIllEEPS6_NSA_22TransformInputIteratorIb7NonZeroIaEPalEENS0_5tupleIJPlS6_EEENSJ_IJSD_SD_EEES6_SK_JS6_EEE10hipError_tPvRmT3_T4_T5_T6_T7_T9_mT8_P12ihipStream_tbDpT10_ENKUlT_T0_E_clISt17integral_constantIbLb1EES16_EEDaS11_S12_EUlS11_E_NS1_11comp_targetILNS1_3genE10ELNS1_11target_archE1200ELNS1_3gpuE4ELNS1_3repE0EEENS1_30default_config_static_selectorELNS0_4arch9wavefront6targetE1EEEvT1_
; %bb.0:
	.section	.rodata,"a",@progbits
	.p2align	6, 0x0
	.amdhsa_kernel _ZN7rocprim17ROCPRIM_400000_NS6detail17trampoline_kernelINS0_14default_configENS1_25partition_config_selectorILNS1_17partition_subalgoE5ElNS0_10empty_typeEbEEZZNS1_14partition_implILS5_5ELb0ES3_mN6hipcub16HIPCUB_304000_NS21CountingInputIteratorIllEEPS6_NSA_22TransformInputIteratorIb7NonZeroIaEPalEENS0_5tupleIJPlS6_EEENSJ_IJSD_SD_EEES6_SK_JS6_EEE10hipError_tPvRmT3_T4_T5_T6_T7_T9_mT8_P12ihipStream_tbDpT10_ENKUlT_T0_E_clISt17integral_constantIbLb1EES16_EEDaS11_S12_EUlS11_E_NS1_11comp_targetILNS1_3genE10ELNS1_11target_archE1200ELNS1_3gpuE4ELNS1_3repE0EEENS1_30default_config_static_selectorELNS0_4arch9wavefront6targetE1EEEvT1_
		.amdhsa_group_segment_fixed_size 0
		.amdhsa_private_segment_fixed_size 0
		.amdhsa_kernarg_size 136
		.amdhsa_user_sgpr_count 6
		.amdhsa_user_sgpr_private_segment_buffer 1
		.amdhsa_user_sgpr_dispatch_ptr 0
		.amdhsa_user_sgpr_queue_ptr 0
		.amdhsa_user_sgpr_kernarg_segment_ptr 1
		.amdhsa_user_sgpr_dispatch_id 0
		.amdhsa_user_sgpr_flat_scratch_init 0
		.amdhsa_user_sgpr_private_segment_size 0
		.amdhsa_uses_dynamic_stack 0
		.amdhsa_system_sgpr_private_segment_wavefront_offset 0
		.amdhsa_system_sgpr_workgroup_id_x 1
		.amdhsa_system_sgpr_workgroup_id_y 0
		.amdhsa_system_sgpr_workgroup_id_z 0
		.amdhsa_system_sgpr_workgroup_info 0
		.amdhsa_system_vgpr_workitem_id 0
		.amdhsa_next_free_vgpr 1
		.amdhsa_next_free_sgpr 0
		.amdhsa_reserve_vcc 0
		.amdhsa_reserve_flat_scratch 0
		.amdhsa_float_round_mode_32 0
		.amdhsa_float_round_mode_16_64 0
		.amdhsa_float_denorm_mode_32 3
		.amdhsa_float_denorm_mode_16_64 3
		.amdhsa_dx10_clamp 1
		.amdhsa_ieee_mode 1
		.amdhsa_fp16_overflow 0
		.amdhsa_exception_fp_ieee_invalid_op 0
		.amdhsa_exception_fp_denorm_src 0
		.amdhsa_exception_fp_ieee_div_zero 0
		.amdhsa_exception_fp_ieee_overflow 0
		.amdhsa_exception_fp_ieee_underflow 0
		.amdhsa_exception_fp_ieee_inexact 0
		.amdhsa_exception_int_div_zero 0
	.end_amdhsa_kernel
	.section	.text._ZN7rocprim17ROCPRIM_400000_NS6detail17trampoline_kernelINS0_14default_configENS1_25partition_config_selectorILNS1_17partition_subalgoE5ElNS0_10empty_typeEbEEZZNS1_14partition_implILS5_5ELb0ES3_mN6hipcub16HIPCUB_304000_NS21CountingInputIteratorIllEEPS6_NSA_22TransformInputIteratorIb7NonZeroIaEPalEENS0_5tupleIJPlS6_EEENSJ_IJSD_SD_EEES6_SK_JS6_EEE10hipError_tPvRmT3_T4_T5_T6_T7_T9_mT8_P12ihipStream_tbDpT10_ENKUlT_T0_E_clISt17integral_constantIbLb1EES16_EEDaS11_S12_EUlS11_E_NS1_11comp_targetILNS1_3genE10ELNS1_11target_archE1200ELNS1_3gpuE4ELNS1_3repE0EEENS1_30default_config_static_selectorELNS0_4arch9wavefront6targetE1EEEvT1_,"axG",@progbits,_ZN7rocprim17ROCPRIM_400000_NS6detail17trampoline_kernelINS0_14default_configENS1_25partition_config_selectorILNS1_17partition_subalgoE5ElNS0_10empty_typeEbEEZZNS1_14partition_implILS5_5ELb0ES3_mN6hipcub16HIPCUB_304000_NS21CountingInputIteratorIllEEPS6_NSA_22TransformInputIteratorIb7NonZeroIaEPalEENS0_5tupleIJPlS6_EEENSJ_IJSD_SD_EEES6_SK_JS6_EEE10hipError_tPvRmT3_T4_T5_T6_T7_T9_mT8_P12ihipStream_tbDpT10_ENKUlT_T0_E_clISt17integral_constantIbLb1EES16_EEDaS11_S12_EUlS11_E_NS1_11comp_targetILNS1_3genE10ELNS1_11target_archE1200ELNS1_3gpuE4ELNS1_3repE0EEENS1_30default_config_static_selectorELNS0_4arch9wavefront6targetE1EEEvT1_,comdat
.Lfunc_end59:
	.size	_ZN7rocprim17ROCPRIM_400000_NS6detail17trampoline_kernelINS0_14default_configENS1_25partition_config_selectorILNS1_17partition_subalgoE5ElNS0_10empty_typeEbEEZZNS1_14partition_implILS5_5ELb0ES3_mN6hipcub16HIPCUB_304000_NS21CountingInputIteratorIllEEPS6_NSA_22TransformInputIteratorIb7NonZeroIaEPalEENS0_5tupleIJPlS6_EEENSJ_IJSD_SD_EEES6_SK_JS6_EEE10hipError_tPvRmT3_T4_T5_T6_T7_T9_mT8_P12ihipStream_tbDpT10_ENKUlT_T0_E_clISt17integral_constantIbLb1EES16_EEDaS11_S12_EUlS11_E_NS1_11comp_targetILNS1_3genE10ELNS1_11target_archE1200ELNS1_3gpuE4ELNS1_3repE0EEENS1_30default_config_static_selectorELNS0_4arch9wavefront6targetE1EEEvT1_, .Lfunc_end59-_ZN7rocprim17ROCPRIM_400000_NS6detail17trampoline_kernelINS0_14default_configENS1_25partition_config_selectorILNS1_17partition_subalgoE5ElNS0_10empty_typeEbEEZZNS1_14partition_implILS5_5ELb0ES3_mN6hipcub16HIPCUB_304000_NS21CountingInputIteratorIllEEPS6_NSA_22TransformInputIteratorIb7NonZeroIaEPalEENS0_5tupleIJPlS6_EEENSJ_IJSD_SD_EEES6_SK_JS6_EEE10hipError_tPvRmT3_T4_T5_T6_T7_T9_mT8_P12ihipStream_tbDpT10_ENKUlT_T0_E_clISt17integral_constantIbLb1EES16_EEDaS11_S12_EUlS11_E_NS1_11comp_targetILNS1_3genE10ELNS1_11target_archE1200ELNS1_3gpuE4ELNS1_3repE0EEENS1_30default_config_static_selectorELNS0_4arch9wavefront6targetE1EEEvT1_
                                        ; -- End function
	.set _ZN7rocprim17ROCPRIM_400000_NS6detail17trampoline_kernelINS0_14default_configENS1_25partition_config_selectorILNS1_17partition_subalgoE5ElNS0_10empty_typeEbEEZZNS1_14partition_implILS5_5ELb0ES3_mN6hipcub16HIPCUB_304000_NS21CountingInputIteratorIllEEPS6_NSA_22TransformInputIteratorIb7NonZeroIaEPalEENS0_5tupleIJPlS6_EEENSJ_IJSD_SD_EEES6_SK_JS6_EEE10hipError_tPvRmT3_T4_T5_T6_T7_T9_mT8_P12ihipStream_tbDpT10_ENKUlT_T0_E_clISt17integral_constantIbLb1EES16_EEDaS11_S12_EUlS11_E_NS1_11comp_targetILNS1_3genE10ELNS1_11target_archE1200ELNS1_3gpuE4ELNS1_3repE0EEENS1_30default_config_static_selectorELNS0_4arch9wavefront6targetE1EEEvT1_.num_vgpr, 0
	.set _ZN7rocprim17ROCPRIM_400000_NS6detail17trampoline_kernelINS0_14default_configENS1_25partition_config_selectorILNS1_17partition_subalgoE5ElNS0_10empty_typeEbEEZZNS1_14partition_implILS5_5ELb0ES3_mN6hipcub16HIPCUB_304000_NS21CountingInputIteratorIllEEPS6_NSA_22TransformInputIteratorIb7NonZeroIaEPalEENS0_5tupleIJPlS6_EEENSJ_IJSD_SD_EEES6_SK_JS6_EEE10hipError_tPvRmT3_T4_T5_T6_T7_T9_mT8_P12ihipStream_tbDpT10_ENKUlT_T0_E_clISt17integral_constantIbLb1EES16_EEDaS11_S12_EUlS11_E_NS1_11comp_targetILNS1_3genE10ELNS1_11target_archE1200ELNS1_3gpuE4ELNS1_3repE0EEENS1_30default_config_static_selectorELNS0_4arch9wavefront6targetE1EEEvT1_.num_agpr, 0
	.set _ZN7rocprim17ROCPRIM_400000_NS6detail17trampoline_kernelINS0_14default_configENS1_25partition_config_selectorILNS1_17partition_subalgoE5ElNS0_10empty_typeEbEEZZNS1_14partition_implILS5_5ELb0ES3_mN6hipcub16HIPCUB_304000_NS21CountingInputIteratorIllEEPS6_NSA_22TransformInputIteratorIb7NonZeroIaEPalEENS0_5tupleIJPlS6_EEENSJ_IJSD_SD_EEES6_SK_JS6_EEE10hipError_tPvRmT3_T4_T5_T6_T7_T9_mT8_P12ihipStream_tbDpT10_ENKUlT_T0_E_clISt17integral_constantIbLb1EES16_EEDaS11_S12_EUlS11_E_NS1_11comp_targetILNS1_3genE10ELNS1_11target_archE1200ELNS1_3gpuE4ELNS1_3repE0EEENS1_30default_config_static_selectorELNS0_4arch9wavefront6targetE1EEEvT1_.numbered_sgpr, 0
	.set _ZN7rocprim17ROCPRIM_400000_NS6detail17trampoline_kernelINS0_14default_configENS1_25partition_config_selectorILNS1_17partition_subalgoE5ElNS0_10empty_typeEbEEZZNS1_14partition_implILS5_5ELb0ES3_mN6hipcub16HIPCUB_304000_NS21CountingInputIteratorIllEEPS6_NSA_22TransformInputIteratorIb7NonZeroIaEPalEENS0_5tupleIJPlS6_EEENSJ_IJSD_SD_EEES6_SK_JS6_EEE10hipError_tPvRmT3_T4_T5_T6_T7_T9_mT8_P12ihipStream_tbDpT10_ENKUlT_T0_E_clISt17integral_constantIbLb1EES16_EEDaS11_S12_EUlS11_E_NS1_11comp_targetILNS1_3genE10ELNS1_11target_archE1200ELNS1_3gpuE4ELNS1_3repE0EEENS1_30default_config_static_selectorELNS0_4arch9wavefront6targetE1EEEvT1_.num_named_barrier, 0
	.set _ZN7rocprim17ROCPRIM_400000_NS6detail17trampoline_kernelINS0_14default_configENS1_25partition_config_selectorILNS1_17partition_subalgoE5ElNS0_10empty_typeEbEEZZNS1_14partition_implILS5_5ELb0ES3_mN6hipcub16HIPCUB_304000_NS21CountingInputIteratorIllEEPS6_NSA_22TransformInputIteratorIb7NonZeroIaEPalEENS0_5tupleIJPlS6_EEENSJ_IJSD_SD_EEES6_SK_JS6_EEE10hipError_tPvRmT3_T4_T5_T6_T7_T9_mT8_P12ihipStream_tbDpT10_ENKUlT_T0_E_clISt17integral_constantIbLb1EES16_EEDaS11_S12_EUlS11_E_NS1_11comp_targetILNS1_3genE10ELNS1_11target_archE1200ELNS1_3gpuE4ELNS1_3repE0EEENS1_30default_config_static_selectorELNS0_4arch9wavefront6targetE1EEEvT1_.private_seg_size, 0
	.set _ZN7rocprim17ROCPRIM_400000_NS6detail17trampoline_kernelINS0_14default_configENS1_25partition_config_selectorILNS1_17partition_subalgoE5ElNS0_10empty_typeEbEEZZNS1_14partition_implILS5_5ELb0ES3_mN6hipcub16HIPCUB_304000_NS21CountingInputIteratorIllEEPS6_NSA_22TransformInputIteratorIb7NonZeroIaEPalEENS0_5tupleIJPlS6_EEENSJ_IJSD_SD_EEES6_SK_JS6_EEE10hipError_tPvRmT3_T4_T5_T6_T7_T9_mT8_P12ihipStream_tbDpT10_ENKUlT_T0_E_clISt17integral_constantIbLb1EES16_EEDaS11_S12_EUlS11_E_NS1_11comp_targetILNS1_3genE10ELNS1_11target_archE1200ELNS1_3gpuE4ELNS1_3repE0EEENS1_30default_config_static_selectorELNS0_4arch9wavefront6targetE1EEEvT1_.uses_vcc, 0
	.set _ZN7rocprim17ROCPRIM_400000_NS6detail17trampoline_kernelINS0_14default_configENS1_25partition_config_selectorILNS1_17partition_subalgoE5ElNS0_10empty_typeEbEEZZNS1_14partition_implILS5_5ELb0ES3_mN6hipcub16HIPCUB_304000_NS21CountingInputIteratorIllEEPS6_NSA_22TransformInputIteratorIb7NonZeroIaEPalEENS0_5tupleIJPlS6_EEENSJ_IJSD_SD_EEES6_SK_JS6_EEE10hipError_tPvRmT3_T4_T5_T6_T7_T9_mT8_P12ihipStream_tbDpT10_ENKUlT_T0_E_clISt17integral_constantIbLb1EES16_EEDaS11_S12_EUlS11_E_NS1_11comp_targetILNS1_3genE10ELNS1_11target_archE1200ELNS1_3gpuE4ELNS1_3repE0EEENS1_30default_config_static_selectorELNS0_4arch9wavefront6targetE1EEEvT1_.uses_flat_scratch, 0
	.set _ZN7rocprim17ROCPRIM_400000_NS6detail17trampoline_kernelINS0_14default_configENS1_25partition_config_selectorILNS1_17partition_subalgoE5ElNS0_10empty_typeEbEEZZNS1_14partition_implILS5_5ELb0ES3_mN6hipcub16HIPCUB_304000_NS21CountingInputIteratorIllEEPS6_NSA_22TransformInputIteratorIb7NonZeroIaEPalEENS0_5tupleIJPlS6_EEENSJ_IJSD_SD_EEES6_SK_JS6_EEE10hipError_tPvRmT3_T4_T5_T6_T7_T9_mT8_P12ihipStream_tbDpT10_ENKUlT_T0_E_clISt17integral_constantIbLb1EES16_EEDaS11_S12_EUlS11_E_NS1_11comp_targetILNS1_3genE10ELNS1_11target_archE1200ELNS1_3gpuE4ELNS1_3repE0EEENS1_30default_config_static_selectorELNS0_4arch9wavefront6targetE1EEEvT1_.has_dyn_sized_stack, 0
	.set _ZN7rocprim17ROCPRIM_400000_NS6detail17trampoline_kernelINS0_14default_configENS1_25partition_config_selectorILNS1_17partition_subalgoE5ElNS0_10empty_typeEbEEZZNS1_14partition_implILS5_5ELb0ES3_mN6hipcub16HIPCUB_304000_NS21CountingInputIteratorIllEEPS6_NSA_22TransformInputIteratorIb7NonZeroIaEPalEENS0_5tupleIJPlS6_EEENSJ_IJSD_SD_EEES6_SK_JS6_EEE10hipError_tPvRmT3_T4_T5_T6_T7_T9_mT8_P12ihipStream_tbDpT10_ENKUlT_T0_E_clISt17integral_constantIbLb1EES16_EEDaS11_S12_EUlS11_E_NS1_11comp_targetILNS1_3genE10ELNS1_11target_archE1200ELNS1_3gpuE4ELNS1_3repE0EEENS1_30default_config_static_selectorELNS0_4arch9wavefront6targetE1EEEvT1_.has_recursion, 0
	.set _ZN7rocprim17ROCPRIM_400000_NS6detail17trampoline_kernelINS0_14default_configENS1_25partition_config_selectorILNS1_17partition_subalgoE5ElNS0_10empty_typeEbEEZZNS1_14partition_implILS5_5ELb0ES3_mN6hipcub16HIPCUB_304000_NS21CountingInputIteratorIllEEPS6_NSA_22TransformInputIteratorIb7NonZeroIaEPalEENS0_5tupleIJPlS6_EEENSJ_IJSD_SD_EEES6_SK_JS6_EEE10hipError_tPvRmT3_T4_T5_T6_T7_T9_mT8_P12ihipStream_tbDpT10_ENKUlT_T0_E_clISt17integral_constantIbLb1EES16_EEDaS11_S12_EUlS11_E_NS1_11comp_targetILNS1_3genE10ELNS1_11target_archE1200ELNS1_3gpuE4ELNS1_3repE0EEENS1_30default_config_static_selectorELNS0_4arch9wavefront6targetE1EEEvT1_.has_indirect_call, 0
	.section	.AMDGPU.csdata,"",@progbits
; Kernel info:
; codeLenInByte = 0
; TotalNumSgprs: 4
; NumVgprs: 0
; ScratchSize: 0
; MemoryBound: 0
; FloatMode: 240
; IeeeMode: 1
; LDSByteSize: 0 bytes/workgroup (compile time only)
; SGPRBlocks: 0
; VGPRBlocks: 0
; NumSGPRsForWavesPerEU: 4
; NumVGPRsForWavesPerEU: 1
; Occupancy: 10
; WaveLimiterHint : 0
; COMPUTE_PGM_RSRC2:SCRATCH_EN: 0
; COMPUTE_PGM_RSRC2:USER_SGPR: 6
; COMPUTE_PGM_RSRC2:TRAP_HANDLER: 0
; COMPUTE_PGM_RSRC2:TGID_X_EN: 1
; COMPUTE_PGM_RSRC2:TGID_Y_EN: 0
; COMPUTE_PGM_RSRC2:TGID_Z_EN: 0
; COMPUTE_PGM_RSRC2:TIDIG_COMP_CNT: 0
	.section	.text._ZN7rocprim17ROCPRIM_400000_NS6detail17trampoline_kernelINS0_14default_configENS1_25partition_config_selectorILNS1_17partition_subalgoE5ElNS0_10empty_typeEbEEZZNS1_14partition_implILS5_5ELb0ES3_mN6hipcub16HIPCUB_304000_NS21CountingInputIteratorIllEEPS6_NSA_22TransformInputIteratorIb7NonZeroIaEPalEENS0_5tupleIJPlS6_EEENSJ_IJSD_SD_EEES6_SK_JS6_EEE10hipError_tPvRmT3_T4_T5_T6_T7_T9_mT8_P12ihipStream_tbDpT10_ENKUlT_T0_E_clISt17integral_constantIbLb1EES16_EEDaS11_S12_EUlS11_E_NS1_11comp_targetILNS1_3genE9ELNS1_11target_archE1100ELNS1_3gpuE3ELNS1_3repE0EEENS1_30default_config_static_selectorELNS0_4arch9wavefront6targetE1EEEvT1_,"axG",@progbits,_ZN7rocprim17ROCPRIM_400000_NS6detail17trampoline_kernelINS0_14default_configENS1_25partition_config_selectorILNS1_17partition_subalgoE5ElNS0_10empty_typeEbEEZZNS1_14partition_implILS5_5ELb0ES3_mN6hipcub16HIPCUB_304000_NS21CountingInputIteratorIllEEPS6_NSA_22TransformInputIteratorIb7NonZeroIaEPalEENS0_5tupleIJPlS6_EEENSJ_IJSD_SD_EEES6_SK_JS6_EEE10hipError_tPvRmT3_T4_T5_T6_T7_T9_mT8_P12ihipStream_tbDpT10_ENKUlT_T0_E_clISt17integral_constantIbLb1EES16_EEDaS11_S12_EUlS11_E_NS1_11comp_targetILNS1_3genE9ELNS1_11target_archE1100ELNS1_3gpuE3ELNS1_3repE0EEENS1_30default_config_static_selectorELNS0_4arch9wavefront6targetE1EEEvT1_,comdat
	.protected	_ZN7rocprim17ROCPRIM_400000_NS6detail17trampoline_kernelINS0_14default_configENS1_25partition_config_selectorILNS1_17partition_subalgoE5ElNS0_10empty_typeEbEEZZNS1_14partition_implILS5_5ELb0ES3_mN6hipcub16HIPCUB_304000_NS21CountingInputIteratorIllEEPS6_NSA_22TransformInputIteratorIb7NonZeroIaEPalEENS0_5tupleIJPlS6_EEENSJ_IJSD_SD_EEES6_SK_JS6_EEE10hipError_tPvRmT3_T4_T5_T6_T7_T9_mT8_P12ihipStream_tbDpT10_ENKUlT_T0_E_clISt17integral_constantIbLb1EES16_EEDaS11_S12_EUlS11_E_NS1_11comp_targetILNS1_3genE9ELNS1_11target_archE1100ELNS1_3gpuE3ELNS1_3repE0EEENS1_30default_config_static_selectorELNS0_4arch9wavefront6targetE1EEEvT1_ ; -- Begin function _ZN7rocprim17ROCPRIM_400000_NS6detail17trampoline_kernelINS0_14default_configENS1_25partition_config_selectorILNS1_17partition_subalgoE5ElNS0_10empty_typeEbEEZZNS1_14partition_implILS5_5ELb0ES3_mN6hipcub16HIPCUB_304000_NS21CountingInputIteratorIllEEPS6_NSA_22TransformInputIteratorIb7NonZeroIaEPalEENS0_5tupleIJPlS6_EEENSJ_IJSD_SD_EEES6_SK_JS6_EEE10hipError_tPvRmT3_T4_T5_T6_T7_T9_mT8_P12ihipStream_tbDpT10_ENKUlT_T0_E_clISt17integral_constantIbLb1EES16_EEDaS11_S12_EUlS11_E_NS1_11comp_targetILNS1_3genE9ELNS1_11target_archE1100ELNS1_3gpuE3ELNS1_3repE0EEENS1_30default_config_static_selectorELNS0_4arch9wavefront6targetE1EEEvT1_
	.globl	_ZN7rocprim17ROCPRIM_400000_NS6detail17trampoline_kernelINS0_14default_configENS1_25partition_config_selectorILNS1_17partition_subalgoE5ElNS0_10empty_typeEbEEZZNS1_14partition_implILS5_5ELb0ES3_mN6hipcub16HIPCUB_304000_NS21CountingInputIteratorIllEEPS6_NSA_22TransformInputIteratorIb7NonZeroIaEPalEENS0_5tupleIJPlS6_EEENSJ_IJSD_SD_EEES6_SK_JS6_EEE10hipError_tPvRmT3_T4_T5_T6_T7_T9_mT8_P12ihipStream_tbDpT10_ENKUlT_T0_E_clISt17integral_constantIbLb1EES16_EEDaS11_S12_EUlS11_E_NS1_11comp_targetILNS1_3genE9ELNS1_11target_archE1100ELNS1_3gpuE3ELNS1_3repE0EEENS1_30default_config_static_selectorELNS0_4arch9wavefront6targetE1EEEvT1_
	.p2align	8
	.type	_ZN7rocprim17ROCPRIM_400000_NS6detail17trampoline_kernelINS0_14default_configENS1_25partition_config_selectorILNS1_17partition_subalgoE5ElNS0_10empty_typeEbEEZZNS1_14partition_implILS5_5ELb0ES3_mN6hipcub16HIPCUB_304000_NS21CountingInputIteratorIllEEPS6_NSA_22TransformInputIteratorIb7NonZeroIaEPalEENS0_5tupleIJPlS6_EEENSJ_IJSD_SD_EEES6_SK_JS6_EEE10hipError_tPvRmT3_T4_T5_T6_T7_T9_mT8_P12ihipStream_tbDpT10_ENKUlT_T0_E_clISt17integral_constantIbLb1EES16_EEDaS11_S12_EUlS11_E_NS1_11comp_targetILNS1_3genE9ELNS1_11target_archE1100ELNS1_3gpuE3ELNS1_3repE0EEENS1_30default_config_static_selectorELNS0_4arch9wavefront6targetE1EEEvT1_,@function
_ZN7rocprim17ROCPRIM_400000_NS6detail17trampoline_kernelINS0_14default_configENS1_25partition_config_selectorILNS1_17partition_subalgoE5ElNS0_10empty_typeEbEEZZNS1_14partition_implILS5_5ELb0ES3_mN6hipcub16HIPCUB_304000_NS21CountingInputIteratorIllEEPS6_NSA_22TransformInputIteratorIb7NonZeroIaEPalEENS0_5tupleIJPlS6_EEENSJ_IJSD_SD_EEES6_SK_JS6_EEE10hipError_tPvRmT3_T4_T5_T6_T7_T9_mT8_P12ihipStream_tbDpT10_ENKUlT_T0_E_clISt17integral_constantIbLb1EES16_EEDaS11_S12_EUlS11_E_NS1_11comp_targetILNS1_3genE9ELNS1_11target_archE1100ELNS1_3gpuE3ELNS1_3repE0EEENS1_30default_config_static_selectorELNS0_4arch9wavefront6targetE1EEEvT1_: ; @_ZN7rocprim17ROCPRIM_400000_NS6detail17trampoline_kernelINS0_14default_configENS1_25partition_config_selectorILNS1_17partition_subalgoE5ElNS0_10empty_typeEbEEZZNS1_14partition_implILS5_5ELb0ES3_mN6hipcub16HIPCUB_304000_NS21CountingInputIteratorIllEEPS6_NSA_22TransformInputIteratorIb7NonZeroIaEPalEENS0_5tupleIJPlS6_EEENSJ_IJSD_SD_EEES6_SK_JS6_EEE10hipError_tPvRmT3_T4_T5_T6_T7_T9_mT8_P12ihipStream_tbDpT10_ENKUlT_T0_E_clISt17integral_constantIbLb1EES16_EEDaS11_S12_EUlS11_E_NS1_11comp_targetILNS1_3genE9ELNS1_11target_archE1100ELNS1_3gpuE3ELNS1_3repE0EEENS1_30default_config_static_selectorELNS0_4arch9wavefront6targetE1EEEvT1_
; %bb.0:
	.section	.rodata,"a",@progbits
	.p2align	6, 0x0
	.amdhsa_kernel _ZN7rocprim17ROCPRIM_400000_NS6detail17trampoline_kernelINS0_14default_configENS1_25partition_config_selectorILNS1_17partition_subalgoE5ElNS0_10empty_typeEbEEZZNS1_14partition_implILS5_5ELb0ES3_mN6hipcub16HIPCUB_304000_NS21CountingInputIteratorIllEEPS6_NSA_22TransformInputIteratorIb7NonZeroIaEPalEENS0_5tupleIJPlS6_EEENSJ_IJSD_SD_EEES6_SK_JS6_EEE10hipError_tPvRmT3_T4_T5_T6_T7_T9_mT8_P12ihipStream_tbDpT10_ENKUlT_T0_E_clISt17integral_constantIbLb1EES16_EEDaS11_S12_EUlS11_E_NS1_11comp_targetILNS1_3genE9ELNS1_11target_archE1100ELNS1_3gpuE3ELNS1_3repE0EEENS1_30default_config_static_selectorELNS0_4arch9wavefront6targetE1EEEvT1_
		.amdhsa_group_segment_fixed_size 0
		.amdhsa_private_segment_fixed_size 0
		.amdhsa_kernarg_size 136
		.amdhsa_user_sgpr_count 6
		.amdhsa_user_sgpr_private_segment_buffer 1
		.amdhsa_user_sgpr_dispatch_ptr 0
		.amdhsa_user_sgpr_queue_ptr 0
		.amdhsa_user_sgpr_kernarg_segment_ptr 1
		.amdhsa_user_sgpr_dispatch_id 0
		.amdhsa_user_sgpr_flat_scratch_init 0
		.amdhsa_user_sgpr_private_segment_size 0
		.amdhsa_uses_dynamic_stack 0
		.amdhsa_system_sgpr_private_segment_wavefront_offset 0
		.amdhsa_system_sgpr_workgroup_id_x 1
		.amdhsa_system_sgpr_workgroup_id_y 0
		.amdhsa_system_sgpr_workgroup_id_z 0
		.amdhsa_system_sgpr_workgroup_info 0
		.amdhsa_system_vgpr_workitem_id 0
		.amdhsa_next_free_vgpr 1
		.amdhsa_next_free_sgpr 0
		.amdhsa_reserve_vcc 0
		.amdhsa_reserve_flat_scratch 0
		.amdhsa_float_round_mode_32 0
		.amdhsa_float_round_mode_16_64 0
		.amdhsa_float_denorm_mode_32 3
		.amdhsa_float_denorm_mode_16_64 3
		.amdhsa_dx10_clamp 1
		.amdhsa_ieee_mode 1
		.amdhsa_fp16_overflow 0
		.amdhsa_exception_fp_ieee_invalid_op 0
		.amdhsa_exception_fp_denorm_src 0
		.amdhsa_exception_fp_ieee_div_zero 0
		.amdhsa_exception_fp_ieee_overflow 0
		.amdhsa_exception_fp_ieee_underflow 0
		.amdhsa_exception_fp_ieee_inexact 0
		.amdhsa_exception_int_div_zero 0
	.end_amdhsa_kernel
	.section	.text._ZN7rocprim17ROCPRIM_400000_NS6detail17trampoline_kernelINS0_14default_configENS1_25partition_config_selectorILNS1_17partition_subalgoE5ElNS0_10empty_typeEbEEZZNS1_14partition_implILS5_5ELb0ES3_mN6hipcub16HIPCUB_304000_NS21CountingInputIteratorIllEEPS6_NSA_22TransformInputIteratorIb7NonZeroIaEPalEENS0_5tupleIJPlS6_EEENSJ_IJSD_SD_EEES6_SK_JS6_EEE10hipError_tPvRmT3_T4_T5_T6_T7_T9_mT8_P12ihipStream_tbDpT10_ENKUlT_T0_E_clISt17integral_constantIbLb1EES16_EEDaS11_S12_EUlS11_E_NS1_11comp_targetILNS1_3genE9ELNS1_11target_archE1100ELNS1_3gpuE3ELNS1_3repE0EEENS1_30default_config_static_selectorELNS0_4arch9wavefront6targetE1EEEvT1_,"axG",@progbits,_ZN7rocprim17ROCPRIM_400000_NS6detail17trampoline_kernelINS0_14default_configENS1_25partition_config_selectorILNS1_17partition_subalgoE5ElNS0_10empty_typeEbEEZZNS1_14partition_implILS5_5ELb0ES3_mN6hipcub16HIPCUB_304000_NS21CountingInputIteratorIllEEPS6_NSA_22TransformInputIteratorIb7NonZeroIaEPalEENS0_5tupleIJPlS6_EEENSJ_IJSD_SD_EEES6_SK_JS6_EEE10hipError_tPvRmT3_T4_T5_T6_T7_T9_mT8_P12ihipStream_tbDpT10_ENKUlT_T0_E_clISt17integral_constantIbLb1EES16_EEDaS11_S12_EUlS11_E_NS1_11comp_targetILNS1_3genE9ELNS1_11target_archE1100ELNS1_3gpuE3ELNS1_3repE0EEENS1_30default_config_static_selectorELNS0_4arch9wavefront6targetE1EEEvT1_,comdat
.Lfunc_end60:
	.size	_ZN7rocprim17ROCPRIM_400000_NS6detail17trampoline_kernelINS0_14default_configENS1_25partition_config_selectorILNS1_17partition_subalgoE5ElNS0_10empty_typeEbEEZZNS1_14partition_implILS5_5ELb0ES3_mN6hipcub16HIPCUB_304000_NS21CountingInputIteratorIllEEPS6_NSA_22TransformInputIteratorIb7NonZeroIaEPalEENS0_5tupleIJPlS6_EEENSJ_IJSD_SD_EEES6_SK_JS6_EEE10hipError_tPvRmT3_T4_T5_T6_T7_T9_mT8_P12ihipStream_tbDpT10_ENKUlT_T0_E_clISt17integral_constantIbLb1EES16_EEDaS11_S12_EUlS11_E_NS1_11comp_targetILNS1_3genE9ELNS1_11target_archE1100ELNS1_3gpuE3ELNS1_3repE0EEENS1_30default_config_static_selectorELNS0_4arch9wavefront6targetE1EEEvT1_, .Lfunc_end60-_ZN7rocprim17ROCPRIM_400000_NS6detail17trampoline_kernelINS0_14default_configENS1_25partition_config_selectorILNS1_17partition_subalgoE5ElNS0_10empty_typeEbEEZZNS1_14partition_implILS5_5ELb0ES3_mN6hipcub16HIPCUB_304000_NS21CountingInputIteratorIllEEPS6_NSA_22TransformInputIteratorIb7NonZeroIaEPalEENS0_5tupleIJPlS6_EEENSJ_IJSD_SD_EEES6_SK_JS6_EEE10hipError_tPvRmT3_T4_T5_T6_T7_T9_mT8_P12ihipStream_tbDpT10_ENKUlT_T0_E_clISt17integral_constantIbLb1EES16_EEDaS11_S12_EUlS11_E_NS1_11comp_targetILNS1_3genE9ELNS1_11target_archE1100ELNS1_3gpuE3ELNS1_3repE0EEENS1_30default_config_static_selectorELNS0_4arch9wavefront6targetE1EEEvT1_
                                        ; -- End function
	.set _ZN7rocprim17ROCPRIM_400000_NS6detail17trampoline_kernelINS0_14default_configENS1_25partition_config_selectorILNS1_17partition_subalgoE5ElNS0_10empty_typeEbEEZZNS1_14partition_implILS5_5ELb0ES3_mN6hipcub16HIPCUB_304000_NS21CountingInputIteratorIllEEPS6_NSA_22TransformInputIteratorIb7NonZeroIaEPalEENS0_5tupleIJPlS6_EEENSJ_IJSD_SD_EEES6_SK_JS6_EEE10hipError_tPvRmT3_T4_T5_T6_T7_T9_mT8_P12ihipStream_tbDpT10_ENKUlT_T0_E_clISt17integral_constantIbLb1EES16_EEDaS11_S12_EUlS11_E_NS1_11comp_targetILNS1_3genE9ELNS1_11target_archE1100ELNS1_3gpuE3ELNS1_3repE0EEENS1_30default_config_static_selectorELNS0_4arch9wavefront6targetE1EEEvT1_.num_vgpr, 0
	.set _ZN7rocprim17ROCPRIM_400000_NS6detail17trampoline_kernelINS0_14default_configENS1_25partition_config_selectorILNS1_17partition_subalgoE5ElNS0_10empty_typeEbEEZZNS1_14partition_implILS5_5ELb0ES3_mN6hipcub16HIPCUB_304000_NS21CountingInputIteratorIllEEPS6_NSA_22TransformInputIteratorIb7NonZeroIaEPalEENS0_5tupleIJPlS6_EEENSJ_IJSD_SD_EEES6_SK_JS6_EEE10hipError_tPvRmT3_T4_T5_T6_T7_T9_mT8_P12ihipStream_tbDpT10_ENKUlT_T0_E_clISt17integral_constantIbLb1EES16_EEDaS11_S12_EUlS11_E_NS1_11comp_targetILNS1_3genE9ELNS1_11target_archE1100ELNS1_3gpuE3ELNS1_3repE0EEENS1_30default_config_static_selectorELNS0_4arch9wavefront6targetE1EEEvT1_.num_agpr, 0
	.set _ZN7rocprim17ROCPRIM_400000_NS6detail17trampoline_kernelINS0_14default_configENS1_25partition_config_selectorILNS1_17partition_subalgoE5ElNS0_10empty_typeEbEEZZNS1_14partition_implILS5_5ELb0ES3_mN6hipcub16HIPCUB_304000_NS21CountingInputIteratorIllEEPS6_NSA_22TransformInputIteratorIb7NonZeroIaEPalEENS0_5tupleIJPlS6_EEENSJ_IJSD_SD_EEES6_SK_JS6_EEE10hipError_tPvRmT3_T4_T5_T6_T7_T9_mT8_P12ihipStream_tbDpT10_ENKUlT_T0_E_clISt17integral_constantIbLb1EES16_EEDaS11_S12_EUlS11_E_NS1_11comp_targetILNS1_3genE9ELNS1_11target_archE1100ELNS1_3gpuE3ELNS1_3repE0EEENS1_30default_config_static_selectorELNS0_4arch9wavefront6targetE1EEEvT1_.numbered_sgpr, 0
	.set _ZN7rocprim17ROCPRIM_400000_NS6detail17trampoline_kernelINS0_14default_configENS1_25partition_config_selectorILNS1_17partition_subalgoE5ElNS0_10empty_typeEbEEZZNS1_14partition_implILS5_5ELb0ES3_mN6hipcub16HIPCUB_304000_NS21CountingInputIteratorIllEEPS6_NSA_22TransformInputIteratorIb7NonZeroIaEPalEENS0_5tupleIJPlS6_EEENSJ_IJSD_SD_EEES6_SK_JS6_EEE10hipError_tPvRmT3_T4_T5_T6_T7_T9_mT8_P12ihipStream_tbDpT10_ENKUlT_T0_E_clISt17integral_constantIbLb1EES16_EEDaS11_S12_EUlS11_E_NS1_11comp_targetILNS1_3genE9ELNS1_11target_archE1100ELNS1_3gpuE3ELNS1_3repE0EEENS1_30default_config_static_selectorELNS0_4arch9wavefront6targetE1EEEvT1_.num_named_barrier, 0
	.set _ZN7rocprim17ROCPRIM_400000_NS6detail17trampoline_kernelINS0_14default_configENS1_25partition_config_selectorILNS1_17partition_subalgoE5ElNS0_10empty_typeEbEEZZNS1_14partition_implILS5_5ELb0ES3_mN6hipcub16HIPCUB_304000_NS21CountingInputIteratorIllEEPS6_NSA_22TransformInputIteratorIb7NonZeroIaEPalEENS0_5tupleIJPlS6_EEENSJ_IJSD_SD_EEES6_SK_JS6_EEE10hipError_tPvRmT3_T4_T5_T6_T7_T9_mT8_P12ihipStream_tbDpT10_ENKUlT_T0_E_clISt17integral_constantIbLb1EES16_EEDaS11_S12_EUlS11_E_NS1_11comp_targetILNS1_3genE9ELNS1_11target_archE1100ELNS1_3gpuE3ELNS1_3repE0EEENS1_30default_config_static_selectorELNS0_4arch9wavefront6targetE1EEEvT1_.private_seg_size, 0
	.set _ZN7rocprim17ROCPRIM_400000_NS6detail17trampoline_kernelINS0_14default_configENS1_25partition_config_selectorILNS1_17partition_subalgoE5ElNS0_10empty_typeEbEEZZNS1_14partition_implILS5_5ELb0ES3_mN6hipcub16HIPCUB_304000_NS21CountingInputIteratorIllEEPS6_NSA_22TransformInputIteratorIb7NonZeroIaEPalEENS0_5tupleIJPlS6_EEENSJ_IJSD_SD_EEES6_SK_JS6_EEE10hipError_tPvRmT3_T4_T5_T6_T7_T9_mT8_P12ihipStream_tbDpT10_ENKUlT_T0_E_clISt17integral_constantIbLb1EES16_EEDaS11_S12_EUlS11_E_NS1_11comp_targetILNS1_3genE9ELNS1_11target_archE1100ELNS1_3gpuE3ELNS1_3repE0EEENS1_30default_config_static_selectorELNS0_4arch9wavefront6targetE1EEEvT1_.uses_vcc, 0
	.set _ZN7rocprim17ROCPRIM_400000_NS6detail17trampoline_kernelINS0_14default_configENS1_25partition_config_selectorILNS1_17partition_subalgoE5ElNS0_10empty_typeEbEEZZNS1_14partition_implILS5_5ELb0ES3_mN6hipcub16HIPCUB_304000_NS21CountingInputIteratorIllEEPS6_NSA_22TransformInputIteratorIb7NonZeroIaEPalEENS0_5tupleIJPlS6_EEENSJ_IJSD_SD_EEES6_SK_JS6_EEE10hipError_tPvRmT3_T4_T5_T6_T7_T9_mT8_P12ihipStream_tbDpT10_ENKUlT_T0_E_clISt17integral_constantIbLb1EES16_EEDaS11_S12_EUlS11_E_NS1_11comp_targetILNS1_3genE9ELNS1_11target_archE1100ELNS1_3gpuE3ELNS1_3repE0EEENS1_30default_config_static_selectorELNS0_4arch9wavefront6targetE1EEEvT1_.uses_flat_scratch, 0
	.set _ZN7rocprim17ROCPRIM_400000_NS6detail17trampoline_kernelINS0_14default_configENS1_25partition_config_selectorILNS1_17partition_subalgoE5ElNS0_10empty_typeEbEEZZNS1_14partition_implILS5_5ELb0ES3_mN6hipcub16HIPCUB_304000_NS21CountingInputIteratorIllEEPS6_NSA_22TransformInputIteratorIb7NonZeroIaEPalEENS0_5tupleIJPlS6_EEENSJ_IJSD_SD_EEES6_SK_JS6_EEE10hipError_tPvRmT3_T4_T5_T6_T7_T9_mT8_P12ihipStream_tbDpT10_ENKUlT_T0_E_clISt17integral_constantIbLb1EES16_EEDaS11_S12_EUlS11_E_NS1_11comp_targetILNS1_3genE9ELNS1_11target_archE1100ELNS1_3gpuE3ELNS1_3repE0EEENS1_30default_config_static_selectorELNS0_4arch9wavefront6targetE1EEEvT1_.has_dyn_sized_stack, 0
	.set _ZN7rocprim17ROCPRIM_400000_NS6detail17trampoline_kernelINS0_14default_configENS1_25partition_config_selectorILNS1_17partition_subalgoE5ElNS0_10empty_typeEbEEZZNS1_14partition_implILS5_5ELb0ES3_mN6hipcub16HIPCUB_304000_NS21CountingInputIteratorIllEEPS6_NSA_22TransformInputIteratorIb7NonZeroIaEPalEENS0_5tupleIJPlS6_EEENSJ_IJSD_SD_EEES6_SK_JS6_EEE10hipError_tPvRmT3_T4_T5_T6_T7_T9_mT8_P12ihipStream_tbDpT10_ENKUlT_T0_E_clISt17integral_constantIbLb1EES16_EEDaS11_S12_EUlS11_E_NS1_11comp_targetILNS1_3genE9ELNS1_11target_archE1100ELNS1_3gpuE3ELNS1_3repE0EEENS1_30default_config_static_selectorELNS0_4arch9wavefront6targetE1EEEvT1_.has_recursion, 0
	.set _ZN7rocprim17ROCPRIM_400000_NS6detail17trampoline_kernelINS0_14default_configENS1_25partition_config_selectorILNS1_17partition_subalgoE5ElNS0_10empty_typeEbEEZZNS1_14partition_implILS5_5ELb0ES3_mN6hipcub16HIPCUB_304000_NS21CountingInputIteratorIllEEPS6_NSA_22TransformInputIteratorIb7NonZeroIaEPalEENS0_5tupleIJPlS6_EEENSJ_IJSD_SD_EEES6_SK_JS6_EEE10hipError_tPvRmT3_T4_T5_T6_T7_T9_mT8_P12ihipStream_tbDpT10_ENKUlT_T0_E_clISt17integral_constantIbLb1EES16_EEDaS11_S12_EUlS11_E_NS1_11comp_targetILNS1_3genE9ELNS1_11target_archE1100ELNS1_3gpuE3ELNS1_3repE0EEENS1_30default_config_static_selectorELNS0_4arch9wavefront6targetE1EEEvT1_.has_indirect_call, 0
	.section	.AMDGPU.csdata,"",@progbits
; Kernel info:
; codeLenInByte = 0
; TotalNumSgprs: 4
; NumVgprs: 0
; ScratchSize: 0
; MemoryBound: 0
; FloatMode: 240
; IeeeMode: 1
; LDSByteSize: 0 bytes/workgroup (compile time only)
; SGPRBlocks: 0
; VGPRBlocks: 0
; NumSGPRsForWavesPerEU: 4
; NumVGPRsForWavesPerEU: 1
; Occupancy: 10
; WaveLimiterHint : 0
; COMPUTE_PGM_RSRC2:SCRATCH_EN: 0
; COMPUTE_PGM_RSRC2:USER_SGPR: 6
; COMPUTE_PGM_RSRC2:TRAP_HANDLER: 0
; COMPUTE_PGM_RSRC2:TGID_X_EN: 1
; COMPUTE_PGM_RSRC2:TGID_Y_EN: 0
; COMPUTE_PGM_RSRC2:TGID_Z_EN: 0
; COMPUTE_PGM_RSRC2:TIDIG_COMP_CNT: 0
	.section	.text._ZN7rocprim17ROCPRIM_400000_NS6detail17trampoline_kernelINS0_14default_configENS1_25partition_config_selectorILNS1_17partition_subalgoE5ElNS0_10empty_typeEbEEZZNS1_14partition_implILS5_5ELb0ES3_mN6hipcub16HIPCUB_304000_NS21CountingInputIteratorIllEEPS6_NSA_22TransformInputIteratorIb7NonZeroIaEPalEENS0_5tupleIJPlS6_EEENSJ_IJSD_SD_EEES6_SK_JS6_EEE10hipError_tPvRmT3_T4_T5_T6_T7_T9_mT8_P12ihipStream_tbDpT10_ENKUlT_T0_E_clISt17integral_constantIbLb1EES16_EEDaS11_S12_EUlS11_E_NS1_11comp_targetILNS1_3genE8ELNS1_11target_archE1030ELNS1_3gpuE2ELNS1_3repE0EEENS1_30default_config_static_selectorELNS0_4arch9wavefront6targetE1EEEvT1_,"axG",@progbits,_ZN7rocprim17ROCPRIM_400000_NS6detail17trampoline_kernelINS0_14default_configENS1_25partition_config_selectorILNS1_17partition_subalgoE5ElNS0_10empty_typeEbEEZZNS1_14partition_implILS5_5ELb0ES3_mN6hipcub16HIPCUB_304000_NS21CountingInputIteratorIllEEPS6_NSA_22TransformInputIteratorIb7NonZeroIaEPalEENS0_5tupleIJPlS6_EEENSJ_IJSD_SD_EEES6_SK_JS6_EEE10hipError_tPvRmT3_T4_T5_T6_T7_T9_mT8_P12ihipStream_tbDpT10_ENKUlT_T0_E_clISt17integral_constantIbLb1EES16_EEDaS11_S12_EUlS11_E_NS1_11comp_targetILNS1_3genE8ELNS1_11target_archE1030ELNS1_3gpuE2ELNS1_3repE0EEENS1_30default_config_static_selectorELNS0_4arch9wavefront6targetE1EEEvT1_,comdat
	.protected	_ZN7rocprim17ROCPRIM_400000_NS6detail17trampoline_kernelINS0_14default_configENS1_25partition_config_selectorILNS1_17partition_subalgoE5ElNS0_10empty_typeEbEEZZNS1_14partition_implILS5_5ELb0ES3_mN6hipcub16HIPCUB_304000_NS21CountingInputIteratorIllEEPS6_NSA_22TransformInputIteratorIb7NonZeroIaEPalEENS0_5tupleIJPlS6_EEENSJ_IJSD_SD_EEES6_SK_JS6_EEE10hipError_tPvRmT3_T4_T5_T6_T7_T9_mT8_P12ihipStream_tbDpT10_ENKUlT_T0_E_clISt17integral_constantIbLb1EES16_EEDaS11_S12_EUlS11_E_NS1_11comp_targetILNS1_3genE8ELNS1_11target_archE1030ELNS1_3gpuE2ELNS1_3repE0EEENS1_30default_config_static_selectorELNS0_4arch9wavefront6targetE1EEEvT1_ ; -- Begin function _ZN7rocprim17ROCPRIM_400000_NS6detail17trampoline_kernelINS0_14default_configENS1_25partition_config_selectorILNS1_17partition_subalgoE5ElNS0_10empty_typeEbEEZZNS1_14partition_implILS5_5ELb0ES3_mN6hipcub16HIPCUB_304000_NS21CountingInputIteratorIllEEPS6_NSA_22TransformInputIteratorIb7NonZeroIaEPalEENS0_5tupleIJPlS6_EEENSJ_IJSD_SD_EEES6_SK_JS6_EEE10hipError_tPvRmT3_T4_T5_T6_T7_T9_mT8_P12ihipStream_tbDpT10_ENKUlT_T0_E_clISt17integral_constantIbLb1EES16_EEDaS11_S12_EUlS11_E_NS1_11comp_targetILNS1_3genE8ELNS1_11target_archE1030ELNS1_3gpuE2ELNS1_3repE0EEENS1_30default_config_static_selectorELNS0_4arch9wavefront6targetE1EEEvT1_
	.globl	_ZN7rocprim17ROCPRIM_400000_NS6detail17trampoline_kernelINS0_14default_configENS1_25partition_config_selectorILNS1_17partition_subalgoE5ElNS0_10empty_typeEbEEZZNS1_14partition_implILS5_5ELb0ES3_mN6hipcub16HIPCUB_304000_NS21CountingInputIteratorIllEEPS6_NSA_22TransformInputIteratorIb7NonZeroIaEPalEENS0_5tupleIJPlS6_EEENSJ_IJSD_SD_EEES6_SK_JS6_EEE10hipError_tPvRmT3_T4_T5_T6_T7_T9_mT8_P12ihipStream_tbDpT10_ENKUlT_T0_E_clISt17integral_constantIbLb1EES16_EEDaS11_S12_EUlS11_E_NS1_11comp_targetILNS1_3genE8ELNS1_11target_archE1030ELNS1_3gpuE2ELNS1_3repE0EEENS1_30default_config_static_selectorELNS0_4arch9wavefront6targetE1EEEvT1_
	.p2align	8
	.type	_ZN7rocprim17ROCPRIM_400000_NS6detail17trampoline_kernelINS0_14default_configENS1_25partition_config_selectorILNS1_17partition_subalgoE5ElNS0_10empty_typeEbEEZZNS1_14partition_implILS5_5ELb0ES3_mN6hipcub16HIPCUB_304000_NS21CountingInputIteratorIllEEPS6_NSA_22TransformInputIteratorIb7NonZeroIaEPalEENS0_5tupleIJPlS6_EEENSJ_IJSD_SD_EEES6_SK_JS6_EEE10hipError_tPvRmT3_T4_T5_T6_T7_T9_mT8_P12ihipStream_tbDpT10_ENKUlT_T0_E_clISt17integral_constantIbLb1EES16_EEDaS11_S12_EUlS11_E_NS1_11comp_targetILNS1_3genE8ELNS1_11target_archE1030ELNS1_3gpuE2ELNS1_3repE0EEENS1_30default_config_static_selectorELNS0_4arch9wavefront6targetE1EEEvT1_,@function
_ZN7rocprim17ROCPRIM_400000_NS6detail17trampoline_kernelINS0_14default_configENS1_25partition_config_selectorILNS1_17partition_subalgoE5ElNS0_10empty_typeEbEEZZNS1_14partition_implILS5_5ELb0ES3_mN6hipcub16HIPCUB_304000_NS21CountingInputIteratorIllEEPS6_NSA_22TransformInputIteratorIb7NonZeroIaEPalEENS0_5tupleIJPlS6_EEENSJ_IJSD_SD_EEES6_SK_JS6_EEE10hipError_tPvRmT3_T4_T5_T6_T7_T9_mT8_P12ihipStream_tbDpT10_ENKUlT_T0_E_clISt17integral_constantIbLb1EES16_EEDaS11_S12_EUlS11_E_NS1_11comp_targetILNS1_3genE8ELNS1_11target_archE1030ELNS1_3gpuE2ELNS1_3repE0EEENS1_30default_config_static_selectorELNS0_4arch9wavefront6targetE1EEEvT1_: ; @_ZN7rocprim17ROCPRIM_400000_NS6detail17trampoline_kernelINS0_14default_configENS1_25partition_config_selectorILNS1_17partition_subalgoE5ElNS0_10empty_typeEbEEZZNS1_14partition_implILS5_5ELb0ES3_mN6hipcub16HIPCUB_304000_NS21CountingInputIteratorIllEEPS6_NSA_22TransformInputIteratorIb7NonZeroIaEPalEENS0_5tupleIJPlS6_EEENSJ_IJSD_SD_EEES6_SK_JS6_EEE10hipError_tPvRmT3_T4_T5_T6_T7_T9_mT8_P12ihipStream_tbDpT10_ENKUlT_T0_E_clISt17integral_constantIbLb1EES16_EEDaS11_S12_EUlS11_E_NS1_11comp_targetILNS1_3genE8ELNS1_11target_archE1030ELNS1_3gpuE2ELNS1_3repE0EEENS1_30default_config_static_selectorELNS0_4arch9wavefront6targetE1EEEvT1_
; %bb.0:
	.section	.rodata,"a",@progbits
	.p2align	6, 0x0
	.amdhsa_kernel _ZN7rocprim17ROCPRIM_400000_NS6detail17trampoline_kernelINS0_14default_configENS1_25partition_config_selectorILNS1_17partition_subalgoE5ElNS0_10empty_typeEbEEZZNS1_14partition_implILS5_5ELb0ES3_mN6hipcub16HIPCUB_304000_NS21CountingInputIteratorIllEEPS6_NSA_22TransformInputIteratorIb7NonZeroIaEPalEENS0_5tupleIJPlS6_EEENSJ_IJSD_SD_EEES6_SK_JS6_EEE10hipError_tPvRmT3_T4_T5_T6_T7_T9_mT8_P12ihipStream_tbDpT10_ENKUlT_T0_E_clISt17integral_constantIbLb1EES16_EEDaS11_S12_EUlS11_E_NS1_11comp_targetILNS1_3genE8ELNS1_11target_archE1030ELNS1_3gpuE2ELNS1_3repE0EEENS1_30default_config_static_selectorELNS0_4arch9wavefront6targetE1EEEvT1_
		.amdhsa_group_segment_fixed_size 0
		.amdhsa_private_segment_fixed_size 0
		.amdhsa_kernarg_size 136
		.amdhsa_user_sgpr_count 6
		.amdhsa_user_sgpr_private_segment_buffer 1
		.amdhsa_user_sgpr_dispatch_ptr 0
		.amdhsa_user_sgpr_queue_ptr 0
		.amdhsa_user_sgpr_kernarg_segment_ptr 1
		.amdhsa_user_sgpr_dispatch_id 0
		.amdhsa_user_sgpr_flat_scratch_init 0
		.amdhsa_user_sgpr_private_segment_size 0
		.amdhsa_uses_dynamic_stack 0
		.amdhsa_system_sgpr_private_segment_wavefront_offset 0
		.amdhsa_system_sgpr_workgroup_id_x 1
		.amdhsa_system_sgpr_workgroup_id_y 0
		.amdhsa_system_sgpr_workgroup_id_z 0
		.amdhsa_system_sgpr_workgroup_info 0
		.amdhsa_system_vgpr_workitem_id 0
		.amdhsa_next_free_vgpr 1
		.amdhsa_next_free_sgpr 0
		.amdhsa_reserve_vcc 0
		.amdhsa_reserve_flat_scratch 0
		.amdhsa_float_round_mode_32 0
		.amdhsa_float_round_mode_16_64 0
		.amdhsa_float_denorm_mode_32 3
		.amdhsa_float_denorm_mode_16_64 3
		.amdhsa_dx10_clamp 1
		.amdhsa_ieee_mode 1
		.amdhsa_fp16_overflow 0
		.amdhsa_exception_fp_ieee_invalid_op 0
		.amdhsa_exception_fp_denorm_src 0
		.amdhsa_exception_fp_ieee_div_zero 0
		.amdhsa_exception_fp_ieee_overflow 0
		.amdhsa_exception_fp_ieee_underflow 0
		.amdhsa_exception_fp_ieee_inexact 0
		.amdhsa_exception_int_div_zero 0
	.end_amdhsa_kernel
	.section	.text._ZN7rocprim17ROCPRIM_400000_NS6detail17trampoline_kernelINS0_14default_configENS1_25partition_config_selectorILNS1_17partition_subalgoE5ElNS0_10empty_typeEbEEZZNS1_14partition_implILS5_5ELb0ES3_mN6hipcub16HIPCUB_304000_NS21CountingInputIteratorIllEEPS6_NSA_22TransformInputIteratorIb7NonZeroIaEPalEENS0_5tupleIJPlS6_EEENSJ_IJSD_SD_EEES6_SK_JS6_EEE10hipError_tPvRmT3_T4_T5_T6_T7_T9_mT8_P12ihipStream_tbDpT10_ENKUlT_T0_E_clISt17integral_constantIbLb1EES16_EEDaS11_S12_EUlS11_E_NS1_11comp_targetILNS1_3genE8ELNS1_11target_archE1030ELNS1_3gpuE2ELNS1_3repE0EEENS1_30default_config_static_selectorELNS0_4arch9wavefront6targetE1EEEvT1_,"axG",@progbits,_ZN7rocprim17ROCPRIM_400000_NS6detail17trampoline_kernelINS0_14default_configENS1_25partition_config_selectorILNS1_17partition_subalgoE5ElNS0_10empty_typeEbEEZZNS1_14partition_implILS5_5ELb0ES3_mN6hipcub16HIPCUB_304000_NS21CountingInputIteratorIllEEPS6_NSA_22TransformInputIteratorIb7NonZeroIaEPalEENS0_5tupleIJPlS6_EEENSJ_IJSD_SD_EEES6_SK_JS6_EEE10hipError_tPvRmT3_T4_T5_T6_T7_T9_mT8_P12ihipStream_tbDpT10_ENKUlT_T0_E_clISt17integral_constantIbLb1EES16_EEDaS11_S12_EUlS11_E_NS1_11comp_targetILNS1_3genE8ELNS1_11target_archE1030ELNS1_3gpuE2ELNS1_3repE0EEENS1_30default_config_static_selectorELNS0_4arch9wavefront6targetE1EEEvT1_,comdat
.Lfunc_end61:
	.size	_ZN7rocprim17ROCPRIM_400000_NS6detail17trampoline_kernelINS0_14default_configENS1_25partition_config_selectorILNS1_17partition_subalgoE5ElNS0_10empty_typeEbEEZZNS1_14partition_implILS5_5ELb0ES3_mN6hipcub16HIPCUB_304000_NS21CountingInputIteratorIllEEPS6_NSA_22TransformInputIteratorIb7NonZeroIaEPalEENS0_5tupleIJPlS6_EEENSJ_IJSD_SD_EEES6_SK_JS6_EEE10hipError_tPvRmT3_T4_T5_T6_T7_T9_mT8_P12ihipStream_tbDpT10_ENKUlT_T0_E_clISt17integral_constantIbLb1EES16_EEDaS11_S12_EUlS11_E_NS1_11comp_targetILNS1_3genE8ELNS1_11target_archE1030ELNS1_3gpuE2ELNS1_3repE0EEENS1_30default_config_static_selectorELNS0_4arch9wavefront6targetE1EEEvT1_, .Lfunc_end61-_ZN7rocprim17ROCPRIM_400000_NS6detail17trampoline_kernelINS0_14default_configENS1_25partition_config_selectorILNS1_17partition_subalgoE5ElNS0_10empty_typeEbEEZZNS1_14partition_implILS5_5ELb0ES3_mN6hipcub16HIPCUB_304000_NS21CountingInputIteratorIllEEPS6_NSA_22TransformInputIteratorIb7NonZeroIaEPalEENS0_5tupleIJPlS6_EEENSJ_IJSD_SD_EEES6_SK_JS6_EEE10hipError_tPvRmT3_T4_T5_T6_T7_T9_mT8_P12ihipStream_tbDpT10_ENKUlT_T0_E_clISt17integral_constantIbLb1EES16_EEDaS11_S12_EUlS11_E_NS1_11comp_targetILNS1_3genE8ELNS1_11target_archE1030ELNS1_3gpuE2ELNS1_3repE0EEENS1_30default_config_static_selectorELNS0_4arch9wavefront6targetE1EEEvT1_
                                        ; -- End function
	.set _ZN7rocprim17ROCPRIM_400000_NS6detail17trampoline_kernelINS0_14default_configENS1_25partition_config_selectorILNS1_17partition_subalgoE5ElNS0_10empty_typeEbEEZZNS1_14partition_implILS5_5ELb0ES3_mN6hipcub16HIPCUB_304000_NS21CountingInputIteratorIllEEPS6_NSA_22TransformInputIteratorIb7NonZeroIaEPalEENS0_5tupleIJPlS6_EEENSJ_IJSD_SD_EEES6_SK_JS6_EEE10hipError_tPvRmT3_T4_T5_T6_T7_T9_mT8_P12ihipStream_tbDpT10_ENKUlT_T0_E_clISt17integral_constantIbLb1EES16_EEDaS11_S12_EUlS11_E_NS1_11comp_targetILNS1_3genE8ELNS1_11target_archE1030ELNS1_3gpuE2ELNS1_3repE0EEENS1_30default_config_static_selectorELNS0_4arch9wavefront6targetE1EEEvT1_.num_vgpr, 0
	.set _ZN7rocprim17ROCPRIM_400000_NS6detail17trampoline_kernelINS0_14default_configENS1_25partition_config_selectorILNS1_17partition_subalgoE5ElNS0_10empty_typeEbEEZZNS1_14partition_implILS5_5ELb0ES3_mN6hipcub16HIPCUB_304000_NS21CountingInputIteratorIllEEPS6_NSA_22TransformInputIteratorIb7NonZeroIaEPalEENS0_5tupleIJPlS6_EEENSJ_IJSD_SD_EEES6_SK_JS6_EEE10hipError_tPvRmT3_T4_T5_T6_T7_T9_mT8_P12ihipStream_tbDpT10_ENKUlT_T0_E_clISt17integral_constantIbLb1EES16_EEDaS11_S12_EUlS11_E_NS1_11comp_targetILNS1_3genE8ELNS1_11target_archE1030ELNS1_3gpuE2ELNS1_3repE0EEENS1_30default_config_static_selectorELNS0_4arch9wavefront6targetE1EEEvT1_.num_agpr, 0
	.set _ZN7rocprim17ROCPRIM_400000_NS6detail17trampoline_kernelINS0_14default_configENS1_25partition_config_selectorILNS1_17partition_subalgoE5ElNS0_10empty_typeEbEEZZNS1_14partition_implILS5_5ELb0ES3_mN6hipcub16HIPCUB_304000_NS21CountingInputIteratorIllEEPS6_NSA_22TransformInputIteratorIb7NonZeroIaEPalEENS0_5tupleIJPlS6_EEENSJ_IJSD_SD_EEES6_SK_JS6_EEE10hipError_tPvRmT3_T4_T5_T6_T7_T9_mT8_P12ihipStream_tbDpT10_ENKUlT_T0_E_clISt17integral_constantIbLb1EES16_EEDaS11_S12_EUlS11_E_NS1_11comp_targetILNS1_3genE8ELNS1_11target_archE1030ELNS1_3gpuE2ELNS1_3repE0EEENS1_30default_config_static_selectorELNS0_4arch9wavefront6targetE1EEEvT1_.numbered_sgpr, 0
	.set _ZN7rocprim17ROCPRIM_400000_NS6detail17trampoline_kernelINS0_14default_configENS1_25partition_config_selectorILNS1_17partition_subalgoE5ElNS0_10empty_typeEbEEZZNS1_14partition_implILS5_5ELb0ES3_mN6hipcub16HIPCUB_304000_NS21CountingInputIteratorIllEEPS6_NSA_22TransformInputIteratorIb7NonZeroIaEPalEENS0_5tupleIJPlS6_EEENSJ_IJSD_SD_EEES6_SK_JS6_EEE10hipError_tPvRmT3_T4_T5_T6_T7_T9_mT8_P12ihipStream_tbDpT10_ENKUlT_T0_E_clISt17integral_constantIbLb1EES16_EEDaS11_S12_EUlS11_E_NS1_11comp_targetILNS1_3genE8ELNS1_11target_archE1030ELNS1_3gpuE2ELNS1_3repE0EEENS1_30default_config_static_selectorELNS0_4arch9wavefront6targetE1EEEvT1_.num_named_barrier, 0
	.set _ZN7rocprim17ROCPRIM_400000_NS6detail17trampoline_kernelINS0_14default_configENS1_25partition_config_selectorILNS1_17partition_subalgoE5ElNS0_10empty_typeEbEEZZNS1_14partition_implILS5_5ELb0ES3_mN6hipcub16HIPCUB_304000_NS21CountingInputIteratorIllEEPS6_NSA_22TransformInputIteratorIb7NonZeroIaEPalEENS0_5tupleIJPlS6_EEENSJ_IJSD_SD_EEES6_SK_JS6_EEE10hipError_tPvRmT3_T4_T5_T6_T7_T9_mT8_P12ihipStream_tbDpT10_ENKUlT_T0_E_clISt17integral_constantIbLb1EES16_EEDaS11_S12_EUlS11_E_NS1_11comp_targetILNS1_3genE8ELNS1_11target_archE1030ELNS1_3gpuE2ELNS1_3repE0EEENS1_30default_config_static_selectorELNS0_4arch9wavefront6targetE1EEEvT1_.private_seg_size, 0
	.set _ZN7rocprim17ROCPRIM_400000_NS6detail17trampoline_kernelINS0_14default_configENS1_25partition_config_selectorILNS1_17partition_subalgoE5ElNS0_10empty_typeEbEEZZNS1_14partition_implILS5_5ELb0ES3_mN6hipcub16HIPCUB_304000_NS21CountingInputIteratorIllEEPS6_NSA_22TransformInputIteratorIb7NonZeroIaEPalEENS0_5tupleIJPlS6_EEENSJ_IJSD_SD_EEES6_SK_JS6_EEE10hipError_tPvRmT3_T4_T5_T6_T7_T9_mT8_P12ihipStream_tbDpT10_ENKUlT_T0_E_clISt17integral_constantIbLb1EES16_EEDaS11_S12_EUlS11_E_NS1_11comp_targetILNS1_3genE8ELNS1_11target_archE1030ELNS1_3gpuE2ELNS1_3repE0EEENS1_30default_config_static_selectorELNS0_4arch9wavefront6targetE1EEEvT1_.uses_vcc, 0
	.set _ZN7rocprim17ROCPRIM_400000_NS6detail17trampoline_kernelINS0_14default_configENS1_25partition_config_selectorILNS1_17partition_subalgoE5ElNS0_10empty_typeEbEEZZNS1_14partition_implILS5_5ELb0ES3_mN6hipcub16HIPCUB_304000_NS21CountingInputIteratorIllEEPS6_NSA_22TransformInputIteratorIb7NonZeroIaEPalEENS0_5tupleIJPlS6_EEENSJ_IJSD_SD_EEES6_SK_JS6_EEE10hipError_tPvRmT3_T4_T5_T6_T7_T9_mT8_P12ihipStream_tbDpT10_ENKUlT_T0_E_clISt17integral_constantIbLb1EES16_EEDaS11_S12_EUlS11_E_NS1_11comp_targetILNS1_3genE8ELNS1_11target_archE1030ELNS1_3gpuE2ELNS1_3repE0EEENS1_30default_config_static_selectorELNS0_4arch9wavefront6targetE1EEEvT1_.uses_flat_scratch, 0
	.set _ZN7rocprim17ROCPRIM_400000_NS6detail17trampoline_kernelINS0_14default_configENS1_25partition_config_selectorILNS1_17partition_subalgoE5ElNS0_10empty_typeEbEEZZNS1_14partition_implILS5_5ELb0ES3_mN6hipcub16HIPCUB_304000_NS21CountingInputIteratorIllEEPS6_NSA_22TransformInputIteratorIb7NonZeroIaEPalEENS0_5tupleIJPlS6_EEENSJ_IJSD_SD_EEES6_SK_JS6_EEE10hipError_tPvRmT3_T4_T5_T6_T7_T9_mT8_P12ihipStream_tbDpT10_ENKUlT_T0_E_clISt17integral_constantIbLb1EES16_EEDaS11_S12_EUlS11_E_NS1_11comp_targetILNS1_3genE8ELNS1_11target_archE1030ELNS1_3gpuE2ELNS1_3repE0EEENS1_30default_config_static_selectorELNS0_4arch9wavefront6targetE1EEEvT1_.has_dyn_sized_stack, 0
	.set _ZN7rocprim17ROCPRIM_400000_NS6detail17trampoline_kernelINS0_14default_configENS1_25partition_config_selectorILNS1_17partition_subalgoE5ElNS0_10empty_typeEbEEZZNS1_14partition_implILS5_5ELb0ES3_mN6hipcub16HIPCUB_304000_NS21CountingInputIteratorIllEEPS6_NSA_22TransformInputIteratorIb7NonZeroIaEPalEENS0_5tupleIJPlS6_EEENSJ_IJSD_SD_EEES6_SK_JS6_EEE10hipError_tPvRmT3_T4_T5_T6_T7_T9_mT8_P12ihipStream_tbDpT10_ENKUlT_T0_E_clISt17integral_constantIbLb1EES16_EEDaS11_S12_EUlS11_E_NS1_11comp_targetILNS1_3genE8ELNS1_11target_archE1030ELNS1_3gpuE2ELNS1_3repE0EEENS1_30default_config_static_selectorELNS0_4arch9wavefront6targetE1EEEvT1_.has_recursion, 0
	.set _ZN7rocprim17ROCPRIM_400000_NS6detail17trampoline_kernelINS0_14default_configENS1_25partition_config_selectorILNS1_17partition_subalgoE5ElNS0_10empty_typeEbEEZZNS1_14partition_implILS5_5ELb0ES3_mN6hipcub16HIPCUB_304000_NS21CountingInputIteratorIllEEPS6_NSA_22TransformInputIteratorIb7NonZeroIaEPalEENS0_5tupleIJPlS6_EEENSJ_IJSD_SD_EEES6_SK_JS6_EEE10hipError_tPvRmT3_T4_T5_T6_T7_T9_mT8_P12ihipStream_tbDpT10_ENKUlT_T0_E_clISt17integral_constantIbLb1EES16_EEDaS11_S12_EUlS11_E_NS1_11comp_targetILNS1_3genE8ELNS1_11target_archE1030ELNS1_3gpuE2ELNS1_3repE0EEENS1_30default_config_static_selectorELNS0_4arch9wavefront6targetE1EEEvT1_.has_indirect_call, 0
	.section	.AMDGPU.csdata,"",@progbits
; Kernel info:
; codeLenInByte = 0
; TotalNumSgprs: 4
; NumVgprs: 0
; ScratchSize: 0
; MemoryBound: 0
; FloatMode: 240
; IeeeMode: 1
; LDSByteSize: 0 bytes/workgroup (compile time only)
; SGPRBlocks: 0
; VGPRBlocks: 0
; NumSGPRsForWavesPerEU: 4
; NumVGPRsForWavesPerEU: 1
; Occupancy: 10
; WaveLimiterHint : 0
; COMPUTE_PGM_RSRC2:SCRATCH_EN: 0
; COMPUTE_PGM_RSRC2:USER_SGPR: 6
; COMPUTE_PGM_RSRC2:TRAP_HANDLER: 0
; COMPUTE_PGM_RSRC2:TGID_X_EN: 1
; COMPUTE_PGM_RSRC2:TGID_Y_EN: 0
; COMPUTE_PGM_RSRC2:TGID_Z_EN: 0
; COMPUTE_PGM_RSRC2:TIDIG_COMP_CNT: 0
	.section	.text._ZN7rocprim17ROCPRIM_400000_NS6detail31init_lookback_scan_state_kernelINS1_19lookback_scan_stateImLb1ELb1EEENS1_16block_id_wrapperIjLb0EEEEEvT_jT0_jPNS7_10value_typeE,"axG",@progbits,_ZN7rocprim17ROCPRIM_400000_NS6detail31init_lookback_scan_state_kernelINS1_19lookback_scan_stateImLb1ELb1EEENS1_16block_id_wrapperIjLb0EEEEEvT_jT0_jPNS7_10value_typeE,comdat
	.protected	_ZN7rocprim17ROCPRIM_400000_NS6detail31init_lookback_scan_state_kernelINS1_19lookback_scan_stateImLb1ELb1EEENS1_16block_id_wrapperIjLb0EEEEEvT_jT0_jPNS7_10value_typeE ; -- Begin function _ZN7rocprim17ROCPRIM_400000_NS6detail31init_lookback_scan_state_kernelINS1_19lookback_scan_stateImLb1ELb1EEENS1_16block_id_wrapperIjLb0EEEEEvT_jT0_jPNS7_10value_typeE
	.globl	_ZN7rocprim17ROCPRIM_400000_NS6detail31init_lookback_scan_state_kernelINS1_19lookback_scan_stateImLb1ELb1EEENS1_16block_id_wrapperIjLb0EEEEEvT_jT0_jPNS7_10value_typeE
	.p2align	8
	.type	_ZN7rocprim17ROCPRIM_400000_NS6detail31init_lookback_scan_state_kernelINS1_19lookback_scan_stateImLb1ELb1EEENS1_16block_id_wrapperIjLb0EEEEEvT_jT0_jPNS7_10value_typeE,@function
_ZN7rocprim17ROCPRIM_400000_NS6detail31init_lookback_scan_state_kernelINS1_19lookback_scan_stateImLb1ELb1EEENS1_16block_id_wrapperIjLb0EEEEEvT_jT0_jPNS7_10value_typeE: ; @_ZN7rocprim17ROCPRIM_400000_NS6detail31init_lookback_scan_state_kernelINS1_19lookback_scan_stateImLb1ELb1EEENS1_16block_id_wrapperIjLb0EEEEEvT_jT0_jPNS7_10value_typeE
; %bb.0:
	s_load_dword s7, s[4:5], 0x2c
	s_load_dwordx2 s[2:3], s[4:5], 0x18
	s_load_dwordx2 s[0:1], s[4:5], 0x0
	s_load_dword s12, s[4:5], 0x8
	s_waitcnt lgkmcnt(0)
	s_and_b32 s7, s7, 0xffff
	s_mul_i32 s6, s6, s7
	s_cmp_eq_u64 s[2:3], 0
	v_add_u32_e32 v0, s6, v0
	s_cbranch_scc1 .LBB62_10
; %bb.1:
	s_load_dword s6, s[4:5], 0x10
	s_mov_b32 s7, 0
	s_waitcnt lgkmcnt(0)
	s_cmp_lt_u32 s6, s12
	s_cselect_b32 s4, s6, 0
	v_cmp_eq_u32_e32 vcc, s4, v0
	s_and_saveexec_b64 s[4:5], vcc
	s_cbranch_execz .LBB62_9
; %bb.2:
	s_add_i32 s6, s6, 64
	s_lshl_b64 s[6:7], s[6:7], 4
	s_add_u32 s10, s0, s6
	s_addc_u32 s11, s1, s7
	v_mov_b32_e32 v1, s10
	v_mov_b32_e32 v2, s11
	;;#ASMSTART
	global_load_dwordx4 v[1:4], v[1:2] off glc	
s_waitcnt vmcnt(0)
	;;#ASMEND
	v_and_b32_e32 v4, 0xff, v3
	v_mov_b32_e32 v5, 0
	v_cmp_eq_u64_e32 vcc, 0, v[4:5]
	s_mov_b64 s[8:9], 0
	s_and_saveexec_b64 s[6:7], vcc
	s_cbranch_execz .LBB62_8
; %bb.3:
	v_mov_b32_e32 v6, s10
	s_mov_b32 s13, 1
	v_mov_b32_e32 v7, s11
.LBB62_4:                               ; =>This Loop Header: Depth=1
                                        ;     Child Loop BB62_5 Depth 2
	s_mov_b32 s10, s13
.LBB62_5:                               ;   Parent Loop BB62_4 Depth=1
                                        ; =>  This Inner Loop Header: Depth=2
	s_add_i32 s10, s10, -1
	s_cmp_eq_u32 s10, 0
	s_sleep 1
	s_cbranch_scc0 .LBB62_5
; %bb.6:                                ;   in Loop: Header=BB62_4 Depth=1
	s_cmp_lt_u32 s13, 32
	;;#ASMSTART
	global_load_dwordx4 v[1:4], v[6:7] off glc	
s_waitcnt vmcnt(0)
	;;#ASMEND
	s_cselect_b64 s[10:11], -1, 0
	v_and_b32_e32 v4, 0xff, v3
	s_cmp_lg_u64 s[10:11], 0
	v_cmp_ne_u64_e32 vcc, 0, v[4:5]
	s_addc_u32 s13, s13, 0
	s_or_b64 s[8:9], vcc, s[8:9]
	s_andn2_b64 exec, exec, s[8:9]
	s_cbranch_execnz .LBB62_4
; %bb.7:
	s_or_b64 exec, exec, s[8:9]
.LBB62_8:
	s_or_b64 exec, exec, s[6:7]
	v_mov_b32_e32 v3, 0
	global_store_dwordx2 v3, v[1:2], s[2:3]
.LBB62_9:
	s_or_b64 exec, exec, s[4:5]
.LBB62_10:
	v_cmp_gt_u32_e32 vcc, s12, v0
	s_and_saveexec_b64 s[2:3], vcc
	s_cbranch_execnz .LBB62_13
; %bb.11:
	s_or_b64 exec, exec, s[2:3]
	v_cmp_gt_u32_e32 vcc, 64, v0
	s_and_saveexec_b64 s[2:3], vcc
	s_cbranch_execnz .LBB62_14
.LBB62_12:
	s_endpgm
.LBB62_13:
	v_add_u32_e32 v1, 64, v0
	v_mov_b32_e32 v2, 0
	v_lshlrev_b64 v[3:4], 4, v[1:2]
	v_mov_b32_e32 v1, s1
	v_add_co_u32_e32 v5, vcc, s0, v3
	v_addc_co_u32_e32 v6, vcc, v1, v4, vcc
	v_mov_b32_e32 v1, v2
	v_mov_b32_e32 v3, v2
	v_mov_b32_e32 v4, v2
	global_store_dwordx4 v[5:6], v[1:4], off
	s_or_b64 exec, exec, s[2:3]
	v_cmp_gt_u32_e32 vcc, 64, v0
	s_and_saveexec_b64 s[2:3], vcc
	s_cbranch_execz .LBB62_12
.LBB62_14:
	v_mov_b32_e32 v1, 0
	v_lshlrev_b64 v[2:3], 4, v[0:1]
	v_mov_b32_e32 v0, s1
	v_add_co_u32_e32 v4, vcc, s0, v2
	v_addc_co_u32_e32 v5, vcc, v0, v3, vcc
	v_mov_b32_e32 v2, 0xff
	v_mov_b32_e32 v0, v1
	;; [unrolled: 1-line block ×3, first 2 shown]
	global_store_dwordx4 v[4:5], v[0:3], off
	s_endpgm
	.section	.rodata,"a",@progbits
	.p2align	6, 0x0
	.amdhsa_kernel _ZN7rocprim17ROCPRIM_400000_NS6detail31init_lookback_scan_state_kernelINS1_19lookback_scan_stateImLb1ELb1EEENS1_16block_id_wrapperIjLb0EEEEEvT_jT0_jPNS7_10value_typeE
		.amdhsa_group_segment_fixed_size 0
		.amdhsa_private_segment_fixed_size 0
		.amdhsa_kernarg_size 288
		.amdhsa_user_sgpr_count 6
		.amdhsa_user_sgpr_private_segment_buffer 1
		.amdhsa_user_sgpr_dispatch_ptr 0
		.amdhsa_user_sgpr_queue_ptr 0
		.amdhsa_user_sgpr_kernarg_segment_ptr 1
		.amdhsa_user_sgpr_dispatch_id 0
		.amdhsa_user_sgpr_flat_scratch_init 0
		.amdhsa_user_sgpr_private_segment_size 0
		.amdhsa_uses_dynamic_stack 0
		.amdhsa_system_sgpr_private_segment_wavefront_offset 0
		.amdhsa_system_sgpr_workgroup_id_x 1
		.amdhsa_system_sgpr_workgroup_id_y 0
		.amdhsa_system_sgpr_workgroup_id_z 0
		.amdhsa_system_sgpr_workgroup_info 0
		.amdhsa_system_vgpr_workitem_id 0
		.amdhsa_next_free_vgpr 8
		.amdhsa_next_free_sgpr 14
		.amdhsa_reserve_vcc 1
		.amdhsa_reserve_flat_scratch 0
		.amdhsa_float_round_mode_32 0
		.amdhsa_float_round_mode_16_64 0
		.amdhsa_float_denorm_mode_32 3
		.amdhsa_float_denorm_mode_16_64 3
		.amdhsa_dx10_clamp 1
		.amdhsa_ieee_mode 1
		.amdhsa_fp16_overflow 0
		.amdhsa_exception_fp_ieee_invalid_op 0
		.amdhsa_exception_fp_denorm_src 0
		.amdhsa_exception_fp_ieee_div_zero 0
		.amdhsa_exception_fp_ieee_overflow 0
		.amdhsa_exception_fp_ieee_underflow 0
		.amdhsa_exception_fp_ieee_inexact 0
		.amdhsa_exception_int_div_zero 0
	.end_amdhsa_kernel
	.section	.text._ZN7rocprim17ROCPRIM_400000_NS6detail31init_lookback_scan_state_kernelINS1_19lookback_scan_stateImLb1ELb1EEENS1_16block_id_wrapperIjLb0EEEEEvT_jT0_jPNS7_10value_typeE,"axG",@progbits,_ZN7rocprim17ROCPRIM_400000_NS6detail31init_lookback_scan_state_kernelINS1_19lookback_scan_stateImLb1ELb1EEENS1_16block_id_wrapperIjLb0EEEEEvT_jT0_jPNS7_10value_typeE,comdat
.Lfunc_end62:
	.size	_ZN7rocprim17ROCPRIM_400000_NS6detail31init_lookback_scan_state_kernelINS1_19lookback_scan_stateImLb1ELb1EEENS1_16block_id_wrapperIjLb0EEEEEvT_jT0_jPNS7_10value_typeE, .Lfunc_end62-_ZN7rocprim17ROCPRIM_400000_NS6detail31init_lookback_scan_state_kernelINS1_19lookback_scan_stateImLb1ELb1EEENS1_16block_id_wrapperIjLb0EEEEEvT_jT0_jPNS7_10value_typeE
                                        ; -- End function
	.set _ZN7rocprim17ROCPRIM_400000_NS6detail31init_lookback_scan_state_kernelINS1_19lookback_scan_stateImLb1ELb1EEENS1_16block_id_wrapperIjLb0EEEEEvT_jT0_jPNS7_10value_typeE.num_vgpr, 8
	.set _ZN7rocprim17ROCPRIM_400000_NS6detail31init_lookback_scan_state_kernelINS1_19lookback_scan_stateImLb1ELb1EEENS1_16block_id_wrapperIjLb0EEEEEvT_jT0_jPNS7_10value_typeE.num_agpr, 0
	.set _ZN7rocprim17ROCPRIM_400000_NS6detail31init_lookback_scan_state_kernelINS1_19lookback_scan_stateImLb1ELb1EEENS1_16block_id_wrapperIjLb0EEEEEvT_jT0_jPNS7_10value_typeE.numbered_sgpr, 14
	.set _ZN7rocprim17ROCPRIM_400000_NS6detail31init_lookback_scan_state_kernelINS1_19lookback_scan_stateImLb1ELb1EEENS1_16block_id_wrapperIjLb0EEEEEvT_jT0_jPNS7_10value_typeE.num_named_barrier, 0
	.set _ZN7rocprim17ROCPRIM_400000_NS6detail31init_lookback_scan_state_kernelINS1_19lookback_scan_stateImLb1ELb1EEENS1_16block_id_wrapperIjLb0EEEEEvT_jT0_jPNS7_10value_typeE.private_seg_size, 0
	.set _ZN7rocprim17ROCPRIM_400000_NS6detail31init_lookback_scan_state_kernelINS1_19lookback_scan_stateImLb1ELb1EEENS1_16block_id_wrapperIjLb0EEEEEvT_jT0_jPNS7_10value_typeE.uses_vcc, 1
	.set _ZN7rocprim17ROCPRIM_400000_NS6detail31init_lookback_scan_state_kernelINS1_19lookback_scan_stateImLb1ELb1EEENS1_16block_id_wrapperIjLb0EEEEEvT_jT0_jPNS7_10value_typeE.uses_flat_scratch, 0
	.set _ZN7rocprim17ROCPRIM_400000_NS6detail31init_lookback_scan_state_kernelINS1_19lookback_scan_stateImLb1ELb1EEENS1_16block_id_wrapperIjLb0EEEEEvT_jT0_jPNS7_10value_typeE.has_dyn_sized_stack, 0
	.set _ZN7rocprim17ROCPRIM_400000_NS6detail31init_lookback_scan_state_kernelINS1_19lookback_scan_stateImLb1ELb1EEENS1_16block_id_wrapperIjLb0EEEEEvT_jT0_jPNS7_10value_typeE.has_recursion, 0
	.set _ZN7rocprim17ROCPRIM_400000_NS6detail31init_lookback_scan_state_kernelINS1_19lookback_scan_stateImLb1ELb1EEENS1_16block_id_wrapperIjLb0EEEEEvT_jT0_jPNS7_10value_typeE.has_indirect_call, 0
	.section	.AMDGPU.csdata,"",@progbits
; Kernel info:
; codeLenInByte = 424
; TotalNumSgprs: 18
; NumVgprs: 8
; ScratchSize: 0
; MemoryBound: 0
; FloatMode: 240
; IeeeMode: 1
; LDSByteSize: 0 bytes/workgroup (compile time only)
; SGPRBlocks: 2
; VGPRBlocks: 1
; NumSGPRsForWavesPerEU: 18
; NumVGPRsForWavesPerEU: 8
; Occupancy: 10
; WaveLimiterHint : 0
; COMPUTE_PGM_RSRC2:SCRATCH_EN: 0
; COMPUTE_PGM_RSRC2:USER_SGPR: 6
; COMPUTE_PGM_RSRC2:TRAP_HANDLER: 0
; COMPUTE_PGM_RSRC2:TGID_X_EN: 1
; COMPUTE_PGM_RSRC2:TGID_Y_EN: 0
; COMPUTE_PGM_RSRC2:TGID_Z_EN: 0
; COMPUTE_PGM_RSRC2:TIDIG_COMP_CNT: 0
	.section	.text._ZN7rocprim17ROCPRIM_400000_NS6detail17trampoline_kernelINS0_14default_configENS1_25partition_config_selectorILNS1_17partition_subalgoE5ElNS0_10empty_typeEbEEZZNS1_14partition_implILS5_5ELb0ES3_mN6hipcub16HIPCUB_304000_NS21CountingInputIteratorIllEEPS6_NSA_22TransformInputIteratorIb7NonZeroIaEPalEENS0_5tupleIJPlS6_EEENSJ_IJSD_SD_EEES6_SK_JS6_EEE10hipError_tPvRmT3_T4_T5_T6_T7_T9_mT8_P12ihipStream_tbDpT10_ENKUlT_T0_E_clISt17integral_constantIbLb1EES15_IbLb0EEEEDaS11_S12_EUlS11_E_NS1_11comp_targetILNS1_3genE0ELNS1_11target_archE4294967295ELNS1_3gpuE0ELNS1_3repE0EEENS1_30default_config_static_selectorELNS0_4arch9wavefront6targetE1EEEvT1_,"axG",@progbits,_ZN7rocprim17ROCPRIM_400000_NS6detail17trampoline_kernelINS0_14default_configENS1_25partition_config_selectorILNS1_17partition_subalgoE5ElNS0_10empty_typeEbEEZZNS1_14partition_implILS5_5ELb0ES3_mN6hipcub16HIPCUB_304000_NS21CountingInputIteratorIllEEPS6_NSA_22TransformInputIteratorIb7NonZeroIaEPalEENS0_5tupleIJPlS6_EEENSJ_IJSD_SD_EEES6_SK_JS6_EEE10hipError_tPvRmT3_T4_T5_T6_T7_T9_mT8_P12ihipStream_tbDpT10_ENKUlT_T0_E_clISt17integral_constantIbLb1EES15_IbLb0EEEEDaS11_S12_EUlS11_E_NS1_11comp_targetILNS1_3genE0ELNS1_11target_archE4294967295ELNS1_3gpuE0ELNS1_3repE0EEENS1_30default_config_static_selectorELNS0_4arch9wavefront6targetE1EEEvT1_,comdat
	.protected	_ZN7rocprim17ROCPRIM_400000_NS6detail17trampoline_kernelINS0_14default_configENS1_25partition_config_selectorILNS1_17partition_subalgoE5ElNS0_10empty_typeEbEEZZNS1_14partition_implILS5_5ELb0ES3_mN6hipcub16HIPCUB_304000_NS21CountingInputIteratorIllEEPS6_NSA_22TransformInputIteratorIb7NonZeroIaEPalEENS0_5tupleIJPlS6_EEENSJ_IJSD_SD_EEES6_SK_JS6_EEE10hipError_tPvRmT3_T4_T5_T6_T7_T9_mT8_P12ihipStream_tbDpT10_ENKUlT_T0_E_clISt17integral_constantIbLb1EES15_IbLb0EEEEDaS11_S12_EUlS11_E_NS1_11comp_targetILNS1_3genE0ELNS1_11target_archE4294967295ELNS1_3gpuE0ELNS1_3repE0EEENS1_30default_config_static_selectorELNS0_4arch9wavefront6targetE1EEEvT1_ ; -- Begin function _ZN7rocprim17ROCPRIM_400000_NS6detail17trampoline_kernelINS0_14default_configENS1_25partition_config_selectorILNS1_17partition_subalgoE5ElNS0_10empty_typeEbEEZZNS1_14partition_implILS5_5ELb0ES3_mN6hipcub16HIPCUB_304000_NS21CountingInputIteratorIllEEPS6_NSA_22TransformInputIteratorIb7NonZeroIaEPalEENS0_5tupleIJPlS6_EEENSJ_IJSD_SD_EEES6_SK_JS6_EEE10hipError_tPvRmT3_T4_T5_T6_T7_T9_mT8_P12ihipStream_tbDpT10_ENKUlT_T0_E_clISt17integral_constantIbLb1EES15_IbLb0EEEEDaS11_S12_EUlS11_E_NS1_11comp_targetILNS1_3genE0ELNS1_11target_archE4294967295ELNS1_3gpuE0ELNS1_3repE0EEENS1_30default_config_static_selectorELNS0_4arch9wavefront6targetE1EEEvT1_
	.globl	_ZN7rocprim17ROCPRIM_400000_NS6detail17trampoline_kernelINS0_14default_configENS1_25partition_config_selectorILNS1_17partition_subalgoE5ElNS0_10empty_typeEbEEZZNS1_14partition_implILS5_5ELb0ES3_mN6hipcub16HIPCUB_304000_NS21CountingInputIteratorIllEEPS6_NSA_22TransformInputIteratorIb7NonZeroIaEPalEENS0_5tupleIJPlS6_EEENSJ_IJSD_SD_EEES6_SK_JS6_EEE10hipError_tPvRmT3_T4_T5_T6_T7_T9_mT8_P12ihipStream_tbDpT10_ENKUlT_T0_E_clISt17integral_constantIbLb1EES15_IbLb0EEEEDaS11_S12_EUlS11_E_NS1_11comp_targetILNS1_3genE0ELNS1_11target_archE4294967295ELNS1_3gpuE0ELNS1_3repE0EEENS1_30default_config_static_selectorELNS0_4arch9wavefront6targetE1EEEvT1_
	.p2align	8
	.type	_ZN7rocprim17ROCPRIM_400000_NS6detail17trampoline_kernelINS0_14default_configENS1_25partition_config_selectorILNS1_17partition_subalgoE5ElNS0_10empty_typeEbEEZZNS1_14partition_implILS5_5ELb0ES3_mN6hipcub16HIPCUB_304000_NS21CountingInputIteratorIllEEPS6_NSA_22TransformInputIteratorIb7NonZeroIaEPalEENS0_5tupleIJPlS6_EEENSJ_IJSD_SD_EEES6_SK_JS6_EEE10hipError_tPvRmT3_T4_T5_T6_T7_T9_mT8_P12ihipStream_tbDpT10_ENKUlT_T0_E_clISt17integral_constantIbLb1EES15_IbLb0EEEEDaS11_S12_EUlS11_E_NS1_11comp_targetILNS1_3genE0ELNS1_11target_archE4294967295ELNS1_3gpuE0ELNS1_3repE0EEENS1_30default_config_static_selectorELNS0_4arch9wavefront6targetE1EEEvT1_,@function
_ZN7rocprim17ROCPRIM_400000_NS6detail17trampoline_kernelINS0_14default_configENS1_25partition_config_selectorILNS1_17partition_subalgoE5ElNS0_10empty_typeEbEEZZNS1_14partition_implILS5_5ELb0ES3_mN6hipcub16HIPCUB_304000_NS21CountingInputIteratorIllEEPS6_NSA_22TransformInputIteratorIb7NonZeroIaEPalEENS0_5tupleIJPlS6_EEENSJ_IJSD_SD_EEES6_SK_JS6_EEE10hipError_tPvRmT3_T4_T5_T6_T7_T9_mT8_P12ihipStream_tbDpT10_ENKUlT_T0_E_clISt17integral_constantIbLb1EES15_IbLb0EEEEDaS11_S12_EUlS11_E_NS1_11comp_targetILNS1_3genE0ELNS1_11target_archE4294967295ELNS1_3gpuE0ELNS1_3repE0EEENS1_30default_config_static_selectorELNS0_4arch9wavefront6targetE1EEEvT1_: ; @_ZN7rocprim17ROCPRIM_400000_NS6detail17trampoline_kernelINS0_14default_configENS1_25partition_config_selectorILNS1_17partition_subalgoE5ElNS0_10empty_typeEbEEZZNS1_14partition_implILS5_5ELb0ES3_mN6hipcub16HIPCUB_304000_NS21CountingInputIteratorIllEEPS6_NSA_22TransformInputIteratorIb7NonZeroIaEPalEENS0_5tupleIJPlS6_EEENSJ_IJSD_SD_EEES6_SK_JS6_EEE10hipError_tPvRmT3_T4_T5_T6_T7_T9_mT8_P12ihipStream_tbDpT10_ENKUlT_T0_E_clISt17integral_constantIbLb1EES15_IbLb0EEEEDaS11_S12_EUlS11_E_NS1_11comp_targetILNS1_3genE0ELNS1_11target_archE4294967295ELNS1_3gpuE0ELNS1_3repE0EEENS1_30default_config_static_selectorELNS0_4arch9wavefront6targetE1EEEvT1_
; %bb.0:
	.section	.rodata,"a",@progbits
	.p2align	6, 0x0
	.amdhsa_kernel _ZN7rocprim17ROCPRIM_400000_NS6detail17trampoline_kernelINS0_14default_configENS1_25partition_config_selectorILNS1_17partition_subalgoE5ElNS0_10empty_typeEbEEZZNS1_14partition_implILS5_5ELb0ES3_mN6hipcub16HIPCUB_304000_NS21CountingInputIteratorIllEEPS6_NSA_22TransformInputIteratorIb7NonZeroIaEPalEENS0_5tupleIJPlS6_EEENSJ_IJSD_SD_EEES6_SK_JS6_EEE10hipError_tPvRmT3_T4_T5_T6_T7_T9_mT8_P12ihipStream_tbDpT10_ENKUlT_T0_E_clISt17integral_constantIbLb1EES15_IbLb0EEEEDaS11_S12_EUlS11_E_NS1_11comp_targetILNS1_3genE0ELNS1_11target_archE4294967295ELNS1_3gpuE0ELNS1_3repE0EEENS1_30default_config_static_selectorELNS0_4arch9wavefront6targetE1EEEvT1_
		.amdhsa_group_segment_fixed_size 0
		.amdhsa_private_segment_fixed_size 0
		.amdhsa_kernarg_size 120
		.amdhsa_user_sgpr_count 6
		.amdhsa_user_sgpr_private_segment_buffer 1
		.amdhsa_user_sgpr_dispatch_ptr 0
		.amdhsa_user_sgpr_queue_ptr 0
		.amdhsa_user_sgpr_kernarg_segment_ptr 1
		.amdhsa_user_sgpr_dispatch_id 0
		.amdhsa_user_sgpr_flat_scratch_init 0
		.amdhsa_user_sgpr_private_segment_size 0
		.amdhsa_uses_dynamic_stack 0
		.amdhsa_system_sgpr_private_segment_wavefront_offset 0
		.amdhsa_system_sgpr_workgroup_id_x 1
		.amdhsa_system_sgpr_workgroup_id_y 0
		.amdhsa_system_sgpr_workgroup_id_z 0
		.amdhsa_system_sgpr_workgroup_info 0
		.amdhsa_system_vgpr_workitem_id 0
		.amdhsa_next_free_vgpr 1
		.amdhsa_next_free_sgpr 0
		.amdhsa_reserve_vcc 0
		.amdhsa_reserve_flat_scratch 0
		.amdhsa_float_round_mode_32 0
		.amdhsa_float_round_mode_16_64 0
		.amdhsa_float_denorm_mode_32 3
		.amdhsa_float_denorm_mode_16_64 3
		.amdhsa_dx10_clamp 1
		.amdhsa_ieee_mode 1
		.amdhsa_fp16_overflow 0
		.amdhsa_exception_fp_ieee_invalid_op 0
		.amdhsa_exception_fp_denorm_src 0
		.amdhsa_exception_fp_ieee_div_zero 0
		.amdhsa_exception_fp_ieee_overflow 0
		.amdhsa_exception_fp_ieee_underflow 0
		.amdhsa_exception_fp_ieee_inexact 0
		.amdhsa_exception_int_div_zero 0
	.end_amdhsa_kernel
	.section	.text._ZN7rocprim17ROCPRIM_400000_NS6detail17trampoline_kernelINS0_14default_configENS1_25partition_config_selectorILNS1_17partition_subalgoE5ElNS0_10empty_typeEbEEZZNS1_14partition_implILS5_5ELb0ES3_mN6hipcub16HIPCUB_304000_NS21CountingInputIteratorIllEEPS6_NSA_22TransformInputIteratorIb7NonZeroIaEPalEENS0_5tupleIJPlS6_EEENSJ_IJSD_SD_EEES6_SK_JS6_EEE10hipError_tPvRmT3_T4_T5_T6_T7_T9_mT8_P12ihipStream_tbDpT10_ENKUlT_T0_E_clISt17integral_constantIbLb1EES15_IbLb0EEEEDaS11_S12_EUlS11_E_NS1_11comp_targetILNS1_3genE0ELNS1_11target_archE4294967295ELNS1_3gpuE0ELNS1_3repE0EEENS1_30default_config_static_selectorELNS0_4arch9wavefront6targetE1EEEvT1_,"axG",@progbits,_ZN7rocprim17ROCPRIM_400000_NS6detail17trampoline_kernelINS0_14default_configENS1_25partition_config_selectorILNS1_17partition_subalgoE5ElNS0_10empty_typeEbEEZZNS1_14partition_implILS5_5ELb0ES3_mN6hipcub16HIPCUB_304000_NS21CountingInputIteratorIllEEPS6_NSA_22TransformInputIteratorIb7NonZeroIaEPalEENS0_5tupleIJPlS6_EEENSJ_IJSD_SD_EEES6_SK_JS6_EEE10hipError_tPvRmT3_T4_T5_T6_T7_T9_mT8_P12ihipStream_tbDpT10_ENKUlT_T0_E_clISt17integral_constantIbLb1EES15_IbLb0EEEEDaS11_S12_EUlS11_E_NS1_11comp_targetILNS1_3genE0ELNS1_11target_archE4294967295ELNS1_3gpuE0ELNS1_3repE0EEENS1_30default_config_static_selectorELNS0_4arch9wavefront6targetE1EEEvT1_,comdat
.Lfunc_end63:
	.size	_ZN7rocprim17ROCPRIM_400000_NS6detail17trampoline_kernelINS0_14default_configENS1_25partition_config_selectorILNS1_17partition_subalgoE5ElNS0_10empty_typeEbEEZZNS1_14partition_implILS5_5ELb0ES3_mN6hipcub16HIPCUB_304000_NS21CountingInputIteratorIllEEPS6_NSA_22TransformInputIteratorIb7NonZeroIaEPalEENS0_5tupleIJPlS6_EEENSJ_IJSD_SD_EEES6_SK_JS6_EEE10hipError_tPvRmT3_T4_T5_T6_T7_T9_mT8_P12ihipStream_tbDpT10_ENKUlT_T0_E_clISt17integral_constantIbLb1EES15_IbLb0EEEEDaS11_S12_EUlS11_E_NS1_11comp_targetILNS1_3genE0ELNS1_11target_archE4294967295ELNS1_3gpuE0ELNS1_3repE0EEENS1_30default_config_static_selectorELNS0_4arch9wavefront6targetE1EEEvT1_, .Lfunc_end63-_ZN7rocprim17ROCPRIM_400000_NS6detail17trampoline_kernelINS0_14default_configENS1_25partition_config_selectorILNS1_17partition_subalgoE5ElNS0_10empty_typeEbEEZZNS1_14partition_implILS5_5ELb0ES3_mN6hipcub16HIPCUB_304000_NS21CountingInputIteratorIllEEPS6_NSA_22TransformInputIteratorIb7NonZeroIaEPalEENS0_5tupleIJPlS6_EEENSJ_IJSD_SD_EEES6_SK_JS6_EEE10hipError_tPvRmT3_T4_T5_T6_T7_T9_mT8_P12ihipStream_tbDpT10_ENKUlT_T0_E_clISt17integral_constantIbLb1EES15_IbLb0EEEEDaS11_S12_EUlS11_E_NS1_11comp_targetILNS1_3genE0ELNS1_11target_archE4294967295ELNS1_3gpuE0ELNS1_3repE0EEENS1_30default_config_static_selectorELNS0_4arch9wavefront6targetE1EEEvT1_
                                        ; -- End function
	.set _ZN7rocprim17ROCPRIM_400000_NS6detail17trampoline_kernelINS0_14default_configENS1_25partition_config_selectorILNS1_17partition_subalgoE5ElNS0_10empty_typeEbEEZZNS1_14partition_implILS5_5ELb0ES3_mN6hipcub16HIPCUB_304000_NS21CountingInputIteratorIllEEPS6_NSA_22TransformInputIteratorIb7NonZeroIaEPalEENS0_5tupleIJPlS6_EEENSJ_IJSD_SD_EEES6_SK_JS6_EEE10hipError_tPvRmT3_T4_T5_T6_T7_T9_mT8_P12ihipStream_tbDpT10_ENKUlT_T0_E_clISt17integral_constantIbLb1EES15_IbLb0EEEEDaS11_S12_EUlS11_E_NS1_11comp_targetILNS1_3genE0ELNS1_11target_archE4294967295ELNS1_3gpuE0ELNS1_3repE0EEENS1_30default_config_static_selectorELNS0_4arch9wavefront6targetE1EEEvT1_.num_vgpr, 0
	.set _ZN7rocprim17ROCPRIM_400000_NS6detail17trampoline_kernelINS0_14default_configENS1_25partition_config_selectorILNS1_17partition_subalgoE5ElNS0_10empty_typeEbEEZZNS1_14partition_implILS5_5ELb0ES3_mN6hipcub16HIPCUB_304000_NS21CountingInputIteratorIllEEPS6_NSA_22TransformInputIteratorIb7NonZeroIaEPalEENS0_5tupleIJPlS6_EEENSJ_IJSD_SD_EEES6_SK_JS6_EEE10hipError_tPvRmT3_T4_T5_T6_T7_T9_mT8_P12ihipStream_tbDpT10_ENKUlT_T0_E_clISt17integral_constantIbLb1EES15_IbLb0EEEEDaS11_S12_EUlS11_E_NS1_11comp_targetILNS1_3genE0ELNS1_11target_archE4294967295ELNS1_3gpuE0ELNS1_3repE0EEENS1_30default_config_static_selectorELNS0_4arch9wavefront6targetE1EEEvT1_.num_agpr, 0
	.set _ZN7rocprim17ROCPRIM_400000_NS6detail17trampoline_kernelINS0_14default_configENS1_25partition_config_selectorILNS1_17partition_subalgoE5ElNS0_10empty_typeEbEEZZNS1_14partition_implILS5_5ELb0ES3_mN6hipcub16HIPCUB_304000_NS21CountingInputIteratorIllEEPS6_NSA_22TransformInputIteratorIb7NonZeroIaEPalEENS0_5tupleIJPlS6_EEENSJ_IJSD_SD_EEES6_SK_JS6_EEE10hipError_tPvRmT3_T4_T5_T6_T7_T9_mT8_P12ihipStream_tbDpT10_ENKUlT_T0_E_clISt17integral_constantIbLb1EES15_IbLb0EEEEDaS11_S12_EUlS11_E_NS1_11comp_targetILNS1_3genE0ELNS1_11target_archE4294967295ELNS1_3gpuE0ELNS1_3repE0EEENS1_30default_config_static_selectorELNS0_4arch9wavefront6targetE1EEEvT1_.numbered_sgpr, 0
	.set _ZN7rocprim17ROCPRIM_400000_NS6detail17trampoline_kernelINS0_14default_configENS1_25partition_config_selectorILNS1_17partition_subalgoE5ElNS0_10empty_typeEbEEZZNS1_14partition_implILS5_5ELb0ES3_mN6hipcub16HIPCUB_304000_NS21CountingInputIteratorIllEEPS6_NSA_22TransformInputIteratorIb7NonZeroIaEPalEENS0_5tupleIJPlS6_EEENSJ_IJSD_SD_EEES6_SK_JS6_EEE10hipError_tPvRmT3_T4_T5_T6_T7_T9_mT8_P12ihipStream_tbDpT10_ENKUlT_T0_E_clISt17integral_constantIbLb1EES15_IbLb0EEEEDaS11_S12_EUlS11_E_NS1_11comp_targetILNS1_3genE0ELNS1_11target_archE4294967295ELNS1_3gpuE0ELNS1_3repE0EEENS1_30default_config_static_selectorELNS0_4arch9wavefront6targetE1EEEvT1_.num_named_barrier, 0
	.set _ZN7rocprim17ROCPRIM_400000_NS6detail17trampoline_kernelINS0_14default_configENS1_25partition_config_selectorILNS1_17partition_subalgoE5ElNS0_10empty_typeEbEEZZNS1_14partition_implILS5_5ELb0ES3_mN6hipcub16HIPCUB_304000_NS21CountingInputIteratorIllEEPS6_NSA_22TransformInputIteratorIb7NonZeroIaEPalEENS0_5tupleIJPlS6_EEENSJ_IJSD_SD_EEES6_SK_JS6_EEE10hipError_tPvRmT3_T4_T5_T6_T7_T9_mT8_P12ihipStream_tbDpT10_ENKUlT_T0_E_clISt17integral_constantIbLb1EES15_IbLb0EEEEDaS11_S12_EUlS11_E_NS1_11comp_targetILNS1_3genE0ELNS1_11target_archE4294967295ELNS1_3gpuE0ELNS1_3repE0EEENS1_30default_config_static_selectorELNS0_4arch9wavefront6targetE1EEEvT1_.private_seg_size, 0
	.set _ZN7rocprim17ROCPRIM_400000_NS6detail17trampoline_kernelINS0_14default_configENS1_25partition_config_selectorILNS1_17partition_subalgoE5ElNS0_10empty_typeEbEEZZNS1_14partition_implILS5_5ELb0ES3_mN6hipcub16HIPCUB_304000_NS21CountingInputIteratorIllEEPS6_NSA_22TransformInputIteratorIb7NonZeroIaEPalEENS0_5tupleIJPlS6_EEENSJ_IJSD_SD_EEES6_SK_JS6_EEE10hipError_tPvRmT3_T4_T5_T6_T7_T9_mT8_P12ihipStream_tbDpT10_ENKUlT_T0_E_clISt17integral_constantIbLb1EES15_IbLb0EEEEDaS11_S12_EUlS11_E_NS1_11comp_targetILNS1_3genE0ELNS1_11target_archE4294967295ELNS1_3gpuE0ELNS1_3repE0EEENS1_30default_config_static_selectorELNS0_4arch9wavefront6targetE1EEEvT1_.uses_vcc, 0
	.set _ZN7rocprim17ROCPRIM_400000_NS6detail17trampoline_kernelINS0_14default_configENS1_25partition_config_selectorILNS1_17partition_subalgoE5ElNS0_10empty_typeEbEEZZNS1_14partition_implILS5_5ELb0ES3_mN6hipcub16HIPCUB_304000_NS21CountingInputIteratorIllEEPS6_NSA_22TransformInputIteratorIb7NonZeroIaEPalEENS0_5tupleIJPlS6_EEENSJ_IJSD_SD_EEES6_SK_JS6_EEE10hipError_tPvRmT3_T4_T5_T6_T7_T9_mT8_P12ihipStream_tbDpT10_ENKUlT_T0_E_clISt17integral_constantIbLb1EES15_IbLb0EEEEDaS11_S12_EUlS11_E_NS1_11comp_targetILNS1_3genE0ELNS1_11target_archE4294967295ELNS1_3gpuE0ELNS1_3repE0EEENS1_30default_config_static_selectorELNS0_4arch9wavefront6targetE1EEEvT1_.uses_flat_scratch, 0
	.set _ZN7rocprim17ROCPRIM_400000_NS6detail17trampoline_kernelINS0_14default_configENS1_25partition_config_selectorILNS1_17partition_subalgoE5ElNS0_10empty_typeEbEEZZNS1_14partition_implILS5_5ELb0ES3_mN6hipcub16HIPCUB_304000_NS21CountingInputIteratorIllEEPS6_NSA_22TransformInputIteratorIb7NonZeroIaEPalEENS0_5tupleIJPlS6_EEENSJ_IJSD_SD_EEES6_SK_JS6_EEE10hipError_tPvRmT3_T4_T5_T6_T7_T9_mT8_P12ihipStream_tbDpT10_ENKUlT_T0_E_clISt17integral_constantIbLb1EES15_IbLb0EEEEDaS11_S12_EUlS11_E_NS1_11comp_targetILNS1_3genE0ELNS1_11target_archE4294967295ELNS1_3gpuE0ELNS1_3repE0EEENS1_30default_config_static_selectorELNS0_4arch9wavefront6targetE1EEEvT1_.has_dyn_sized_stack, 0
	.set _ZN7rocprim17ROCPRIM_400000_NS6detail17trampoline_kernelINS0_14default_configENS1_25partition_config_selectorILNS1_17partition_subalgoE5ElNS0_10empty_typeEbEEZZNS1_14partition_implILS5_5ELb0ES3_mN6hipcub16HIPCUB_304000_NS21CountingInputIteratorIllEEPS6_NSA_22TransformInputIteratorIb7NonZeroIaEPalEENS0_5tupleIJPlS6_EEENSJ_IJSD_SD_EEES6_SK_JS6_EEE10hipError_tPvRmT3_T4_T5_T6_T7_T9_mT8_P12ihipStream_tbDpT10_ENKUlT_T0_E_clISt17integral_constantIbLb1EES15_IbLb0EEEEDaS11_S12_EUlS11_E_NS1_11comp_targetILNS1_3genE0ELNS1_11target_archE4294967295ELNS1_3gpuE0ELNS1_3repE0EEENS1_30default_config_static_selectorELNS0_4arch9wavefront6targetE1EEEvT1_.has_recursion, 0
	.set _ZN7rocprim17ROCPRIM_400000_NS6detail17trampoline_kernelINS0_14default_configENS1_25partition_config_selectorILNS1_17partition_subalgoE5ElNS0_10empty_typeEbEEZZNS1_14partition_implILS5_5ELb0ES3_mN6hipcub16HIPCUB_304000_NS21CountingInputIteratorIllEEPS6_NSA_22TransformInputIteratorIb7NonZeroIaEPalEENS0_5tupleIJPlS6_EEENSJ_IJSD_SD_EEES6_SK_JS6_EEE10hipError_tPvRmT3_T4_T5_T6_T7_T9_mT8_P12ihipStream_tbDpT10_ENKUlT_T0_E_clISt17integral_constantIbLb1EES15_IbLb0EEEEDaS11_S12_EUlS11_E_NS1_11comp_targetILNS1_3genE0ELNS1_11target_archE4294967295ELNS1_3gpuE0ELNS1_3repE0EEENS1_30default_config_static_selectorELNS0_4arch9wavefront6targetE1EEEvT1_.has_indirect_call, 0
	.section	.AMDGPU.csdata,"",@progbits
; Kernel info:
; codeLenInByte = 0
; TotalNumSgprs: 4
; NumVgprs: 0
; ScratchSize: 0
; MemoryBound: 0
; FloatMode: 240
; IeeeMode: 1
; LDSByteSize: 0 bytes/workgroup (compile time only)
; SGPRBlocks: 0
; VGPRBlocks: 0
; NumSGPRsForWavesPerEU: 4
; NumVGPRsForWavesPerEU: 1
; Occupancy: 10
; WaveLimiterHint : 0
; COMPUTE_PGM_RSRC2:SCRATCH_EN: 0
; COMPUTE_PGM_RSRC2:USER_SGPR: 6
; COMPUTE_PGM_RSRC2:TRAP_HANDLER: 0
; COMPUTE_PGM_RSRC2:TGID_X_EN: 1
; COMPUTE_PGM_RSRC2:TGID_Y_EN: 0
; COMPUTE_PGM_RSRC2:TGID_Z_EN: 0
; COMPUTE_PGM_RSRC2:TIDIG_COMP_CNT: 0
	.section	.text._ZN7rocprim17ROCPRIM_400000_NS6detail17trampoline_kernelINS0_14default_configENS1_25partition_config_selectorILNS1_17partition_subalgoE5ElNS0_10empty_typeEbEEZZNS1_14partition_implILS5_5ELb0ES3_mN6hipcub16HIPCUB_304000_NS21CountingInputIteratorIllEEPS6_NSA_22TransformInputIteratorIb7NonZeroIaEPalEENS0_5tupleIJPlS6_EEENSJ_IJSD_SD_EEES6_SK_JS6_EEE10hipError_tPvRmT3_T4_T5_T6_T7_T9_mT8_P12ihipStream_tbDpT10_ENKUlT_T0_E_clISt17integral_constantIbLb1EES15_IbLb0EEEEDaS11_S12_EUlS11_E_NS1_11comp_targetILNS1_3genE5ELNS1_11target_archE942ELNS1_3gpuE9ELNS1_3repE0EEENS1_30default_config_static_selectorELNS0_4arch9wavefront6targetE1EEEvT1_,"axG",@progbits,_ZN7rocprim17ROCPRIM_400000_NS6detail17trampoline_kernelINS0_14default_configENS1_25partition_config_selectorILNS1_17partition_subalgoE5ElNS0_10empty_typeEbEEZZNS1_14partition_implILS5_5ELb0ES3_mN6hipcub16HIPCUB_304000_NS21CountingInputIteratorIllEEPS6_NSA_22TransformInputIteratorIb7NonZeroIaEPalEENS0_5tupleIJPlS6_EEENSJ_IJSD_SD_EEES6_SK_JS6_EEE10hipError_tPvRmT3_T4_T5_T6_T7_T9_mT8_P12ihipStream_tbDpT10_ENKUlT_T0_E_clISt17integral_constantIbLb1EES15_IbLb0EEEEDaS11_S12_EUlS11_E_NS1_11comp_targetILNS1_3genE5ELNS1_11target_archE942ELNS1_3gpuE9ELNS1_3repE0EEENS1_30default_config_static_selectorELNS0_4arch9wavefront6targetE1EEEvT1_,comdat
	.protected	_ZN7rocprim17ROCPRIM_400000_NS6detail17trampoline_kernelINS0_14default_configENS1_25partition_config_selectorILNS1_17partition_subalgoE5ElNS0_10empty_typeEbEEZZNS1_14partition_implILS5_5ELb0ES3_mN6hipcub16HIPCUB_304000_NS21CountingInputIteratorIllEEPS6_NSA_22TransformInputIteratorIb7NonZeroIaEPalEENS0_5tupleIJPlS6_EEENSJ_IJSD_SD_EEES6_SK_JS6_EEE10hipError_tPvRmT3_T4_T5_T6_T7_T9_mT8_P12ihipStream_tbDpT10_ENKUlT_T0_E_clISt17integral_constantIbLb1EES15_IbLb0EEEEDaS11_S12_EUlS11_E_NS1_11comp_targetILNS1_3genE5ELNS1_11target_archE942ELNS1_3gpuE9ELNS1_3repE0EEENS1_30default_config_static_selectorELNS0_4arch9wavefront6targetE1EEEvT1_ ; -- Begin function _ZN7rocprim17ROCPRIM_400000_NS6detail17trampoline_kernelINS0_14default_configENS1_25partition_config_selectorILNS1_17partition_subalgoE5ElNS0_10empty_typeEbEEZZNS1_14partition_implILS5_5ELb0ES3_mN6hipcub16HIPCUB_304000_NS21CountingInputIteratorIllEEPS6_NSA_22TransformInputIteratorIb7NonZeroIaEPalEENS0_5tupleIJPlS6_EEENSJ_IJSD_SD_EEES6_SK_JS6_EEE10hipError_tPvRmT3_T4_T5_T6_T7_T9_mT8_P12ihipStream_tbDpT10_ENKUlT_T0_E_clISt17integral_constantIbLb1EES15_IbLb0EEEEDaS11_S12_EUlS11_E_NS1_11comp_targetILNS1_3genE5ELNS1_11target_archE942ELNS1_3gpuE9ELNS1_3repE0EEENS1_30default_config_static_selectorELNS0_4arch9wavefront6targetE1EEEvT1_
	.globl	_ZN7rocprim17ROCPRIM_400000_NS6detail17trampoline_kernelINS0_14default_configENS1_25partition_config_selectorILNS1_17partition_subalgoE5ElNS0_10empty_typeEbEEZZNS1_14partition_implILS5_5ELb0ES3_mN6hipcub16HIPCUB_304000_NS21CountingInputIteratorIllEEPS6_NSA_22TransformInputIteratorIb7NonZeroIaEPalEENS0_5tupleIJPlS6_EEENSJ_IJSD_SD_EEES6_SK_JS6_EEE10hipError_tPvRmT3_T4_T5_T6_T7_T9_mT8_P12ihipStream_tbDpT10_ENKUlT_T0_E_clISt17integral_constantIbLb1EES15_IbLb0EEEEDaS11_S12_EUlS11_E_NS1_11comp_targetILNS1_3genE5ELNS1_11target_archE942ELNS1_3gpuE9ELNS1_3repE0EEENS1_30default_config_static_selectorELNS0_4arch9wavefront6targetE1EEEvT1_
	.p2align	8
	.type	_ZN7rocprim17ROCPRIM_400000_NS6detail17trampoline_kernelINS0_14default_configENS1_25partition_config_selectorILNS1_17partition_subalgoE5ElNS0_10empty_typeEbEEZZNS1_14partition_implILS5_5ELb0ES3_mN6hipcub16HIPCUB_304000_NS21CountingInputIteratorIllEEPS6_NSA_22TransformInputIteratorIb7NonZeroIaEPalEENS0_5tupleIJPlS6_EEENSJ_IJSD_SD_EEES6_SK_JS6_EEE10hipError_tPvRmT3_T4_T5_T6_T7_T9_mT8_P12ihipStream_tbDpT10_ENKUlT_T0_E_clISt17integral_constantIbLb1EES15_IbLb0EEEEDaS11_S12_EUlS11_E_NS1_11comp_targetILNS1_3genE5ELNS1_11target_archE942ELNS1_3gpuE9ELNS1_3repE0EEENS1_30default_config_static_selectorELNS0_4arch9wavefront6targetE1EEEvT1_,@function
_ZN7rocprim17ROCPRIM_400000_NS6detail17trampoline_kernelINS0_14default_configENS1_25partition_config_selectorILNS1_17partition_subalgoE5ElNS0_10empty_typeEbEEZZNS1_14partition_implILS5_5ELb0ES3_mN6hipcub16HIPCUB_304000_NS21CountingInputIteratorIllEEPS6_NSA_22TransformInputIteratorIb7NonZeroIaEPalEENS0_5tupleIJPlS6_EEENSJ_IJSD_SD_EEES6_SK_JS6_EEE10hipError_tPvRmT3_T4_T5_T6_T7_T9_mT8_P12ihipStream_tbDpT10_ENKUlT_T0_E_clISt17integral_constantIbLb1EES15_IbLb0EEEEDaS11_S12_EUlS11_E_NS1_11comp_targetILNS1_3genE5ELNS1_11target_archE942ELNS1_3gpuE9ELNS1_3repE0EEENS1_30default_config_static_selectorELNS0_4arch9wavefront6targetE1EEEvT1_: ; @_ZN7rocprim17ROCPRIM_400000_NS6detail17trampoline_kernelINS0_14default_configENS1_25partition_config_selectorILNS1_17partition_subalgoE5ElNS0_10empty_typeEbEEZZNS1_14partition_implILS5_5ELb0ES3_mN6hipcub16HIPCUB_304000_NS21CountingInputIteratorIllEEPS6_NSA_22TransformInputIteratorIb7NonZeroIaEPalEENS0_5tupleIJPlS6_EEENSJ_IJSD_SD_EEES6_SK_JS6_EEE10hipError_tPvRmT3_T4_T5_T6_T7_T9_mT8_P12ihipStream_tbDpT10_ENKUlT_T0_E_clISt17integral_constantIbLb1EES15_IbLb0EEEEDaS11_S12_EUlS11_E_NS1_11comp_targetILNS1_3genE5ELNS1_11target_archE942ELNS1_3gpuE9ELNS1_3repE0EEENS1_30default_config_static_selectorELNS0_4arch9wavefront6targetE1EEEvT1_
; %bb.0:
	.section	.rodata,"a",@progbits
	.p2align	6, 0x0
	.amdhsa_kernel _ZN7rocprim17ROCPRIM_400000_NS6detail17trampoline_kernelINS0_14default_configENS1_25partition_config_selectorILNS1_17partition_subalgoE5ElNS0_10empty_typeEbEEZZNS1_14partition_implILS5_5ELb0ES3_mN6hipcub16HIPCUB_304000_NS21CountingInputIteratorIllEEPS6_NSA_22TransformInputIteratorIb7NonZeroIaEPalEENS0_5tupleIJPlS6_EEENSJ_IJSD_SD_EEES6_SK_JS6_EEE10hipError_tPvRmT3_T4_T5_T6_T7_T9_mT8_P12ihipStream_tbDpT10_ENKUlT_T0_E_clISt17integral_constantIbLb1EES15_IbLb0EEEEDaS11_S12_EUlS11_E_NS1_11comp_targetILNS1_3genE5ELNS1_11target_archE942ELNS1_3gpuE9ELNS1_3repE0EEENS1_30default_config_static_selectorELNS0_4arch9wavefront6targetE1EEEvT1_
		.amdhsa_group_segment_fixed_size 0
		.amdhsa_private_segment_fixed_size 0
		.amdhsa_kernarg_size 120
		.amdhsa_user_sgpr_count 6
		.amdhsa_user_sgpr_private_segment_buffer 1
		.amdhsa_user_sgpr_dispatch_ptr 0
		.amdhsa_user_sgpr_queue_ptr 0
		.amdhsa_user_sgpr_kernarg_segment_ptr 1
		.amdhsa_user_sgpr_dispatch_id 0
		.amdhsa_user_sgpr_flat_scratch_init 0
		.amdhsa_user_sgpr_private_segment_size 0
		.amdhsa_uses_dynamic_stack 0
		.amdhsa_system_sgpr_private_segment_wavefront_offset 0
		.amdhsa_system_sgpr_workgroup_id_x 1
		.amdhsa_system_sgpr_workgroup_id_y 0
		.amdhsa_system_sgpr_workgroup_id_z 0
		.amdhsa_system_sgpr_workgroup_info 0
		.amdhsa_system_vgpr_workitem_id 0
		.amdhsa_next_free_vgpr 1
		.amdhsa_next_free_sgpr 0
		.amdhsa_reserve_vcc 0
		.amdhsa_reserve_flat_scratch 0
		.amdhsa_float_round_mode_32 0
		.amdhsa_float_round_mode_16_64 0
		.amdhsa_float_denorm_mode_32 3
		.amdhsa_float_denorm_mode_16_64 3
		.amdhsa_dx10_clamp 1
		.amdhsa_ieee_mode 1
		.amdhsa_fp16_overflow 0
		.amdhsa_exception_fp_ieee_invalid_op 0
		.amdhsa_exception_fp_denorm_src 0
		.amdhsa_exception_fp_ieee_div_zero 0
		.amdhsa_exception_fp_ieee_overflow 0
		.amdhsa_exception_fp_ieee_underflow 0
		.amdhsa_exception_fp_ieee_inexact 0
		.amdhsa_exception_int_div_zero 0
	.end_amdhsa_kernel
	.section	.text._ZN7rocprim17ROCPRIM_400000_NS6detail17trampoline_kernelINS0_14default_configENS1_25partition_config_selectorILNS1_17partition_subalgoE5ElNS0_10empty_typeEbEEZZNS1_14partition_implILS5_5ELb0ES3_mN6hipcub16HIPCUB_304000_NS21CountingInputIteratorIllEEPS6_NSA_22TransformInputIteratorIb7NonZeroIaEPalEENS0_5tupleIJPlS6_EEENSJ_IJSD_SD_EEES6_SK_JS6_EEE10hipError_tPvRmT3_T4_T5_T6_T7_T9_mT8_P12ihipStream_tbDpT10_ENKUlT_T0_E_clISt17integral_constantIbLb1EES15_IbLb0EEEEDaS11_S12_EUlS11_E_NS1_11comp_targetILNS1_3genE5ELNS1_11target_archE942ELNS1_3gpuE9ELNS1_3repE0EEENS1_30default_config_static_selectorELNS0_4arch9wavefront6targetE1EEEvT1_,"axG",@progbits,_ZN7rocprim17ROCPRIM_400000_NS6detail17trampoline_kernelINS0_14default_configENS1_25partition_config_selectorILNS1_17partition_subalgoE5ElNS0_10empty_typeEbEEZZNS1_14partition_implILS5_5ELb0ES3_mN6hipcub16HIPCUB_304000_NS21CountingInputIteratorIllEEPS6_NSA_22TransformInputIteratorIb7NonZeroIaEPalEENS0_5tupleIJPlS6_EEENSJ_IJSD_SD_EEES6_SK_JS6_EEE10hipError_tPvRmT3_T4_T5_T6_T7_T9_mT8_P12ihipStream_tbDpT10_ENKUlT_T0_E_clISt17integral_constantIbLb1EES15_IbLb0EEEEDaS11_S12_EUlS11_E_NS1_11comp_targetILNS1_3genE5ELNS1_11target_archE942ELNS1_3gpuE9ELNS1_3repE0EEENS1_30default_config_static_selectorELNS0_4arch9wavefront6targetE1EEEvT1_,comdat
.Lfunc_end64:
	.size	_ZN7rocprim17ROCPRIM_400000_NS6detail17trampoline_kernelINS0_14default_configENS1_25partition_config_selectorILNS1_17partition_subalgoE5ElNS0_10empty_typeEbEEZZNS1_14partition_implILS5_5ELb0ES3_mN6hipcub16HIPCUB_304000_NS21CountingInputIteratorIllEEPS6_NSA_22TransformInputIteratorIb7NonZeroIaEPalEENS0_5tupleIJPlS6_EEENSJ_IJSD_SD_EEES6_SK_JS6_EEE10hipError_tPvRmT3_T4_T5_T6_T7_T9_mT8_P12ihipStream_tbDpT10_ENKUlT_T0_E_clISt17integral_constantIbLb1EES15_IbLb0EEEEDaS11_S12_EUlS11_E_NS1_11comp_targetILNS1_3genE5ELNS1_11target_archE942ELNS1_3gpuE9ELNS1_3repE0EEENS1_30default_config_static_selectorELNS0_4arch9wavefront6targetE1EEEvT1_, .Lfunc_end64-_ZN7rocprim17ROCPRIM_400000_NS6detail17trampoline_kernelINS0_14default_configENS1_25partition_config_selectorILNS1_17partition_subalgoE5ElNS0_10empty_typeEbEEZZNS1_14partition_implILS5_5ELb0ES3_mN6hipcub16HIPCUB_304000_NS21CountingInputIteratorIllEEPS6_NSA_22TransformInputIteratorIb7NonZeroIaEPalEENS0_5tupleIJPlS6_EEENSJ_IJSD_SD_EEES6_SK_JS6_EEE10hipError_tPvRmT3_T4_T5_T6_T7_T9_mT8_P12ihipStream_tbDpT10_ENKUlT_T0_E_clISt17integral_constantIbLb1EES15_IbLb0EEEEDaS11_S12_EUlS11_E_NS1_11comp_targetILNS1_3genE5ELNS1_11target_archE942ELNS1_3gpuE9ELNS1_3repE0EEENS1_30default_config_static_selectorELNS0_4arch9wavefront6targetE1EEEvT1_
                                        ; -- End function
	.set _ZN7rocprim17ROCPRIM_400000_NS6detail17trampoline_kernelINS0_14default_configENS1_25partition_config_selectorILNS1_17partition_subalgoE5ElNS0_10empty_typeEbEEZZNS1_14partition_implILS5_5ELb0ES3_mN6hipcub16HIPCUB_304000_NS21CountingInputIteratorIllEEPS6_NSA_22TransformInputIteratorIb7NonZeroIaEPalEENS0_5tupleIJPlS6_EEENSJ_IJSD_SD_EEES6_SK_JS6_EEE10hipError_tPvRmT3_T4_T5_T6_T7_T9_mT8_P12ihipStream_tbDpT10_ENKUlT_T0_E_clISt17integral_constantIbLb1EES15_IbLb0EEEEDaS11_S12_EUlS11_E_NS1_11comp_targetILNS1_3genE5ELNS1_11target_archE942ELNS1_3gpuE9ELNS1_3repE0EEENS1_30default_config_static_selectorELNS0_4arch9wavefront6targetE1EEEvT1_.num_vgpr, 0
	.set _ZN7rocprim17ROCPRIM_400000_NS6detail17trampoline_kernelINS0_14default_configENS1_25partition_config_selectorILNS1_17partition_subalgoE5ElNS0_10empty_typeEbEEZZNS1_14partition_implILS5_5ELb0ES3_mN6hipcub16HIPCUB_304000_NS21CountingInputIteratorIllEEPS6_NSA_22TransformInputIteratorIb7NonZeroIaEPalEENS0_5tupleIJPlS6_EEENSJ_IJSD_SD_EEES6_SK_JS6_EEE10hipError_tPvRmT3_T4_T5_T6_T7_T9_mT8_P12ihipStream_tbDpT10_ENKUlT_T0_E_clISt17integral_constantIbLb1EES15_IbLb0EEEEDaS11_S12_EUlS11_E_NS1_11comp_targetILNS1_3genE5ELNS1_11target_archE942ELNS1_3gpuE9ELNS1_3repE0EEENS1_30default_config_static_selectorELNS0_4arch9wavefront6targetE1EEEvT1_.num_agpr, 0
	.set _ZN7rocprim17ROCPRIM_400000_NS6detail17trampoline_kernelINS0_14default_configENS1_25partition_config_selectorILNS1_17partition_subalgoE5ElNS0_10empty_typeEbEEZZNS1_14partition_implILS5_5ELb0ES3_mN6hipcub16HIPCUB_304000_NS21CountingInputIteratorIllEEPS6_NSA_22TransformInputIteratorIb7NonZeroIaEPalEENS0_5tupleIJPlS6_EEENSJ_IJSD_SD_EEES6_SK_JS6_EEE10hipError_tPvRmT3_T4_T5_T6_T7_T9_mT8_P12ihipStream_tbDpT10_ENKUlT_T0_E_clISt17integral_constantIbLb1EES15_IbLb0EEEEDaS11_S12_EUlS11_E_NS1_11comp_targetILNS1_3genE5ELNS1_11target_archE942ELNS1_3gpuE9ELNS1_3repE0EEENS1_30default_config_static_selectorELNS0_4arch9wavefront6targetE1EEEvT1_.numbered_sgpr, 0
	.set _ZN7rocprim17ROCPRIM_400000_NS6detail17trampoline_kernelINS0_14default_configENS1_25partition_config_selectorILNS1_17partition_subalgoE5ElNS0_10empty_typeEbEEZZNS1_14partition_implILS5_5ELb0ES3_mN6hipcub16HIPCUB_304000_NS21CountingInputIteratorIllEEPS6_NSA_22TransformInputIteratorIb7NonZeroIaEPalEENS0_5tupleIJPlS6_EEENSJ_IJSD_SD_EEES6_SK_JS6_EEE10hipError_tPvRmT3_T4_T5_T6_T7_T9_mT8_P12ihipStream_tbDpT10_ENKUlT_T0_E_clISt17integral_constantIbLb1EES15_IbLb0EEEEDaS11_S12_EUlS11_E_NS1_11comp_targetILNS1_3genE5ELNS1_11target_archE942ELNS1_3gpuE9ELNS1_3repE0EEENS1_30default_config_static_selectorELNS0_4arch9wavefront6targetE1EEEvT1_.num_named_barrier, 0
	.set _ZN7rocprim17ROCPRIM_400000_NS6detail17trampoline_kernelINS0_14default_configENS1_25partition_config_selectorILNS1_17partition_subalgoE5ElNS0_10empty_typeEbEEZZNS1_14partition_implILS5_5ELb0ES3_mN6hipcub16HIPCUB_304000_NS21CountingInputIteratorIllEEPS6_NSA_22TransformInputIteratorIb7NonZeroIaEPalEENS0_5tupleIJPlS6_EEENSJ_IJSD_SD_EEES6_SK_JS6_EEE10hipError_tPvRmT3_T4_T5_T6_T7_T9_mT8_P12ihipStream_tbDpT10_ENKUlT_T0_E_clISt17integral_constantIbLb1EES15_IbLb0EEEEDaS11_S12_EUlS11_E_NS1_11comp_targetILNS1_3genE5ELNS1_11target_archE942ELNS1_3gpuE9ELNS1_3repE0EEENS1_30default_config_static_selectorELNS0_4arch9wavefront6targetE1EEEvT1_.private_seg_size, 0
	.set _ZN7rocprim17ROCPRIM_400000_NS6detail17trampoline_kernelINS0_14default_configENS1_25partition_config_selectorILNS1_17partition_subalgoE5ElNS0_10empty_typeEbEEZZNS1_14partition_implILS5_5ELb0ES3_mN6hipcub16HIPCUB_304000_NS21CountingInputIteratorIllEEPS6_NSA_22TransformInputIteratorIb7NonZeroIaEPalEENS0_5tupleIJPlS6_EEENSJ_IJSD_SD_EEES6_SK_JS6_EEE10hipError_tPvRmT3_T4_T5_T6_T7_T9_mT8_P12ihipStream_tbDpT10_ENKUlT_T0_E_clISt17integral_constantIbLb1EES15_IbLb0EEEEDaS11_S12_EUlS11_E_NS1_11comp_targetILNS1_3genE5ELNS1_11target_archE942ELNS1_3gpuE9ELNS1_3repE0EEENS1_30default_config_static_selectorELNS0_4arch9wavefront6targetE1EEEvT1_.uses_vcc, 0
	.set _ZN7rocprim17ROCPRIM_400000_NS6detail17trampoline_kernelINS0_14default_configENS1_25partition_config_selectorILNS1_17partition_subalgoE5ElNS0_10empty_typeEbEEZZNS1_14partition_implILS5_5ELb0ES3_mN6hipcub16HIPCUB_304000_NS21CountingInputIteratorIllEEPS6_NSA_22TransformInputIteratorIb7NonZeroIaEPalEENS0_5tupleIJPlS6_EEENSJ_IJSD_SD_EEES6_SK_JS6_EEE10hipError_tPvRmT3_T4_T5_T6_T7_T9_mT8_P12ihipStream_tbDpT10_ENKUlT_T0_E_clISt17integral_constantIbLb1EES15_IbLb0EEEEDaS11_S12_EUlS11_E_NS1_11comp_targetILNS1_3genE5ELNS1_11target_archE942ELNS1_3gpuE9ELNS1_3repE0EEENS1_30default_config_static_selectorELNS0_4arch9wavefront6targetE1EEEvT1_.uses_flat_scratch, 0
	.set _ZN7rocprim17ROCPRIM_400000_NS6detail17trampoline_kernelINS0_14default_configENS1_25partition_config_selectorILNS1_17partition_subalgoE5ElNS0_10empty_typeEbEEZZNS1_14partition_implILS5_5ELb0ES3_mN6hipcub16HIPCUB_304000_NS21CountingInputIteratorIllEEPS6_NSA_22TransformInputIteratorIb7NonZeroIaEPalEENS0_5tupleIJPlS6_EEENSJ_IJSD_SD_EEES6_SK_JS6_EEE10hipError_tPvRmT3_T4_T5_T6_T7_T9_mT8_P12ihipStream_tbDpT10_ENKUlT_T0_E_clISt17integral_constantIbLb1EES15_IbLb0EEEEDaS11_S12_EUlS11_E_NS1_11comp_targetILNS1_3genE5ELNS1_11target_archE942ELNS1_3gpuE9ELNS1_3repE0EEENS1_30default_config_static_selectorELNS0_4arch9wavefront6targetE1EEEvT1_.has_dyn_sized_stack, 0
	.set _ZN7rocprim17ROCPRIM_400000_NS6detail17trampoline_kernelINS0_14default_configENS1_25partition_config_selectorILNS1_17partition_subalgoE5ElNS0_10empty_typeEbEEZZNS1_14partition_implILS5_5ELb0ES3_mN6hipcub16HIPCUB_304000_NS21CountingInputIteratorIllEEPS6_NSA_22TransformInputIteratorIb7NonZeroIaEPalEENS0_5tupleIJPlS6_EEENSJ_IJSD_SD_EEES6_SK_JS6_EEE10hipError_tPvRmT3_T4_T5_T6_T7_T9_mT8_P12ihipStream_tbDpT10_ENKUlT_T0_E_clISt17integral_constantIbLb1EES15_IbLb0EEEEDaS11_S12_EUlS11_E_NS1_11comp_targetILNS1_3genE5ELNS1_11target_archE942ELNS1_3gpuE9ELNS1_3repE0EEENS1_30default_config_static_selectorELNS0_4arch9wavefront6targetE1EEEvT1_.has_recursion, 0
	.set _ZN7rocprim17ROCPRIM_400000_NS6detail17trampoline_kernelINS0_14default_configENS1_25partition_config_selectorILNS1_17partition_subalgoE5ElNS0_10empty_typeEbEEZZNS1_14partition_implILS5_5ELb0ES3_mN6hipcub16HIPCUB_304000_NS21CountingInputIteratorIllEEPS6_NSA_22TransformInputIteratorIb7NonZeroIaEPalEENS0_5tupleIJPlS6_EEENSJ_IJSD_SD_EEES6_SK_JS6_EEE10hipError_tPvRmT3_T4_T5_T6_T7_T9_mT8_P12ihipStream_tbDpT10_ENKUlT_T0_E_clISt17integral_constantIbLb1EES15_IbLb0EEEEDaS11_S12_EUlS11_E_NS1_11comp_targetILNS1_3genE5ELNS1_11target_archE942ELNS1_3gpuE9ELNS1_3repE0EEENS1_30default_config_static_selectorELNS0_4arch9wavefront6targetE1EEEvT1_.has_indirect_call, 0
	.section	.AMDGPU.csdata,"",@progbits
; Kernel info:
; codeLenInByte = 0
; TotalNumSgprs: 4
; NumVgprs: 0
; ScratchSize: 0
; MemoryBound: 0
; FloatMode: 240
; IeeeMode: 1
; LDSByteSize: 0 bytes/workgroup (compile time only)
; SGPRBlocks: 0
; VGPRBlocks: 0
; NumSGPRsForWavesPerEU: 4
; NumVGPRsForWavesPerEU: 1
; Occupancy: 10
; WaveLimiterHint : 0
; COMPUTE_PGM_RSRC2:SCRATCH_EN: 0
; COMPUTE_PGM_RSRC2:USER_SGPR: 6
; COMPUTE_PGM_RSRC2:TRAP_HANDLER: 0
; COMPUTE_PGM_RSRC2:TGID_X_EN: 1
; COMPUTE_PGM_RSRC2:TGID_Y_EN: 0
; COMPUTE_PGM_RSRC2:TGID_Z_EN: 0
; COMPUTE_PGM_RSRC2:TIDIG_COMP_CNT: 0
	.section	.text._ZN7rocprim17ROCPRIM_400000_NS6detail17trampoline_kernelINS0_14default_configENS1_25partition_config_selectorILNS1_17partition_subalgoE5ElNS0_10empty_typeEbEEZZNS1_14partition_implILS5_5ELb0ES3_mN6hipcub16HIPCUB_304000_NS21CountingInputIteratorIllEEPS6_NSA_22TransformInputIteratorIb7NonZeroIaEPalEENS0_5tupleIJPlS6_EEENSJ_IJSD_SD_EEES6_SK_JS6_EEE10hipError_tPvRmT3_T4_T5_T6_T7_T9_mT8_P12ihipStream_tbDpT10_ENKUlT_T0_E_clISt17integral_constantIbLb1EES15_IbLb0EEEEDaS11_S12_EUlS11_E_NS1_11comp_targetILNS1_3genE4ELNS1_11target_archE910ELNS1_3gpuE8ELNS1_3repE0EEENS1_30default_config_static_selectorELNS0_4arch9wavefront6targetE1EEEvT1_,"axG",@progbits,_ZN7rocprim17ROCPRIM_400000_NS6detail17trampoline_kernelINS0_14default_configENS1_25partition_config_selectorILNS1_17partition_subalgoE5ElNS0_10empty_typeEbEEZZNS1_14partition_implILS5_5ELb0ES3_mN6hipcub16HIPCUB_304000_NS21CountingInputIteratorIllEEPS6_NSA_22TransformInputIteratorIb7NonZeroIaEPalEENS0_5tupleIJPlS6_EEENSJ_IJSD_SD_EEES6_SK_JS6_EEE10hipError_tPvRmT3_T4_T5_T6_T7_T9_mT8_P12ihipStream_tbDpT10_ENKUlT_T0_E_clISt17integral_constantIbLb1EES15_IbLb0EEEEDaS11_S12_EUlS11_E_NS1_11comp_targetILNS1_3genE4ELNS1_11target_archE910ELNS1_3gpuE8ELNS1_3repE0EEENS1_30default_config_static_selectorELNS0_4arch9wavefront6targetE1EEEvT1_,comdat
	.protected	_ZN7rocprim17ROCPRIM_400000_NS6detail17trampoline_kernelINS0_14default_configENS1_25partition_config_selectorILNS1_17partition_subalgoE5ElNS0_10empty_typeEbEEZZNS1_14partition_implILS5_5ELb0ES3_mN6hipcub16HIPCUB_304000_NS21CountingInputIteratorIllEEPS6_NSA_22TransformInputIteratorIb7NonZeroIaEPalEENS0_5tupleIJPlS6_EEENSJ_IJSD_SD_EEES6_SK_JS6_EEE10hipError_tPvRmT3_T4_T5_T6_T7_T9_mT8_P12ihipStream_tbDpT10_ENKUlT_T0_E_clISt17integral_constantIbLb1EES15_IbLb0EEEEDaS11_S12_EUlS11_E_NS1_11comp_targetILNS1_3genE4ELNS1_11target_archE910ELNS1_3gpuE8ELNS1_3repE0EEENS1_30default_config_static_selectorELNS0_4arch9wavefront6targetE1EEEvT1_ ; -- Begin function _ZN7rocprim17ROCPRIM_400000_NS6detail17trampoline_kernelINS0_14default_configENS1_25partition_config_selectorILNS1_17partition_subalgoE5ElNS0_10empty_typeEbEEZZNS1_14partition_implILS5_5ELb0ES3_mN6hipcub16HIPCUB_304000_NS21CountingInputIteratorIllEEPS6_NSA_22TransformInputIteratorIb7NonZeroIaEPalEENS0_5tupleIJPlS6_EEENSJ_IJSD_SD_EEES6_SK_JS6_EEE10hipError_tPvRmT3_T4_T5_T6_T7_T9_mT8_P12ihipStream_tbDpT10_ENKUlT_T0_E_clISt17integral_constantIbLb1EES15_IbLb0EEEEDaS11_S12_EUlS11_E_NS1_11comp_targetILNS1_3genE4ELNS1_11target_archE910ELNS1_3gpuE8ELNS1_3repE0EEENS1_30default_config_static_selectorELNS0_4arch9wavefront6targetE1EEEvT1_
	.globl	_ZN7rocprim17ROCPRIM_400000_NS6detail17trampoline_kernelINS0_14default_configENS1_25partition_config_selectorILNS1_17partition_subalgoE5ElNS0_10empty_typeEbEEZZNS1_14partition_implILS5_5ELb0ES3_mN6hipcub16HIPCUB_304000_NS21CountingInputIteratorIllEEPS6_NSA_22TransformInputIteratorIb7NonZeroIaEPalEENS0_5tupleIJPlS6_EEENSJ_IJSD_SD_EEES6_SK_JS6_EEE10hipError_tPvRmT3_T4_T5_T6_T7_T9_mT8_P12ihipStream_tbDpT10_ENKUlT_T0_E_clISt17integral_constantIbLb1EES15_IbLb0EEEEDaS11_S12_EUlS11_E_NS1_11comp_targetILNS1_3genE4ELNS1_11target_archE910ELNS1_3gpuE8ELNS1_3repE0EEENS1_30default_config_static_selectorELNS0_4arch9wavefront6targetE1EEEvT1_
	.p2align	8
	.type	_ZN7rocprim17ROCPRIM_400000_NS6detail17trampoline_kernelINS0_14default_configENS1_25partition_config_selectorILNS1_17partition_subalgoE5ElNS0_10empty_typeEbEEZZNS1_14partition_implILS5_5ELb0ES3_mN6hipcub16HIPCUB_304000_NS21CountingInputIteratorIllEEPS6_NSA_22TransformInputIteratorIb7NonZeroIaEPalEENS0_5tupleIJPlS6_EEENSJ_IJSD_SD_EEES6_SK_JS6_EEE10hipError_tPvRmT3_T4_T5_T6_T7_T9_mT8_P12ihipStream_tbDpT10_ENKUlT_T0_E_clISt17integral_constantIbLb1EES15_IbLb0EEEEDaS11_S12_EUlS11_E_NS1_11comp_targetILNS1_3genE4ELNS1_11target_archE910ELNS1_3gpuE8ELNS1_3repE0EEENS1_30default_config_static_selectorELNS0_4arch9wavefront6targetE1EEEvT1_,@function
_ZN7rocprim17ROCPRIM_400000_NS6detail17trampoline_kernelINS0_14default_configENS1_25partition_config_selectorILNS1_17partition_subalgoE5ElNS0_10empty_typeEbEEZZNS1_14partition_implILS5_5ELb0ES3_mN6hipcub16HIPCUB_304000_NS21CountingInputIteratorIllEEPS6_NSA_22TransformInputIteratorIb7NonZeroIaEPalEENS0_5tupleIJPlS6_EEENSJ_IJSD_SD_EEES6_SK_JS6_EEE10hipError_tPvRmT3_T4_T5_T6_T7_T9_mT8_P12ihipStream_tbDpT10_ENKUlT_T0_E_clISt17integral_constantIbLb1EES15_IbLb0EEEEDaS11_S12_EUlS11_E_NS1_11comp_targetILNS1_3genE4ELNS1_11target_archE910ELNS1_3gpuE8ELNS1_3repE0EEENS1_30default_config_static_selectorELNS0_4arch9wavefront6targetE1EEEvT1_: ; @_ZN7rocprim17ROCPRIM_400000_NS6detail17trampoline_kernelINS0_14default_configENS1_25partition_config_selectorILNS1_17partition_subalgoE5ElNS0_10empty_typeEbEEZZNS1_14partition_implILS5_5ELb0ES3_mN6hipcub16HIPCUB_304000_NS21CountingInputIteratorIllEEPS6_NSA_22TransformInputIteratorIb7NonZeroIaEPalEENS0_5tupleIJPlS6_EEENSJ_IJSD_SD_EEES6_SK_JS6_EEE10hipError_tPvRmT3_T4_T5_T6_T7_T9_mT8_P12ihipStream_tbDpT10_ENKUlT_T0_E_clISt17integral_constantIbLb1EES15_IbLb0EEEEDaS11_S12_EUlS11_E_NS1_11comp_targetILNS1_3genE4ELNS1_11target_archE910ELNS1_3gpuE8ELNS1_3repE0EEENS1_30default_config_static_selectorELNS0_4arch9wavefront6targetE1EEEvT1_
; %bb.0:
	.section	.rodata,"a",@progbits
	.p2align	6, 0x0
	.amdhsa_kernel _ZN7rocprim17ROCPRIM_400000_NS6detail17trampoline_kernelINS0_14default_configENS1_25partition_config_selectorILNS1_17partition_subalgoE5ElNS0_10empty_typeEbEEZZNS1_14partition_implILS5_5ELb0ES3_mN6hipcub16HIPCUB_304000_NS21CountingInputIteratorIllEEPS6_NSA_22TransformInputIteratorIb7NonZeroIaEPalEENS0_5tupleIJPlS6_EEENSJ_IJSD_SD_EEES6_SK_JS6_EEE10hipError_tPvRmT3_T4_T5_T6_T7_T9_mT8_P12ihipStream_tbDpT10_ENKUlT_T0_E_clISt17integral_constantIbLb1EES15_IbLb0EEEEDaS11_S12_EUlS11_E_NS1_11comp_targetILNS1_3genE4ELNS1_11target_archE910ELNS1_3gpuE8ELNS1_3repE0EEENS1_30default_config_static_selectorELNS0_4arch9wavefront6targetE1EEEvT1_
		.amdhsa_group_segment_fixed_size 0
		.amdhsa_private_segment_fixed_size 0
		.amdhsa_kernarg_size 120
		.amdhsa_user_sgpr_count 6
		.amdhsa_user_sgpr_private_segment_buffer 1
		.amdhsa_user_sgpr_dispatch_ptr 0
		.amdhsa_user_sgpr_queue_ptr 0
		.amdhsa_user_sgpr_kernarg_segment_ptr 1
		.amdhsa_user_sgpr_dispatch_id 0
		.amdhsa_user_sgpr_flat_scratch_init 0
		.amdhsa_user_sgpr_private_segment_size 0
		.amdhsa_uses_dynamic_stack 0
		.amdhsa_system_sgpr_private_segment_wavefront_offset 0
		.amdhsa_system_sgpr_workgroup_id_x 1
		.amdhsa_system_sgpr_workgroup_id_y 0
		.amdhsa_system_sgpr_workgroup_id_z 0
		.amdhsa_system_sgpr_workgroup_info 0
		.amdhsa_system_vgpr_workitem_id 0
		.amdhsa_next_free_vgpr 1
		.amdhsa_next_free_sgpr 0
		.amdhsa_reserve_vcc 0
		.amdhsa_reserve_flat_scratch 0
		.amdhsa_float_round_mode_32 0
		.amdhsa_float_round_mode_16_64 0
		.amdhsa_float_denorm_mode_32 3
		.amdhsa_float_denorm_mode_16_64 3
		.amdhsa_dx10_clamp 1
		.amdhsa_ieee_mode 1
		.amdhsa_fp16_overflow 0
		.amdhsa_exception_fp_ieee_invalid_op 0
		.amdhsa_exception_fp_denorm_src 0
		.amdhsa_exception_fp_ieee_div_zero 0
		.amdhsa_exception_fp_ieee_overflow 0
		.amdhsa_exception_fp_ieee_underflow 0
		.amdhsa_exception_fp_ieee_inexact 0
		.amdhsa_exception_int_div_zero 0
	.end_amdhsa_kernel
	.section	.text._ZN7rocprim17ROCPRIM_400000_NS6detail17trampoline_kernelINS0_14default_configENS1_25partition_config_selectorILNS1_17partition_subalgoE5ElNS0_10empty_typeEbEEZZNS1_14partition_implILS5_5ELb0ES3_mN6hipcub16HIPCUB_304000_NS21CountingInputIteratorIllEEPS6_NSA_22TransformInputIteratorIb7NonZeroIaEPalEENS0_5tupleIJPlS6_EEENSJ_IJSD_SD_EEES6_SK_JS6_EEE10hipError_tPvRmT3_T4_T5_T6_T7_T9_mT8_P12ihipStream_tbDpT10_ENKUlT_T0_E_clISt17integral_constantIbLb1EES15_IbLb0EEEEDaS11_S12_EUlS11_E_NS1_11comp_targetILNS1_3genE4ELNS1_11target_archE910ELNS1_3gpuE8ELNS1_3repE0EEENS1_30default_config_static_selectorELNS0_4arch9wavefront6targetE1EEEvT1_,"axG",@progbits,_ZN7rocprim17ROCPRIM_400000_NS6detail17trampoline_kernelINS0_14default_configENS1_25partition_config_selectorILNS1_17partition_subalgoE5ElNS0_10empty_typeEbEEZZNS1_14partition_implILS5_5ELb0ES3_mN6hipcub16HIPCUB_304000_NS21CountingInputIteratorIllEEPS6_NSA_22TransformInputIteratorIb7NonZeroIaEPalEENS0_5tupleIJPlS6_EEENSJ_IJSD_SD_EEES6_SK_JS6_EEE10hipError_tPvRmT3_T4_T5_T6_T7_T9_mT8_P12ihipStream_tbDpT10_ENKUlT_T0_E_clISt17integral_constantIbLb1EES15_IbLb0EEEEDaS11_S12_EUlS11_E_NS1_11comp_targetILNS1_3genE4ELNS1_11target_archE910ELNS1_3gpuE8ELNS1_3repE0EEENS1_30default_config_static_selectorELNS0_4arch9wavefront6targetE1EEEvT1_,comdat
.Lfunc_end65:
	.size	_ZN7rocprim17ROCPRIM_400000_NS6detail17trampoline_kernelINS0_14default_configENS1_25partition_config_selectorILNS1_17partition_subalgoE5ElNS0_10empty_typeEbEEZZNS1_14partition_implILS5_5ELb0ES3_mN6hipcub16HIPCUB_304000_NS21CountingInputIteratorIllEEPS6_NSA_22TransformInputIteratorIb7NonZeroIaEPalEENS0_5tupleIJPlS6_EEENSJ_IJSD_SD_EEES6_SK_JS6_EEE10hipError_tPvRmT3_T4_T5_T6_T7_T9_mT8_P12ihipStream_tbDpT10_ENKUlT_T0_E_clISt17integral_constantIbLb1EES15_IbLb0EEEEDaS11_S12_EUlS11_E_NS1_11comp_targetILNS1_3genE4ELNS1_11target_archE910ELNS1_3gpuE8ELNS1_3repE0EEENS1_30default_config_static_selectorELNS0_4arch9wavefront6targetE1EEEvT1_, .Lfunc_end65-_ZN7rocprim17ROCPRIM_400000_NS6detail17trampoline_kernelINS0_14default_configENS1_25partition_config_selectorILNS1_17partition_subalgoE5ElNS0_10empty_typeEbEEZZNS1_14partition_implILS5_5ELb0ES3_mN6hipcub16HIPCUB_304000_NS21CountingInputIteratorIllEEPS6_NSA_22TransformInputIteratorIb7NonZeroIaEPalEENS0_5tupleIJPlS6_EEENSJ_IJSD_SD_EEES6_SK_JS6_EEE10hipError_tPvRmT3_T4_T5_T6_T7_T9_mT8_P12ihipStream_tbDpT10_ENKUlT_T0_E_clISt17integral_constantIbLb1EES15_IbLb0EEEEDaS11_S12_EUlS11_E_NS1_11comp_targetILNS1_3genE4ELNS1_11target_archE910ELNS1_3gpuE8ELNS1_3repE0EEENS1_30default_config_static_selectorELNS0_4arch9wavefront6targetE1EEEvT1_
                                        ; -- End function
	.set _ZN7rocprim17ROCPRIM_400000_NS6detail17trampoline_kernelINS0_14default_configENS1_25partition_config_selectorILNS1_17partition_subalgoE5ElNS0_10empty_typeEbEEZZNS1_14partition_implILS5_5ELb0ES3_mN6hipcub16HIPCUB_304000_NS21CountingInputIteratorIllEEPS6_NSA_22TransformInputIteratorIb7NonZeroIaEPalEENS0_5tupleIJPlS6_EEENSJ_IJSD_SD_EEES6_SK_JS6_EEE10hipError_tPvRmT3_T4_T5_T6_T7_T9_mT8_P12ihipStream_tbDpT10_ENKUlT_T0_E_clISt17integral_constantIbLb1EES15_IbLb0EEEEDaS11_S12_EUlS11_E_NS1_11comp_targetILNS1_3genE4ELNS1_11target_archE910ELNS1_3gpuE8ELNS1_3repE0EEENS1_30default_config_static_selectorELNS0_4arch9wavefront6targetE1EEEvT1_.num_vgpr, 0
	.set _ZN7rocprim17ROCPRIM_400000_NS6detail17trampoline_kernelINS0_14default_configENS1_25partition_config_selectorILNS1_17partition_subalgoE5ElNS0_10empty_typeEbEEZZNS1_14partition_implILS5_5ELb0ES3_mN6hipcub16HIPCUB_304000_NS21CountingInputIteratorIllEEPS6_NSA_22TransformInputIteratorIb7NonZeroIaEPalEENS0_5tupleIJPlS6_EEENSJ_IJSD_SD_EEES6_SK_JS6_EEE10hipError_tPvRmT3_T4_T5_T6_T7_T9_mT8_P12ihipStream_tbDpT10_ENKUlT_T0_E_clISt17integral_constantIbLb1EES15_IbLb0EEEEDaS11_S12_EUlS11_E_NS1_11comp_targetILNS1_3genE4ELNS1_11target_archE910ELNS1_3gpuE8ELNS1_3repE0EEENS1_30default_config_static_selectorELNS0_4arch9wavefront6targetE1EEEvT1_.num_agpr, 0
	.set _ZN7rocprim17ROCPRIM_400000_NS6detail17trampoline_kernelINS0_14default_configENS1_25partition_config_selectorILNS1_17partition_subalgoE5ElNS0_10empty_typeEbEEZZNS1_14partition_implILS5_5ELb0ES3_mN6hipcub16HIPCUB_304000_NS21CountingInputIteratorIllEEPS6_NSA_22TransformInputIteratorIb7NonZeroIaEPalEENS0_5tupleIJPlS6_EEENSJ_IJSD_SD_EEES6_SK_JS6_EEE10hipError_tPvRmT3_T4_T5_T6_T7_T9_mT8_P12ihipStream_tbDpT10_ENKUlT_T0_E_clISt17integral_constantIbLb1EES15_IbLb0EEEEDaS11_S12_EUlS11_E_NS1_11comp_targetILNS1_3genE4ELNS1_11target_archE910ELNS1_3gpuE8ELNS1_3repE0EEENS1_30default_config_static_selectorELNS0_4arch9wavefront6targetE1EEEvT1_.numbered_sgpr, 0
	.set _ZN7rocprim17ROCPRIM_400000_NS6detail17trampoline_kernelINS0_14default_configENS1_25partition_config_selectorILNS1_17partition_subalgoE5ElNS0_10empty_typeEbEEZZNS1_14partition_implILS5_5ELb0ES3_mN6hipcub16HIPCUB_304000_NS21CountingInputIteratorIllEEPS6_NSA_22TransformInputIteratorIb7NonZeroIaEPalEENS0_5tupleIJPlS6_EEENSJ_IJSD_SD_EEES6_SK_JS6_EEE10hipError_tPvRmT3_T4_T5_T6_T7_T9_mT8_P12ihipStream_tbDpT10_ENKUlT_T0_E_clISt17integral_constantIbLb1EES15_IbLb0EEEEDaS11_S12_EUlS11_E_NS1_11comp_targetILNS1_3genE4ELNS1_11target_archE910ELNS1_3gpuE8ELNS1_3repE0EEENS1_30default_config_static_selectorELNS0_4arch9wavefront6targetE1EEEvT1_.num_named_barrier, 0
	.set _ZN7rocprim17ROCPRIM_400000_NS6detail17trampoline_kernelINS0_14default_configENS1_25partition_config_selectorILNS1_17partition_subalgoE5ElNS0_10empty_typeEbEEZZNS1_14partition_implILS5_5ELb0ES3_mN6hipcub16HIPCUB_304000_NS21CountingInputIteratorIllEEPS6_NSA_22TransformInputIteratorIb7NonZeroIaEPalEENS0_5tupleIJPlS6_EEENSJ_IJSD_SD_EEES6_SK_JS6_EEE10hipError_tPvRmT3_T4_T5_T6_T7_T9_mT8_P12ihipStream_tbDpT10_ENKUlT_T0_E_clISt17integral_constantIbLb1EES15_IbLb0EEEEDaS11_S12_EUlS11_E_NS1_11comp_targetILNS1_3genE4ELNS1_11target_archE910ELNS1_3gpuE8ELNS1_3repE0EEENS1_30default_config_static_selectorELNS0_4arch9wavefront6targetE1EEEvT1_.private_seg_size, 0
	.set _ZN7rocprim17ROCPRIM_400000_NS6detail17trampoline_kernelINS0_14default_configENS1_25partition_config_selectorILNS1_17partition_subalgoE5ElNS0_10empty_typeEbEEZZNS1_14partition_implILS5_5ELb0ES3_mN6hipcub16HIPCUB_304000_NS21CountingInputIteratorIllEEPS6_NSA_22TransformInputIteratorIb7NonZeroIaEPalEENS0_5tupleIJPlS6_EEENSJ_IJSD_SD_EEES6_SK_JS6_EEE10hipError_tPvRmT3_T4_T5_T6_T7_T9_mT8_P12ihipStream_tbDpT10_ENKUlT_T0_E_clISt17integral_constantIbLb1EES15_IbLb0EEEEDaS11_S12_EUlS11_E_NS1_11comp_targetILNS1_3genE4ELNS1_11target_archE910ELNS1_3gpuE8ELNS1_3repE0EEENS1_30default_config_static_selectorELNS0_4arch9wavefront6targetE1EEEvT1_.uses_vcc, 0
	.set _ZN7rocprim17ROCPRIM_400000_NS6detail17trampoline_kernelINS0_14default_configENS1_25partition_config_selectorILNS1_17partition_subalgoE5ElNS0_10empty_typeEbEEZZNS1_14partition_implILS5_5ELb0ES3_mN6hipcub16HIPCUB_304000_NS21CountingInputIteratorIllEEPS6_NSA_22TransformInputIteratorIb7NonZeroIaEPalEENS0_5tupleIJPlS6_EEENSJ_IJSD_SD_EEES6_SK_JS6_EEE10hipError_tPvRmT3_T4_T5_T6_T7_T9_mT8_P12ihipStream_tbDpT10_ENKUlT_T0_E_clISt17integral_constantIbLb1EES15_IbLb0EEEEDaS11_S12_EUlS11_E_NS1_11comp_targetILNS1_3genE4ELNS1_11target_archE910ELNS1_3gpuE8ELNS1_3repE0EEENS1_30default_config_static_selectorELNS0_4arch9wavefront6targetE1EEEvT1_.uses_flat_scratch, 0
	.set _ZN7rocprim17ROCPRIM_400000_NS6detail17trampoline_kernelINS0_14default_configENS1_25partition_config_selectorILNS1_17partition_subalgoE5ElNS0_10empty_typeEbEEZZNS1_14partition_implILS5_5ELb0ES3_mN6hipcub16HIPCUB_304000_NS21CountingInputIteratorIllEEPS6_NSA_22TransformInputIteratorIb7NonZeroIaEPalEENS0_5tupleIJPlS6_EEENSJ_IJSD_SD_EEES6_SK_JS6_EEE10hipError_tPvRmT3_T4_T5_T6_T7_T9_mT8_P12ihipStream_tbDpT10_ENKUlT_T0_E_clISt17integral_constantIbLb1EES15_IbLb0EEEEDaS11_S12_EUlS11_E_NS1_11comp_targetILNS1_3genE4ELNS1_11target_archE910ELNS1_3gpuE8ELNS1_3repE0EEENS1_30default_config_static_selectorELNS0_4arch9wavefront6targetE1EEEvT1_.has_dyn_sized_stack, 0
	.set _ZN7rocprim17ROCPRIM_400000_NS6detail17trampoline_kernelINS0_14default_configENS1_25partition_config_selectorILNS1_17partition_subalgoE5ElNS0_10empty_typeEbEEZZNS1_14partition_implILS5_5ELb0ES3_mN6hipcub16HIPCUB_304000_NS21CountingInputIteratorIllEEPS6_NSA_22TransformInputIteratorIb7NonZeroIaEPalEENS0_5tupleIJPlS6_EEENSJ_IJSD_SD_EEES6_SK_JS6_EEE10hipError_tPvRmT3_T4_T5_T6_T7_T9_mT8_P12ihipStream_tbDpT10_ENKUlT_T0_E_clISt17integral_constantIbLb1EES15_IbLb0EEEEDaS11_S12_EUlS11_E_NS1_11comp_targetILNS1_3genE4ELNS1_11target_archE910ELNS1_3gpuE8ELNS1_3repE0EEENS1_30default_config_static_selectorELNS0_4arch9wavefront6targetE1EEEvT1_.has_recursion, 0
	.set _ZN7rocprim17ROCPRIM_400000_NS6detail17trampoline_kernelINS0_14default_configENS1_25partition_config_selectorILNS1_17partition_subalgoE5ElNS0_10empty_typeEbEEZZNS1_14partition_implILS5_5ELb0ES3_mN6hipcub16HIPCUB_304000_NS21CountingInputIteratorIllEEPS6_NSA_22TransformInputIteratorIb7NonZeroIaEPalEENS0_5tupleIJPlS6_EEENSJ_IJSD_SD_EEES6_SK_JS6_EEE10hipError_tPvRmT3_T4_T5_T6_T7_T9_mT8_P12ihipStream_tbDpT10_ENKUlT_T0_E_clISt17integral_constantIbLb1EES15_IbLb0EEEEDaS11_S12_EUlS11_E_NS1_11comp_targetILNS1_3genE4ELNS1_11target_archE910ELNS1_3gpuE8ELNS1_3repE0EEENS1_30default_config_static_selectorELNS0_4arch9wavefront6targetE1EEEvT1_.has_indirect_call, 0
	.section	.AMDGPU.csdata,"",@progbits
; Kernel info:
; codeLenInByte = 0
; TotalNumSgprs: 4
; NumVgprs: 0
; ScratchSize: 0
; MemoryBound: 0
; FloatMode: 240
; IeeeMode: 1
; LDSByteSize: 0 bytes/workgroup (compile time only)
; SGPRBlocks: 0
; VGPRBlocks: 0
; NumSGPRsForWavesPerEU: 4
; NumVGPRsForWavesPerEU: 1
; Occupancy: 10
; WaveLimiterHint : 0
; COMPUTE_PGM_RSRC2:SCRATCH_EN: 0
; COMPUTE_PGM_RSRC2:USER_SGPR: 6
; COMPUTE_PGM_RSRC2:TRAP_HANDLER: 0
; COMPUTE_PGM_RSRC2:TGID_X_EN: 1
; COMPUTE_PGM_RSRC2:TGID_Y_EN: 0
; COMPUTE_PGM_RSRC2:TGID_Z_EN: 0
; COMPUTE_PGM_RSRC2:TIDIG_COMP_CNT: 0
	.section	.text._ZN7rocprim17ROCPRIM_400000_NS6detail17trampoline_kernelINS0_14default_configENS1_25partition_config_selectorILNS1_17partition_subalgoE5ElNS0_10empty_typeEbEEZZNS1_14partition_implILS5_5ELb0ES3_mN6hipcub16HIPCUB_304000_NS21CountingInputIteratorIllEEPS6_NSA_22TransformInputIteratorIb7NonZeroIaEPalEENS0_5tupleIJPlS6_EEENSJ_IJSD_SD_EEES6_SK_JS6_EEE10hipError_tPvRmT3_T4_T5_T6_T7_T9_mT8_P12ihipStream_tbDpT10_ENKUlT_T0_E_clISt17integral_constantIbLb1EES15_IbLb0EEEEDaS11_S12_EUlS11_E_NS1_11comp_targetILNS1_3genE3ELNS1_11target_archE908ELNS1_3gpuE7ELNS1_3repE0EEENS1_30default_config_static_selectorELNS0_4arch9wavefront6targetE1EEEvT1_,"axG",@progbits,_ZN7rocprim17ROCPRIM_400000_NS6detail17trampoline_kernelINS0_14default_configENS1_25partition_config_selectorILNS1_17partition_subalgoE5ElNS0_10empty_typeEbEEZZNS1_14partition_implILS5_5ELb0ES3_mN6hipcub16HIPCUB_304000_NS21CountingInputIteratorIllEEPS6_NSA_22TransformInputIteratorIb7NonZeroIaEPalEENS0_5tupleIJPlS6_EEENSJ_IJSD_SD_EEES6_SK_JS6_EEE10hipError_tPvRmT3_T4_T5_T6_T7_T9_mT8_P12ihipStream_tbDpT10_ENKUlT_T0_E_clISt17integral_constantIbLb1EES15_IbLb0EEEEDaS11_S12_EUlS11_E_NS1_11comp_targetILNS1_3genE3ELNS1_11target_archE908ELNS1_3gpuE7ELNS1_3repE0EEENS1_30default_config_static_selectorELNS0_4arch9wavefront6targetE1EEEvT1_,comdat
	.protected	_ZN7rocprim17ROCPRIM_400000_NS6detail17trampoline_kernelINS0_14default_configENS1_25partition_config_selectorILNS1_17partition_subalgoE5ElNS0_10empty_typeEbEEZZNS1_14partition_implILS5_5ELb0ES3_mN6hipcub16HIPCUB_304000_NS21CountingInputIteratorIllEEPS6_NSA_22TransformInputIteratorIb7NonZeroIaEPalEENS0_5tupleIJPlS6_EEENSJ_IJSD_SD_EEES6_SK_JS6_EEE10hipError_tPvRmT3_T4_T5_T6_T7_T9_mT8_P12ihipStream_tbDpT10_ENKUlT_T0_E_clISt17integral_constantIbLb1EES15_IbLb0EEEEDaS11_S12_EUlS11_E_NS1_11comp_targetILNS1_3genE3ELNS1_11target_archE908ELNS1_3gpuE7ELNS1_3repE0EEENS1_30default_config_static_selectorELNS0_4arch9wavefront6targetE1EEEvT1_ ; -- Begin function _ZN7rocprim17ROCPRIM_400000_NS6detail17trampoline_kernelINS0_14default_configENS1_25partition_config_selectorILNS1_17partition_subalgoE5ElNS0_10empty_typeEbEEZZNS1_14partition_implILS5_5ELb0ES3_mN6hipcub16HIPCUB_304000_NS21CountingInputIteratorIllEEPS6_NSA_22TransformInputIteratorIb7NonZeroIaEPalEENS0_5tupleIJPlS6_EEENSJ_IJSD_SD_EEES6_SK_JS6_EEE10hipError_tPvRmT3_T4_T5_T6_T7_T9_mT8_P12ihipStream_tbDpT10_ENKUlT_T0_E_clISt17integral_constantIbLb1EES15_IbLb0EEEEDaS11_S12_EUlS11_E_NS1_11comp_targetILNS1_3genE3ELNS1_11target_archE908ELNS1_3gpuE7ELNS1_3repE0EEENS1_30default_config_static_selectorELNS0_4arch9wavefront6targetE1EEEvT1_
	.globl	_ZN7rocprim17ROCPRIM_400000_NS6detail17trampoline_kernelINS0_14default_configENS1_25partition_config_selectorILNS1_17partition_subalgoE5ElNS0_10empty_typeEbEEZZNS1_14partition_implILS5_5ELb0ES3_mN6hipcub16HIPCUB_304000_NS21CountingInputIteratorIllEEPS6_NSA_22TransformInputIteratorIb7NonZeroIaEPalEENS0_5tupleIJPlS6_EEENSJ_IJSD_SD_EEES6_SK_JS6_EEE10hipError_tPvRmT3_T4_T5_T6_T7_T9_mT8_P12ihipStream_tbDpT10_ENKUlT_T0_E_clISt17integral_constantIbLb1EES15_IbLb0EEEEDaS11_S12_EUlS11_E_NS1_11comp_targetILNS1_3genE3ELNS1_11target_archE908ELNS1_3gpuE7ELNS1_3repE0EEENS1_30default_config_static_selectorELNS0_4arch9wavefront6targetE1EEEvT1_
	.p2align	8
	.type	_ZN7rocprim17ROCPRIM_400000_NS6detail17trampoline_kernelINS0_14default_configENS1_25partition_config_selectorILNS1_17partition_subalgoE5ElNS0_10empty_typeEbEEZZNS1_14partition_implILS5_5ELb0ES3_mN6hipcub16HIPCUB_304000_NS21CountingInputIteratorIllEEPS6_NSA_22TransformInputIteratorIb7NonZeroIaEPalEENS0_5tupleIJPlS6_EEENSJ_IJSD_SD_EEES6_SK_JS6_EEE10hipError_tPvRmT3_T4_T5_T6_T7_T9_mT8_P12ihipStream_tbDpT10_ENKUlT_T0_E_clISt17integral_constantIbLb1EES15_IbLb0EEEEDaS11_S12_EUlS11_E_NS1_11comp_targetILNS1_3genE3ELNS1_11target_archE908ELNS1_3gpuE7ELNS1_3repE0EEENS1_30default_config_static_selectorELNS0_4arch9wavefront6targetE1EEEvT1_,@function
_ZN7rocprim17ROCPRIM_400000_NS6detail17trampoline_kernelINS0_14default_configENS1_25partition_config_selectorILNS1_17partition_subalgoE5ElNS0_10empty_typeEbEEZZNS1_14partition_implILS5_5ELb0ES3_mN6hipcub16HIPCUB_304000_NS21CountingInputIteratorIllEEPS6_NSA_22TransformInputIteratorIb7NonZeroIaEPalEENS0_5tupleIJPlS6_EEENSJ_IJSD_SD_EEES6_SK_JS6_EEE10hipError_tPvRmT3_T4_T5_T6_T7_T9_mT8_P12ihipStream_tbDpT10_ENKUlT_T0_E_clISt17integral_constantIbLb1EES15_IbLb0EEEEDaS11_S12_EUlS11_E_NS1_11comp_targetILNS1_3genE3ELNS1_11target_archE908ELNS1_3gpuE7ELNS1_3repE0EEENS1_30default_config_static_selectorELNS0_4arch9wavefront6targetE1EEEvT1_: ; @_ZN7rocprim17ROCPRIM_400000_NS6detail17trampoline_kernelINS0_14default_configENS1_25partition_config_selectorILNS1_17partition_subalgoE5ElNS0_10empty_typeEbEEZZNS1_14partition_implILS5_5ELb0ES3_mN6hipcub16HIPCUB_304000_NS21CountingInputIteratorIllEEPS6_NSA_22TransformInputIteratorIb7NonZeroIaEPalEENS0_5tupleIJPlS6_EEENSJ_IJSD_SD_EEES6_SK_JS6_EEE10hipError_tPvRmT3_T4_T5_T6_T7_T9_mT8_P12ihipStream_tbDpT10_ENKUlT_T0_E_clISt17integral_constantIbLb1EES15_IbLb0EEEEDaS11_S12_EUlS11_E_NS1_11comp_targetILNS1_3genE3ELNS1_11target_archE908ELNS1_3gpuE7ELNS1_3repE0EEENS1_30default_config_static_selectorELNS0_4arch9wavefront6targetE1EEEvT1_
; %bb.0:
	.section	.rodata,"a",@progbits
	.p2align	6, 0x0
	.amdhsa_kernel _ZN7rocprim17ROCPRIM_400000_NS6detail17trampoline_kernelINS0_14default_configENS1_25partition_config_selectorILNS1_17partition_subalgoE5ElNS0_10empty_typeEbEEZZNS1_14partition_implILS5_5ELb0ES3_mN6hipcub16HIPCUB_304000_NS21CountingInputIteratorIllEEPS6_NSA_22TransformInputIteratorIb7NonZeroIaEPalEENS0_5tupleIJPlS6_EEENSJ_IJSD_SD_EEES6_SK_JS6_EEE10hipError_tPvRmT3_T4_T5_T6_T7_T9_mT8_P12ihipStream_tbDpT10_ENKUlT_T0_E_clISt17integral_constantIbLb1EES15_IbLb0EEEEDaS11_S12_EUlS11_E_NS1_11comp_targetILNS1_3genE3ELNS1_11target_archE908ELNS1_3gpuE7ELNS1_3repE0EEENS1_30default_config_static_selectorELNS0_4arch9wavefront6targetE1EEEvT1_
		.amdhsa_group_segment_fixed_size 0
		.amdhsa_private_segment_fixed_size 0
		.amdhsa_kernarg_size 120
		.amdhsa_user_sgpr_count 6
		.amdhsa_user_sgpr_private_segment_buffer 1
		.amdhsa_user_sgpr_dispatch_ptr 0
		.amdhsa_user_sgpr_queue_ptr 0
		.amdhsa_user_sgpr_kernarg_segment_ptr 1
		.amdhsa_user_sgpr_dispatch_id 0
		.amdhsa_user_sgpr_flat_scratch_init 0
		.amdhsa_user_sgpr_private_segment_size 0
		.amdhsa_uses_dynamic_stack 0
		.amdhsa_system_sgpr_private_segment_wavefront_offset 0
		.amdhsa_system_sgpr_workgroup_id_x 1
		.amdhsa_system_sgpr_workgroup_id_y 0
		.amdhsa_system_sgpr_workgroup_id_z 0
		.amdhsa_system_sgpr_workgroup_info 0
		.amdhsa_system_vgpr_workitem_id 0
		.amdhsa_next_free_vgpr 1
		.amdhsa_next_free_sgpr 0
		.amdhsa_reserve_vcc 0
		.amdhsa_reserve_flat_scratch 0
		.amdhsa_float_round_mode_32 0
		.amdhsa_float_round_mode_16_64 0
		.amdhsa_float_denorm_mode_32 3
		.amdhsa_float_denorm_mode_16_64 3
		.amdhsa_dx10_clamp 1
		.amdhsa_ieee_mode 1
		.amdhsa_fp16_overflow 0
		.amdhsa_exception_fp_ieee_invalid_op 0
		.amdhsa_exception_fp_denorm_src 0
		.amdhsa_exception_fp_ieee_div_zero 0
		.amdhsa_exception_fp_ieee_overflow 0
		.amdhsa_exception_fp_ieee_underflow 0
		.amdhsa_exception_fp_ieee_inexact 0
		.amdhsa_exception_int_div_zero 0
	.end_amdhsa_kernel
	.section	.text._ZN7rocprim17ROCPRIM_400000_NS6detail17trampoline_kernelINS0_14default_configENS1_25partition_config_selectorILNS1_17partition_subalgoE5ElNS0_10empty_typeEbEEZZNS1_14partition_implILS5_5ELb0ES3_mN6hipcub16HIPCUB_304000_NS21CountingInputIteratorIllEEPS6_NSA_22TransformInputIteratorIb7NonZeroIaEPalEENS0_5tupleIJPlS6_EEENSJ_IJSD_SD_EEES6_SK_JS6_EEE10hipError_tPvRmT3_T4_T5_T6_T7_T9_mT8_P12ihipStream_tbDpT10_ENKUlT_T0_E_clISt17integral_constantIbLb1EES15_IbLb0EEEEDaS11_S12_EUlS11_E_NS1_11comp_targetILNS1_3genE3ELNS1_11target_archE908ELNS1_3gpuE7ELNS1_3repE0EEENS1_30default_config_static_selectorELNS0_4arch9wavefront6targetE1EEEvT1_,"axG",@progbits,_ZN7rocprim17ROCPRIM_400000_NS6detail17trampoline_kernelINS0_14default_configENS1_25partition_config_selectorILNS1_17partition_subalgoE5ElNS0_10empty_typeEbEEZZNS1_14partition_implILS5_5ELb0ES3_mN6hipcub16HIPCUB_304000_NS21CountingInputIteratorIllEEPS6_NSA_22TransformInputIteratorIb7NonZeroIaEPalEENS0_5tupleIJPlS6_EEENSJ_IJSD_SD_EEES6_SK_JS6_EEE10hipError_tPvRmT3_T4_T5_T6_T7_T9_mT8_P12ihipStream_tbDpT10_ENKUlT_T0_E_clISt17integral_constantIbLb1EES15_IbLb0EEEEDaS11_S12_EUlS11_E_NS1_11comp_targetILNS1_3genE3ELNS1_11target_archE908ELNS1_3gpuE7ELNS1_3repE0EEENS1_30default_config_static_selectorELNS0_4arch9wavefront6targetE1EEEvT1_,comdat
.Lfunc_end66:
	.size	_ZN7rocprim17ROCPRIM_400000_NS6detail17trampoline_kernelINS0_14default_configENS1_25partition_config_selectorILNS1_17partition_subalgoE5ElNS0_10empty_typeEbEEZZNS1_14partition_implILS5_5ELb0ES3_mN6hipcub16HIPCUB_304000_NS21CountingInputIteratorIllEEPS6_NSA_22TransformInputIteratorIb7NonZeroIaEPalEENS0_5tupleIJPlS6_EEENSJ_IJSD_SD_EEES6_SK_JS6_EEE10hipError_tPvRmT3_T4_T5_T6_T7_T9_mT8_P12ihipStream_tbDpT10_ENKUlT_T0_E_clISt17integral_constantIbLb1EES15_IbLb0EEEEDaS11_S12_EUlS11_E_NS1_11comp_targetILNS1_3genE3ELNS1_11target_archE908ELNS1_3gpuE7ELNS1_3repE0EEENS1_30default_config_static_selectorELNS0_4arch9wavefront6targetE1EEEvT1_, .Lfunc_end66-_ZN7rocprim17ROCPRIM_400000_NS6detail17trampoline_kernelINS0_14default_configENS1_25partition_config_selectorILNS1_17partition_subalgoE5ElNS0_10empty_typeEbEEZZNS1_14partition_implILS5_5ELb0ES3_mN6hipcub16HIPCUB_304000_NS21CountingInputIteratorIllEEPS6_NSA_22TransformInputIteratorIb7NonZeroIaEPalEENS0_5tupleIJPlS6_EEENSJ_IJSD_SD_EEES6_SK_JS6_EEE10hipError_tPvRmT3_T4_T5_T6_T7_T9_mT8_P12ihipStream_tbDpT10_ENKUlT_T0_E_clISt17integral_constantIbLb1EES15_IbLb0EEEEDaS11_S12_EUlS11_E_NS1_11comp_targetILNS1_3genE3ELNS1_11target_archE908ELNS1_3gpuE7ELNS1_3repE0EEENS1_30default_config_static_selectorELNS0_4arch9wavefront6targetE1EEEvT1_
                                        ; -- End function
	.set _ZN7rocprim17ROCPRIM_400000_NS6detail17trampoline_kernelINS0_14default_configENS1_25partition_config_selectorILNS1_17partition_subalgoE5ElNS0_10empty_typeEbEEZZNS1_14partition_implILS5_5ELb0ES3_mN6hipcub16HIPCUB_304000_NS21CountingInputIteratorIllEEPS6_NSA_22TransformInputIteratorIb7NonZeroIaEPalEENS0_5tupleIJPlS6_EEENSJ_IJSD_SD_EEES6_SK_JS6_EEE10hipError_tPvRmT3_T4_T5_T6_T7_T9_mT8_P12ihipStream_tbDpT10_ENKUlT_T0_E_clISt17integral_constantIbLb1EES15_IbLb0EEEEDaS11_S12_EUlS11_E_NS1_11comp_targetILNS1_3genE3ELNS1_11target_archE908ELNS1_3gpuE7ELNS1_3repE0EEENS1_30default_config_static_selectorELNS0_4arch9wavefront6targetE1EEEvT1_.num_vgpr, 0
	.set _ZN7rocprim17ROCPRIM_400000_NS6detail17trampoline_kernelINS0_14default_configENS1_25partition_config_selectorILNS1_17partition_subalgoE5ElNS0_10empty_typeEbEEZZNS1_14partition_implILS5_5ELb0ES3_mN6hipcub16HIPCUB_304000_NS21CountingInputIteratorIllEEPS6_NSA_22TransformInputIteratorIb7NonZeroIaEPalEENS0_5tupleIJPlS6_EEENSJ_IJSD_SD_EEES6_SK_JS6_EEE10hipError_tPvRmT3_T4_T5_T6_T7_T9_mT8_P12ihipStream_tbDpT10_ENKUlT_T0_E_clISt17integral_constantIbLb1EES15_IbLb0EEEEDaS11_S12_EUlS11_E_NS1_11comp_targetILNS1_3genE3ELNS1_11target_archE908ELNS1_3gpuE7ELNS1_3repE0EEENS1_30default_config_static_selectorELNS0_4arch9wavefront6targetE1EEEvT1_.num_agpr, 0
	.set _ZN7rocprim17ROCPRIM_400000_NS6detail17trampoline_kernelINS0_14default_configENS1_25partition_config_selectorILNS1_17partition_subalgoE5ElNS0_10empty_typeEbEEZZNS1_14partition_implILS5_5ELb0ES3_mN6hipcub16HIPCUB_304000_NS21CountingInputIteratorIllEEPS6_NSA_22TransformInputIteratorIb7NonZeroIaEPalEENS0_5tupleIJPlS6_EEENSJ_IJSD_SD_EEES6_SK_JS6_EEE10hipError_tPvRmT3_T4_T5_T6_T7_T9_mT8_P12ihipStream_tbDpT10_ENKUlT_T0_E_clISt17integral_constantIbLb1EES15_IbLb0EEEEDaS11_S12_EUlS11_E_NS1_11comp_targetILNS1_3genE3ELNS1_11target_archE908ELNS1_3gpuE7ELNS1_3repE0EEENS1_30default_config_static_selectorELNS0_4arch9wavefront6targetE1EEEvT1_.numbered_sgpr, 0
	.set _ZN7rocprim17ROCPRIM_400000_NS6detail17trampoline_kernelINS0_14default_configENS1_25partition_config_selectorILNS1_17partition_subalgoE5ElNS0_10empty_typeEbEEZZNS1_14partition_implILS5_5ELb0ES3_mN6hipcub16HIPCUB_304000_NS21CountingInputIteratorIllEEPS6_NSA_22TransformInputIteratorIb7NonZeroIaEPalEENS0_5tupleIJPlS6_EEENSJ_IJSD_SD_EEES6_SK_JS6_EEE10hipError_tPvRmT3_T4_T5_T6_T7_T9_mT8_P12ihipStream_tbDpT10_ENKUlT_T0_E_clISt17integral_constantIbLb1EES15_IbLb0EEEEDaS11_S12_EUlS11_E_NS1_11comp_targetILNS1_3genE3ELNS1_11target_archE908ELNS1_3gpuE7ELNS1_3repE0EEENS1_30default_config_static_selectorELNS0_4arch9wavefront6targetE1EEEvT1_.num_named_barrier, 0
	.set _ZN7rocprim17ROCPRIM_400000_NS6detail17trampoline_kernelINS0_14default_configENS1_25partition_config_selectorILNS1_17partition_subalgoE5ElNS0_10empty_typeEbEEZZNS1_14partition_implILS5_5ELb0ES3_mN6hipcub16HIPCUB_304000_NS21CountingInputIteratorIllEEPS6_NSA_22TransformInputIteratorIb7NonZeroIaEPalEENS0_5tupleIJPlS6_EEENSJ_IJSD_SD_EEES6_SK_JS6_EEE10hipError_tPvRmT3_T4_T5_T6_T7_T9_mT8_P12ihipStream_tbDpT10_ENKUlT_T0_E_clISt17integral_constantIbLb1EES15_IbLb0EEEEDaS11_S12_EUlS11_E_NS1_11comp_targetILNS1_3genE3ELNS1_11target_archE908ELNS1_3gpuE7ELNS1_3repE0EEENS1_30default_config_static_selectorELNS0_4arch9wavefront6targetE1EEEvT1_.private_seg_size, 0
	.set _ZN7rocprim17ROCPRIM_400000_NS6detail17trampoline_kernelINS0_14default_configENS1_25partition_config_selectorILNS1_17partition_subalgoE5ElNS0_10empty_typeEbEEZZNS1_14partition_implILS5_5ELb0ES3_mN6hipcub16HIPCUB_304000_NS21CountingInputIteratorIllEEPS6_NSA_22TransformInputIteratorIb7NonZeroIaEPalEENS0_5tupleIJPlS6_EEENSJ_IJSD_SD_EEES6_SK_JS6_EEE10hipError_tPvRmT3_T4_T5_T6_T7_T9_mT8_P12ihipStream_tbDpT10_ENKUlT_T0_E_clISt17integral_constantIbLb1EES15_IbLb0EEEEDaS11_S12_EUlS11_E_NS1_11comp_targetILNS1_3genE3ELNS1_11target_archE908ELNS1_3gpuE7ELNS1_3repE0EEENS1_30default_config_static_selectorELNS0_4arch9wavefront6targetE1EEEvT1_.uses_vcc, 0
	.set _ZN7rocprim17ROCPRIM_400000_NS6detail17trampoline_kernelINS0_14default_configENS1_25partition_config_selectorILNS1_17partition_subalgoE5ElNS0_10empty_typeEbEEZZNS1_14partition_implILS5_5ELb0ES3_mN6hipcub16HIPCUB_304000_NS21CountingInputIteratorIllEEPS6_NSA_22TransformInputIteratorIb7NonZeroIaEPalEENS0_5tupleIJPlS6_EEENSJ_IJSD_SD_EEES6_SK_JS6_EEE10hipError_tPvRmT3_T4_T5_T6_T7_T9_mT8_P12ihipStream_tbDpT10_ENKUlT_T0_E_clISt17integral_constantIbLb1EES15_IbLb0EEEEDaS11_S12_EUlS11_E_NS1_11comp_targetILNS1_3genE3ELNS1_11target_archE908ELNS1_3gpuE7ELNS1_3repE0EEENS1_30default_config_static_selectorELNS0_4arch9wavefront6targetE1EEEvT1_.uses_flat_scratch, 0
	.set _ZN7rocprim17ROCPRIM_400000_NS6detail17trampoline_kernelINS0_14default_configENS1_25partition_config_selectorILNS1_17partition_subalgoE5ElNS0_10empty_typeEbEEZZNS1_14partition_implILS5_5ELb0ES3_mN6hipcub16HIPCUB_304000_NS21CountingInputIteratorIllEEPS6_NSA_22TransformInputIteratorIb7NonZeroIaEPalEENS0_5tupleIJPlS6_EEENSJ_IJSD_SD_EEES6_SK_JS6_EEE10hipError_tPvRmT3_T4_T5_T6_T7_T9_mT8_P12ihipStream_tbDpT10_ENKUlT_T0_E_clISt17integral_constantIbLb1EES15_IbLb0EEEEDaS11_S12_EUlS11_E_NS1_11comp_targetILNS1_3genE3ELNS1_11target_archE908ELNS1_3gpuE7ELNS1_3repE0EEENS1_30default_config_static_selectorELNS0_4arch9wavefront6targetE1EEEvT1_.has_dyn_sized_stack, 0
	.set _ZN7rocprim17ROCPRIM_400000_NS6detail17trampoline_kernelINS0_14default_configENS1_25partition_config_selectorILNS1_17partition_subalgoE5ElNS0_10empty_typeEbEEZZNS1_14partition_implILS5_5ELb0ES3_mN6hipcub16HIPCUB_304000_NS21CountingInputIteratorIllEEPS6_NSA_22TransformInputIteratorIb7NonZeroIaEPalEENS0_5tupleIJPlS6_EEENSJ_IJSD_SD_EEES6_SK_JS6_EEE10hipError_tPvRmT3_T4_T5_T6_T7_T9_mT8_P12ihipStream_tbDpT10_ENKUlT_T0_E_clISt17integral_constantIbLb1EES15_IbLb0EEEEDaS11_S12_EUlS11_E_NS1_11comp_targetILNS1_3genE3ELNS1_11target_archE908ELNS1_3gpuE7ELNS1_3repE0EEENS1_30default_config_static_selectorELNS0_4arch9wavefront6targetE1EEEvT1_.has_recursion, 0
	.set _ZN7rocprim17ROCPRIM_400000_NS6detail17trampoline_kernelINS0_14default_configENS1_25partition_config_selectorILNS1_17partition_subalgoE5ElNS0_10empty_typeEbEEZZNS1_14partition_implILS5_5ELb0ES3_mN6hipcub16HIPCUB_304000_NS21CountingInputIteratorIllEEPS6_NSA_22TransformInputIteratorIb7NonZeroIaEPalEENS0_5tupleIJPlS6_EEENSJ_IJSD_SD_EEES6_SK_JS6_EEE10hipError_tPvRmT3_T4_T5_T6_T7_T9_mT8_P12ihipStream_tbDpT10_ENKUlT_T0_E_clISt17integral_constantIbLb1EES15_IbLb0EEEEDaS11_S12_EUlS11_E_NS1_11comp_targetILNS1_3genE3ELNS1_11target_archE908ELNS1_3gpuE7ELNS1_3repE0EEENS1_30default_config_static_selectorELNS0_4arch9wavefront6targetE1EEEvT1_.has_indirect_call, 0
	.section	.AMDGPU.csdata,"",@progbits
; Kernel info:
; codeLenInByte = 0
; TotalNumSgprs: 4
; NumVgprs: 0
; ScratchSize: 0
; MemoryBound: 0
; FloatMode: 240
; IeeeMode: 1
; LDSByteSize: 0 bytes/workgroup (compile time only)
; SGPRBlocks: 0
; VGPRBlocks: 0
; NumSGPRsForWavesPerEU: 4
; NumVGPRsForWavesPerEU: 1
; Occupancy: 10
; WaveLimiterHint : 0
; COMPUTE_PGM_RSRC2:SCRATCH_EN: 0
; COMPUTE_PGM_RSRC2:USER_SGPR: 6
; COMPUTE_PGM_RSRC2:TRAP_HANDLER: 0
; COMPUTE_PGM_RSRC2:TGID_X_EN: 1
; COMPUTE_PGM_RSRC2:TGID_Y_EN: 0
; COMPUTE_PGM_RSRC2:TGID_Z_EN: 0
; COMPUTE_PGM_RSRC2:TIDIG_COMP_CNT: 0
	.section	.text._ZN7rocprim17ROCPRIM_400000_NS6detail17trampoline_kernelINS0_14default_configENS1_25partition_config_selectorILNS1_17partition_subalgoE5ElNS0_10empty_typeEbEEZZNS1_14partition_implILS5_5ELb0ES3_mN6hipcub16HIPCUB_304000_NS21CountingInputIteratorIllEEPS6_NSA_22TransformInputIteratorIb7NonZeroIaEPalEENS0_5tupleIJPlS6_EEENSJ_IJSD_SD_EEES6_SK_JS6_EEE10hipError_tPvRmT3_T4_T5_T6_T7_T9_mT8_P12ihipStream_tbDpT10_ENKUlT_T0_E_clISt17integral_constantIbLb1EES15_IbLb0EEEEDaS11_S12_EUlS11_E_NS1_11comp_targetILNS1_3genE2ELNS1_11target_archE906ELNS1_3gpuE6ELNS1_3repE0EEENS1_30default_config_static_selectorELNS0_4arch9wavefront6targetE1EEEvT1_,"axG",@progbits,_ZN7rocprim17ROCPRIM_400000_NS6detail17trampoline_kernelINS0_14default_configENS1_25partition_config_selectorILNS1_17partition_subalgoE5ElNS0_10empty_typeEbEEZZNS1_14partition_implILS5_5ELb0ES3_mN6hipcub16HIPCUB_304000_NS21CountingInputIteratorIllEEPS6_NSA_22TransformInputIteratorIb7NonZeroIaEPalEENS0_5tupleIJPlS6_EEENSJ_IJSD_SD_EEES6_SK_JS6_EEE10hipError_tPvRmT3_T4_T5_T6_T7_T9_mT8_P12ihipStream_tbDpT10_ENKUlT_T0_E_clISt17integral_constantIbLb1EES15_IbLb0EEEEDaS11_S12_EUlS11_E_NS1_11comp_targetILNS1_3genE2ELNS1_11target_archE906ELNS1_3gpuE6ELNS1_3repE0EEENS1_30default_config_static_selectorELNS0_4arch9wavefront6targetE1EEEvT1_,comdat
	.protected	_ZN7rocprim17ROCPRIM_400000_NS6detail17trampoline_kernelINS0_14default_configENS1_25partition_config_selectorILNS1_17partition_subalgoE5ElNS0_10empty_typeEbEEZZNS1_14partition_implILS5_5ELb0ES3_mN6hipcub16HIPCUB_304000_NS21CountingInputIteratorIllEEPS6_NSA_22TransformInputIteratorIb7NonZeroIaEPalEENS0_5tupleIJPlS6_EEENSJ_IJSD_SD_EEES6_SK_JS6_EEE10hipError_tPvRmT3_T4_T5_T6_T7_T9_mT8_P12ihipStream_tbDpT10_ENKUlT_T0_E_clISt17integral_constantIbLb1EES15_IbLb0EEEEDaS11_S12_EUlS11_E_NS1_11comp_targetILNS1_3genE2ELNS1_11target_archE906ELNS1_3gpuE6ELNS1_3repE0EEENS1_30default_config_static_selectorELNS0_4arch9wavefront6targetE1EEEvT1_ ; -- Begin function _ZN7rocprim17ROCPRIM_400000_NS6detail17trampoline_kernelINS0_14default_configENS1_25partition_config_selectorILNS1_17partition_subalgoE5ElNS0_10empty_typeEbEEZZNS1_14partition_implILS5_5ELb0ES3_mN6hipcub16HIPCUB_304000_NS21CountingInputIteratorIllEEPS6_NSA_22TransformInputIteratorIb7NonZeroIaEPalEENS0_5tupleIJPlS6_EEENSJ_IJSD_SD_EEES6_SK_JS6_EEE10hipError_tPvRmT3_T4_T5_T6_T7_T9_mT8_P12ihipStream_tbDpT10_ENKUlT_T0_E_clISt17integral_constantIbLb1EES15_IbLb0EEEEDaS11_S12_EUlS11_E_NS1_11comp_targetILNS1_3genE2ELNS1_11target_archE906ELNS1_3gpuE6ELNS1_3repE0EEENS1_30default_config_static_selectorELNS0_4arch9wavefront6targetE1EEEvT1_
	.globl	_ZN7rocprim17ROCPRIM_400000_NS6detail17trampoline_kernelINS0_14default_configENS1_25partition_config_selectorILNS1_17partition_subalgoE5ElNS0_10empty_typeEbEEZZNS1_14partition_implILS5_5ELb0ES3_mN6hipcub16HIPCUB_304000_NS21CountingInputIteratorIllEEPS6_NSA_22TransformInputIteratorIb7NonZeroIaEPalEENS0_5tupleIJPlS6_EEENSJ_IJSD_SD_EEES6_SK_JS6_EEE10hipError_tPvRmT3_T4_T5_T6_T7_T9_mT8_P12ihipStream_tbDpT10_ENKUlT_T0_E_clISt17integral_constantIbLb1EES15_IbLb0EEEEDaS11_S12_EUlS11_E_NS1_11comp_targetILNS1_3genE2ELNS1_11target_archE906ELNS1_3gpuE6ELNS1_3repE0EEENS1_30default_config_static_selectorELNS0_4arch9wavefront6targetE1EEEvT1_
	.p2align	8
	.type	_ZN7rocprim17ROCPRIM_400000_NS6detail17trampoline_kernelINS0_14default_configENS1_25partition_config_selectorILNS1_17partition_subalgoE5ElNS0_10empty_typeEbEEZZNS1_14partition_implILS5_5ELb0ES3_mN6hipcub16HIPCUB_304000_NS21CountingInputIteratorIllEEPS6_NSA_22TransformInputIteratorIb7NonZeroIaEPalEENS0_5tupleIJPlS6_EEENSJ_IJSD_SD_EEES6_SK_JS6_EEE10hipError_tPvRmT3_T4_T5_T6_T7_T9_mT8_P12ihipStream_tbDpT10_ENKUlT_T0_E_clISt17integral_constantIbLb1EES15_IbLb0EEEEDaS11_S12_EUlS11_E_NS1_11comp_targetILNS1_3genE2ELNS1_11target_archE906ELNS1_3gpuE6ELNS1_3repE0EEENS1_30default_config_static_selectorELNS0_4arch9wavefront6targetE1EEEvT1_,@function
_ZN7rocprim17ROCPRIM_400000_NS6detail17trampoline_kernelINS0_14default_configENS1_25partition_config_selectorILNS1_17partition_subalgoE5ElNS0_10empty_typeEbEEZZNS1_14partition_implILS5_5ELb0ES3_mN6hipcub16HIPCUB_304000_NS21CountingInputIteratorIllEEPS6_NSA_22TransformInputIteratorIb7NonZeroIaEPalEENS0_5tupleIJPlS6_EEENSJ_IJSD_SD_EEES6_SK_JS6_EEE10hipError_tPvRmT3_T4_T5_T6_T7_T9_mT8_P12ihipStream_tbDpT10_ENKUlT_T0_E_clISt17integral_constantIbLb1EES15_IbLb0EEEEDaS11_S12_EUlS11_E_NS1_11comp_targetILNS1_3genE2ELNS1_11target_archE906ELNS1_3gpuE6ELNS1_3repE0EEENS1_30default_config_static_selectorELNS0_4arch9wavefront6targetE1EEEvT1_: ; @_ZN7rocprim17ROCPRIM_400000_NS6detail17trampoline_kernelINS0_14default_configENS1_25partition_config_selectorILNS1_17partition_subalgoE5ElNS0_10empty_typeEbEEZZNS1_14partition_implILS5_5ELb0ES3_mN6hipcub16HIPCUB_304000_NS21CountingInputIteratorIllEEPS6_NSA_22TransformInputIteratorIb7NonZeroIaEPalEENS0_5tupleIJPlS6_EEENSJ_IJSD_SD_EEES6_SK_JS6_EEE10hipError_tPvRmT3_T4_T5_T6_T7_T9_mT8_P12ihipStream_tbDpT10_ENKUlT_T0_E_clISt17integral_constantIbLb1EES15_IbLb0EEEEDaS11_S12_EUlS11_E_NS1_11comp_targetILNS1_3genE2ELNS1_11target_archE906ELNS1_3gpuE6ELNS1_3repE0EEENS1_30default_config_static_selectorELNS0_4arch9wavefront6targetE1EEEvT1_
; %bb.0:
	s_endpgm
	.section	.rodata,"a",@progbits
	.p2align	6, 0x0
	.amdhsa_kernel _ZN7rocprim17ROCPRIM_400000_NS6detail17trampoline_kernelINS0_14default_configENS1_25partition_config_selectorILNS1_17partition_subalgoE5ElNS0_10empty_typeEbEEZZNS1_14partition_implILS5_5ELb0ES3_mN6hipcub16HIPCUB_304000_NS21CountingInputIteratorIllEEPS6_NSA_22TransformInputIteratorIb7NonZeroIaEPalEENS0_5tupleIJPlS6_EEENSJ_IJSD_SD_EEES6_SK_JS6_EEE10hipError_tPvRmT3_T4_T5_T6_T7_T9_mT8_P12ihipStream_tbDpT10_ENKUlT_T0_E_clISt17integral_constantIbLb1EES15_IbLb0EEEEDaS11_S12_EUlS11_E_NS1_11comp_targetILNS1_3genE2ELNS1_11target_archE906ELNS1_3gpuE6ELNS1_3repE0EEENS1_30default_config_static_selectorELNS0_4arch9wavefront6targetE1EEEvT1_
		.amdhsa_group_segment_fixed_size 0
		.amdhsa_private_segment_fixed_size 0
		.amdhsa_kernarg_size 120
		.amdhsa_user_sgpr_count 6
		.amdhsa_user_sgpr_private_segment_buffer 1
		.amdhsa_user_sgpr_dispatch_ptr 0
		.amdhsa_user_sgpr_queue_ptr 0
		.amdhsa_user_sgpr_kernarg_segment_ptr 1
		.amdhsa_user_sgpr_dispatch_id 0
		.amdhsa_user_sgpr_flat_scratch_init 0
		.amdhsa_user_sgpr_private_segment_size 0
		.amdhsa_uses_dynamic_stack 0
		.amdhsa_system_sgpr_private_segment_wavefront_offset 0
		.amdhsa_system_sgpr_workgroup_id_x 1
		.amdhsa_system_sgpr_workgroup_id_y 0
		.amdhsa_system_sgpr_workgroup_id_z 0
		.amdhsa_system_sgpr_workgroup_info 0
		.amdhsa_system_vgpr_workitem_id 0
		.amdhsa_next_free_vgpr 1
		.amdhsa_next_free_sgpr 0
		.amdhsa_reserve_vcc 0
		.amdhsa_reserve_flat_scratch 0
		.amdhsa_float_round_mode_32 0
		.amdhsa_float_round_mode_16_64 0
		.amdhsa_float_denorm_mode_32 3
		.amdhsa_float_denorm_mode_16_64 3
		.amdhsa_dx10_clamp 1
		.amdhsa_ieee_mode 1
		.amdhsa_fp16_overflow 0
		.amdhsa_exception_fp_ieee_invalid_op 0
		.amdhsa_exception_fp_denorm_src 0
		.amdhsa_exception_fp_ieee_div_zero 0
		.amdhsa_exception_fp_ieee_overflow 0
		.amdhsa_exception_fp_ieee_underflow 0
		.amdhsa_exception_fp_ieee_inexact 0
		.amdhsa_exception_int_div_zero 0
	.end_amdhsa_kernel
	.section	.text._ZN7rocprim17ROCPRIM_400000_NS6detail17trampoline_kernelINS0_14default_configENS1_25partition_config_selectorILNS1_17partition_subalgoE5ElNS0_10empty_typeEbEEZZNS1_14partition_implILS5_5ELb0ES3_mN6hipcub16HIPCUB_304000_NS21CountingInputIteratorIllEEPS6_NSA_22TransformInputIteratorIb7NonZeroIaEPalEENS0_5tupleIJPlS6_EEENSJ_IJSD_SD_EEES6_SK_JS6_EEE10hipError_tPvRmT3_T4_T5_T6_T7_T9_mT8_P12ihipStream_tbDpT10_ENKUlT_T0_E_clISt17integral_constantIbLb1EES15_IbLb0EEEEDaS11_S12_EUlS11_E_NS1_11comp_targetILNS1_3genE2ELNS1_11target_archE906ELNS1_3gpuE6ELNS1_3repE0EEENS1_30default_config_static_selectorELNS0_4arch9wavefront6targetE1EEEvT1_,"axG",@progbits,_ZN7rocprim17ROCPRIM_400000_NS6detail17trampoline_kernelINS0_14default_configENS1_25partition_config_selectorILNS1_17partition_subalgoE5ElNS0_10empty_typeEbEEZZNS1_14partition_implILS5_5ELb0ES3_mN6hipcub16HIPCUB_304000_NS21CountingInputIteratorIllEEPS6_NSA_22TransformInputIteratorIb7NonZeroIaEPalEENS0_5tupleIJPlS6_EEENSJ_IJSD_SD_EEES6_SK_JS6_EEE10hipError_tPvRmT3_T4_T5_T6_T7_T9_mT8_P12ihipStream_tbDpT10_ENKUlT_T0_E_clISt17integral_constantIbLb1EES15_IbLb0EEEEDaS11_S12_EUlS11_E_NS1_11comp_targetILNS1_3genE2ELNS1_11target_archE906ELNS1_3gpuE6ELNS1_3repE0EEENS1_30default_config_static_selectorELNS0_4arch9wavefront6targetE1EEEvT1_,comdat
.Lfunc_end67:
	.size	_ZN7rocprim17ROCPRIM_400000_NS6detail17trampoline_kernelINS0_14default_configENS1_25partition_config_selectorILNS1_17partition_subalgoE5ElNS0_10empty_typeEbEEZZNS1_14partition_implILS5_5ELb0ES3_mN6hipcub16HIPCUB_304000_NS21CountingInputIteratorIllEEPS6_NSA_22TransformInputIteratorIb7NonZeroIaEPalEENS0_5tupleIJPlS6_EEENSJ_IJSD_SD_EEES6_SK_JS6_EEE10hipError_tPvRmT3_T4_T5_T6_T7_T9_mT8_P12ihipStream_tbDpT10_ENKUlT_T0_E_clISt17integral_constantIbLb1EES15_IbLb0EEEEDaS11_S12_EUlS11_E_NS1_11comp_targetILNS1_3genE2ELNS1_11target_archE906ELNS1_3gpuE6ELNS1_3repE0EEENS1_30default_config_static_selectorELNS0_4arch9wavefront6targetE1EEEvT1_, .Lfunc_end67-_ZN7rocprim17ROCPRIM_400000_NS6detail17trampoline_kernelINS0_14default_configENS1_25partition_config_selectorILNS1_17partition_subalgoE5ElNS0_10empty_typeEbEEZZNS1_14partition_implILS5_5ELb0ES3_mN6hipcub16HIPCUB_304000_NS21CountingInputIteratorIllEEPS6_NSA_22TransformInputIteratorIb7NonZeroIaEPalEENS0_5tupleIJPlS6_EEENSJ_IJSD_SD_EEES6_SK_JS6_EEE10hipError_tPvRmT3_T4_T5_T6_T7_T9_mT8_P12ihipStream_tbDpT10_ENKUlT_T0_E_clISt17integral_constantIbLb1EES15_IbLb0EEEEDaS11_S12_EUlS11_E_NS1_11comp_targetILNS1_3genE2ELNS1_11target_archE906ELNS1_3gpuE6ELNS1_3repE0EEENS1_30default_config_static_selectorELNS0_4arch9wavefront6targetE1EEEvT1_
                                        ; -- End function
	.set _ZN7rocprim17ROCPRIM_400000_NS6detail17trampoline_kernelINS0_14default_configENS1_25partition_config_selectorILNS1_17partition_subalgoE5ElNS0_10empty_typeEbEEZZNS1_14partition_implILS5_5ELb0ES3_mN6hipcub16HIPCUB_304000_NS21CountingInputIteratorIllEEPS6_NSA_22TransformInputIteratorIb7NonZeroIaEPalEENS0_5tupleIJPlS6_EEENSJ_IJSD_SD_EEES6_SK_JS6_EEE10hipError_tPvRmT3_T4_T5_T6_T7_T9_mT8_P12ihipStream_tbDpT10_ENKUlT_T0_E_clISt17integral_constantIbLb1EES15_IbLb0EEEEDaS11_S12_EUlS11_E_NS1_11comp_targetILNS1_3genE2ELNS1_11target_archE906ELNS1_3gpuE6ELNS1_3repE0EEENS1_30default_config_static_selectorELNS0_4arch9wavefront6targetE1EEEvT1_.num_vgpr, 0
	.set _ZN7rocprim17ROCPRIM_400000_NS6detail17trampoline_kernelINS0_14default_configENS1_25partition_config_selectorILNS1_17partition_subalgoE5ElNS0_10empty_typeEbEEZZNS1_14partition_implILS5_5ELb0ES3_mN6hipcub16HIPCUB_304000_NS21CountingInputIteratorIllEEPS6_NSA_22TransformInputIteratorIb7NonZeroIaEPalEENS0_5tupleIJPlS6_EEENSJ_IJSD_SD_EEES6_SK_JS6_EEE10hipError_tPvRmT3_T4_T5_T6_T7_T9_mT8_P12ihipStream_tbDpT10_ENKUlT_T0_E_clISt17integral_constantIbLb1EES15_IbLb0EEEEDaS11_S12_EUlS11_E_NS1_11comp_targetILNS1_3genE2ELNS1_11target_archE906ELNS1_3gpuE6ELNS1_3repE0EEENS1_30default_config_static_selectorELNS0_4arch9wavefront6targetE1EEEvT1_.num_agpr, 0
	.set _ZN7rocprim17ROCPRIM_400000_NS6detail17trampoline_kernelINS0_14default_configENS1_25partition_config_selectorILNS1_17partition_subalgoE5ElNS0_10empty_typeEbEEZZNS1_14partition_implILS5_5ELb0ES3_mN6hipcub16HIPCUB_304000_NS21CountingInputIteratorIllEEPS6_NSA_22TransformInputIteratorIb7NonZeroIaEPalEENS0_5tupleIJPlS6_EEENSJ_IJSD_SD_EEES6_SK_JS6_EEE10hipError_tPvRmT3_T4_T5_T6_T7_T9_mT8_P12ihipStream_tbDpT10_ENKUlT_T0_E_clISt17integral_constantIbLb1EES15_IbLb0EEEEDaS11_S12_EUlS11_E_NS1_11comp_targetILNS1_3genE2ELNS1_11target_archE906ELNS1_3gpuE6ELNS1_3repE0EEENS1_30default_config_static_selectorELNS0_4arch9wavefront6targetE1EEEvT1_.numbered_sgpr, 0
	.set _ZN7rocprim17ROCPRIM_400000_NS6detail17trampoline_kernelINS0_14default_configENS1_25partition_config_selectorILNS1_17partition_subalgoE5ElNS0_10empty_typeEbEEZZNS1_14partition_implILS5_5ELb0ES3_mN6hipcub16HIPCUB_304000_NS21CountingInputIteratorIllEEPS6_NSA_22TransformInputIteratorIb7NonZeroIaEPalEENS0_5tupleIJPlS6_EEENSJ_IJSD_SD_EEES6_SK_JS6_EEE10hipError_tPvRmT3_T4_T5_T6_T7_T9_mT8_P12ihipStream_tbDpT10_ENKUlT_T0_E_clISt17integral_constantIbLb1EES15_IbLb0EEEEDaS11_S12_EUlS11_E_NS1_11comp_targetILNS1_3genE2ELNS1_11target_archE906ELNS1_3gpuE6ELNS1_3repE0EEENS1_30default_config_static_selectorELNS0_4arch9wavefront6targetE1EEEvT1_.num_named_barrier, 0
	.set _ZN7rocprim17ROCPRIM_400000_NS6detail17trampoline_kernelINS0_14default_configENS1_25partition_config_selectorILNS1_17partition_subalgoE5ElNS0_10empty_typeEbEEZZNS1_14partition_implILS5_5ELb0ES3_mN6hipcub16HIPCUB_304000_NS21CountingInputIteratorIllEEPS6_NSA_22TransformInputIteratorIb7NonZeroIaEPalEENS0_5tupleIJPlS6_EEENSJ_IJSD_SD_EEES6_SK_JS6_EEE10hipError_tPvRmT3_T4_T5_T6_T7_T9_mT8_P12ihipStream_tbDpT10_ENKUlT_T0_E_clISt17integral_constantIbLb1EES15_IbLb0EEEEDaS11_S12_EUlS11_E_NS1_11comp_targetILNS1_3genE2ELNS1_11target_archE906ELNS1_3gpuE6ELNS1_3repE0EEENS1_30default_config_static_selectorELNS0_4arch9wavefront6targetE1EEEvT1_.private_seg_size, 0
	.set _ZN7rocprim17ROCPRIM_400000_NS6detail17trampoline_kernelINS0_14default_configENS1_25partition_config_selectorILNS1_17partition_subalgoE5ElNS0_10empty_typeEbEEZZNS1_14partition_implILS5_5ELb0ES3_mN6hipcub16HIPCUB_304000_NS21CountingInputIteratorIllEEPS6_NSA_22TransformInputIteratorIb7NonZeroIaEPalEENS0_5tupleIJPlS6_EEENSJ_IJSD_SD_EEES6_SK_JS6_EEE10hipError_tPvRmT3_T4_T5_T6_T7_T9_mT8_P12ihipStream_tbDpT10_ENKUlT_T0_E_clISt17integral_constantIbLb1EES15_IbLb0EEEEDaS11_S12_EUlS11_E_NS1_11comp_targetILNS1_3genE2ELNS1_11target_archE906ELNS1_3gpuE6ELNS1_3repE0EEENS1_30default_config_static_selectorELNS0_4arch9wavefront6targetE1EEEvT1_.uses_vcc, 0
	.set _ZN7rocprim17ROCPRIM_400000_NS6detail17trampoline_kernelINS0_14default_configENS1_25partition_config_selectorILNS1_17partition_subalgoE5ElNS0_10empty_typeEbEEZZNS1_14partition_implILS5_5ELb0ES3_mN6hipcub16HIPCUB_304000_NS21CountingInputIteratorIllEEPS6_NSA_22TransformInputIteratorIb7NonZeroIaEPalEENS0_5tupleIJPlS6_EEENSJ_IJSD_SD_EEES6_SK_JS6_EEE10hipError_tPvRmT3_T4_T5_T6_T7_T9_mT8_P12ihipStream_tbDpT10_ENKUlT_T0_E_clISt17integral_constantIbLb1EES15_IbLb0EEEEDaS11_S12_EUlS11_E_NS1_11comp_targetILNS1_3genE2ELNS1_11target_archE906ELNS1_3gpuE6ELNS1_3repE0EEENS1_30default_config_static_selectorELNS0_4arch9wavefront6targetE1EEEvT1_.uses_flat_scratch, 0
	.set _ZN7rocprim17ROCPRIM_400000_NS6detail17trampoline_kernelINS0_14default_configENS1_25partition_config_selectorILNS1_17partition_subalgoE5ElNS0_10empty_typeEbEEZZNS1_14partition_implILS5_5ELb0ES3_mN6hipcub16HIPCUB_304000_NS21CountingInputIteratorIllEEPS6_NSA_22TransformInputIteratorIb7NonZeroIaEPalEENS0_5tupleIJPlS6_EEENSJ_IJSD_SD_EEES6_SK_JS6_EEE10hipError_tPvRmT3_T4_T5_T6_T7_T9_mT8_P12ihipStream_tbDpT10_ENKUlT_T0_E_clISt17integral_constantIbLb1EES15_IbLb0EEEEDaS11_S12_EUlS11_E_NS1_11comp_targetILNS1_3genE2ELNS1_11target_archE906ELNS1_3gpuE6ELNS1_3repE0EEENS1_30default_config_static_selectorELNS0_4arch9wavefront6targetE1EEEvT1_.has_dyn_sized_stack, 0
	.set _ZN7rocprim17ROCPRIM_400000_NS6detail17trampoline_kernelINS0_14default_configENS1_25partition_config_selectorILNS1_17partition_subalgoE5ElNS0_10empty_typeEbEEZZNS1_14partition_implILS5_5ELb0ES3_mN6hipcub16HIPCUB_304000_NS21CountingInputIteratorIllEEPS6_NSA_22TransformInputIteratorIb7NonZeroIaEPalEENS0_5tupleIJPlS6_EEENSJ_IJSD_SD_EEES6_SK_JS6_EEE10hipError_tPvRmT3_T4_T5_T6_T7_T9_mT8_P12ihipStream_tbDpT10_ENKUlT_T0_E_clISt17integral_constantIbLb1EES15_IbLb0EEEEDaS11_S12_EUlS11_E_NS1_11comp_targetILNS1_3genE2ELNS1_11target_archE906ELNS1_3gpuE6ELNS1_3repE0EEENS1_30default_config_static_selectorELNS0_4arch9wavefront6targetE1EEEvT1_.has_recursion, 0
	.set _ZN7rocprim17ROCPRIM_400000_NS6detail17trampoline_kernelINS0_14default_configENS1_25partition_config_selectorILNS1_17partition_subalgoE5ElNS0_10empty_typeEbEEZZNS1_14partition_implILS5_5ELb0ES3_mN6hipcub16HIPCUB_304000_NS21CountingInputIteratorIllEEPS6_NSA_22TransformInputIteratorIb7NonZeroIaEPalEENS0_5tupleIJPlS6_EEENSJ_IJSD_SD_EEES6_SK_JS6_EEE10hipError_tPvRmT3_T4_T5_T6_T7_T9_mT8_P12ihipStream_tbDpT10_ENKUlT_T0_E_clISt17integral_constantIbLb1EES15_IbLb0EEEEDaS11_S12_EUlS11_E_NS1_11comp_targetILNS1_3genE2ELNS1_11target_archE906ELNS1_3gpuE6ELNS1_3repE0EEENS1_30default_config_static_selectorELNS0_4arch9wavefront6targetE1EEEvT1_.has_indirect_call, 0
	.section	.AMDGPU.csdata,"",@progbits
; Kernel info:
; codeLenInByte = 4
; TotalNumSgprs: 4
; NumVgprs: 0
; ScratchSize: 0
; MemoryBound: 0
; FloatMode: 240
; IeeeMode: 1
; LDSByteSize: 0 bytes/workgroup (compile time only)
; SGPRBlocks: 0
; VGPRBlocks: 0
; NumSGPRsForWavesPerEU: 4
; NumVGPRsForWavesPerEU: 1
; Occupancy: 10
; WaveLimiterHint : 0
; COMPUTE_PGM_RSRC2:SCRATCH_EN: 0
; COMPUTE_PGM_RSRC2:USER_SGPR: 6
; COMPUTE_PGM_RSRC2:TRAP_HANDLER: 0
; COMPUTE_PGM_RSRC2:TGID_X_EN: 1
; COMPUTE_PGM_RSRC2:TGID_Y_EN: 0
; COMPUTE_PGM_RSRC2:TGID_Z_EN: 0
; COMPUTE_PGM_RSRC2:TIDIG_COMP_CNT: 0
	.section	.text._ZN7rocprim17ROCPRIM_400000_NS6detail17trampoline_kernelINS0_14default_configENS1_25partition_config_selectorILNS1_17partition_subalgoE5ElNS0_10empty_typeEbEEZZNS1_14partition_implILS5_5ELb0ES3_mN6hipcub16HIPCUB_304000_NS21CountingInputIteratorIllEEPS6_NSA_22TransformInputIteratorIb7NonZeroIaEPalEENS0_5tupleIJPlS6_EEENSJ_IJSD_SD_EEES6_SK_JS6_EEE10hipError_tPvRmT3_T4_T5_T6_T7_T9_mT8_P12ihipStream_tbDpT10_ENKUlT_T0_E_clISt17integral_constantIbLb1EES15_IbLb0EEEEDaS11_S12_EUlS11_E_NS1_11comp_targetILNS1_3genE10ELNS1_11target_archE1200ELNS1_3gpuE4ELNS1_3repE0EEENS1_30default_config_static_selectorELNS0_4arch9wavefront6targetE1EEEvT1_,"axG",@progbits,_ZN7rocprim17ROCPRIM_400000_NS6detail17trampoline_kernelINS0_14default_configENS1_25partition_config_selectorILNS1_17partition_subalgoE5ElNS0_10empty_typeEbEEZZNS1_14partition_implILS5_5ELb0ES3_mN6hipcub16HIPCUB_304000_NS21CountingInputIteratorIllEEPS6_NSA_22TransformInputIteratorIb7NonZeroIaEPalEENS0_5tupleIJPlS6_EEENSJ_IJSD_SD_EEES6_SK_JS6_EEE10hipError_tPvRmT3_T4_T5_T6_T7_T9_mT8_P12ihipStream_tbDpT10_ENKUlT_T0_E_clISt17integral_constantIbLb1EES15_IbLb0EEEEDaS11_S12_EUlS11_E_NS1_11comp_targetILNS1_3genE10ELNS1_11target_archE1200ELNS1_3gpuE4ELNS1_3repE0EEENS1_30default_config_static_selectorELNS0_4arch9wavefront6targetE1EEEvT1_,comdat
	.protected	_ZN7rocprim17ROCPRIM_400000_NS6detail17trampoline_kernelINS0_14default_configENS1_25partition_config_selectorILNS1_17partition_subalgoE5ElNS0_10empty_typeEbEEZZNS1_14partition_implILS5_5ELb0ES3_mN6hipcub16HIPCUB_304000_NS21CountingInputIteratorIllEEPS6_NSA_22TransformInputIteratorIb7NonZeroIaEPalEENS0_5tupleIJPlS6_EEENSJ_IJSD_SD_EEES6_SK_JS6_EEE10hipError_tPvRmT3_T4_T5_T6_T7_T9_mT8_P12ihipStream_tbDpT10_ENKUlT_T0_E_clISt17integral_constantIbLb1EES15_IbLb0EEEEDaS11_S12_EUlS11_E_NS1_11comp_targetILNS1_3genE10ELNS1_11target_archE1200ELNS1_3gpuE4ELNS1_3repE0EEENS1_30default_config_static_selectorELNS0_4arch9wavefront6targetE1EEEvT1_ ; -- Begin function _ZN7rocprim17ROCPRIM_400000_NS6detail17trampoline_kernelINS0_14default_configENS1_25partition_config_selectorILNS1_17partition_subalgoE5ElNS0_10empty_typeEbEEZZNS1_14partition_implILS5_5ELb0ES3_mN6hipcub16HIPCUB_304000_NS21CountingInputIteratorIllEEPS6_NSA_22TransformInputIteratorIb7NonZeroIaEPalEENS0_5tupleIJPlS6_EEENSJ_IJSD_SD_EEES6_SK_JS6_EEE10hipError_tPvRmT3_T4_T5_T6_T7_T9_mT8_P12ihipStream_tbDpT10_ENKUlT_T0_E_clISt17integral_constantIbLb1EES15_IbLb0EEEEDaS11_S12_EUlS11_E_NS1_11comp_targetILNS1_3genE10ELNS1_11target_archE1200ELNS1_3gpuE4ELNS1_3repE0EEENS1_30default_config_static_selectorELNS0_4arch9wavefront6targetE1EEEvT1_
	.globl	_ZN7rocprim17ROCPRIM_400000_NS6detail17trampoline_kernelINS0_14default_configENS1_25partition_config_selectorILNS1_17partition_subalgoE5ElNS0_10empty_typeEbEEZZNS1_14partition_implILS5_5ELb0ES3_mN6hipcub16HIPCUB_304000_NS21CountingInputIteratorIllEEPS6_NSA_22TransformInputIteratorIb7NonZeroIaEPalEENS0_5tupleIJPlS6_EEENSJ_IJSD_SD_EEES6_SK_JS6_EEE10hipError_tPvRmT3_T4_T5_T6_T7_T9_mT8_P12ihipStream_tbDpT10_ENKUlT_T0_E_clISt17integral_constantIbLb1EES15_IbLb0EEEEDaS11_S12_EUlS11_E_NS1_11comp_targetILNS1_3genE10ELNS1_11target_archE1200ELNS1_3gpuE4ELNS1_3repE0EEENS1_30default_config_static_selectorELNS0_4arch9wavefront6targetE1EEEvT1_
	.p2align	8
	.type	_ZN7rocprim17ROCPRIM_400000_NS6detail17trampoline_kernelINS0_14default_configENS1_25partition_config_selectorILNS1_17partition_subalgoE5ElNS0_10empty_typeEbEEZZNS1_14partition_implILS5_5ELb0ES3_mN6hipcub16HIPCUB_304000_NS21CountingInputIteratorIllEEPS6_NSA_22TransformInputIteratorIb7NonZeroIaEPalEENS0_5tupleIJPlS6_EEENSJ_IJSD_SD_EEES6_SK_JS6_EEE10hipError_tPvRmT3_T4_T5_T6_T7_T9_mT8_P12ihipStream_tbDpT10_ENKUlT_T0_E_clISt17integral_constantIbLb1EES15_IbLb0EEEEDaS11_S12_EUlS11_E_NS1_11comp_targetILNS1_3genE10ELNS1_11target_archE1200ELNS1_3gpuE4ELNS1_3repE0EEENS1_30default_config_static_selectorELNS0_4arch9wavefront6targetE1EEEvT1_,@function
_ZN7rocprim17ROCPRIM_400000_NS6detail17trampoline_kernelINS0_14default_configENS1_25partition_config_selectorILNS1_17partition_subalgoE5ElNS0_10empty_typeEbEEZZNS1_14partition_implILS5_5ELb0ES3_mN6hipcub16HIPCUB_304000_NS21CountingInputIteratorIllEEPS6_NSA_22TransformInputIteratorIb7NonZeroIaEPalEENS0_5tupleIJPlS6_EEENSJ_IJSD_SD_EEES6_SK_JS6_EEE10hipError_tPvRmT3_T4_T5_T6_T7_T9_mT8_P12ihipStream_tbDpT10_ENKUlT_T0_E_clISt17integral_constantIbLb1EES15_IbLb0EEEEDaS11_S12_EUlS11_E_NS1_11comp_targetILNS1_3genE10ELNS1_11target_archE1200ELNS1_3gpuE4ELNS1_3repE0EEENS1_30default_config_static_selectorELNS0_4arch9wavefront6targetE1EEEvT1_: ; @_ZN7rocprim17ROCPRIM_400000_NS6detail17trampoline_kernelINS0_14default_configENS1_25partition_config_selectorILNS1_17partition_subalgoE5ElNS0_10empty_typeEbEEZZNS1_14partition_implILS5_5ELb0ES3_mN6hipcub16HIPCUB_304000_NS21CountingInputIteratorIllEEPS6_NSA_22TransformInputIteratorIb7NonZeroIaEPalEENS0_5tupleIJPlS6_EEENSJ_IJSD_SD_EEES6_SK_JS6_EEE10hipError_tPvRmT3_T4_T5_T6_T7_T9_mT8_P12ihipStream_tbDpT10_ENKUlT_T0_E_clISt17integral_constantIbLb1EES15_IbLb0EEEEDaS11_S12_EUlS11_E_NS1_11comp_targetILNS1_3genE10ELNS1_11target_archE1200ELNS1_3gpuE4ELNS1_3repE0EEENS1_30default_config_static_selectorELNS0_4arch9wavefront6targetE1EEEvT1_
; %bb.0:
	.section	.rodata,"a",@progbits
	.p2align	6, 0x0
	.amdhsa_kernel _ZN7rocprim17ROCPRIM_400000_NS6detail17trampoline_kernelINS0_14default_configENS1_25partition_config_selectorILNS1_17partition_subalgoE5ElNS0_10empty_typeEbEEZZNS1_14partition_implILS5_5ELb0ES3_mN6hipcub16HIPCUB_304000_NS21CountingInputIteratorIllEEPS6_NSA_22TransformInputIteratorIb7NonZeroIaEPalEENS0_5tupleIJPlS6_EEENSJ_IJSD_SD_EEES6_SK_JS6_EEE10hipError_tPvRmT3_T4_T5_T6_T7_T9_mT8_P12ihipStream_tbDpT10_ENKUlT_T0_E_clISt17integral_constantIbLb1EES15_IbLb0EEEEDaS11_S12_EUlS11_E_NS1_11comp_targetILNS1_3genE10ELNS1_11target_archE1200ELNS1_3gpuE4ELNS1_3repE0EEENS1_30default_config_static_selectorELNS0_4arch9wavefront6targetE1EEEvT1_
		.amdhsa_group_segment_fixed_size 0
		.amdhsa_private_segment_fixed_size 0
		.amdhsa_kernarg_size 120
		.amdhsa_user_sgpr_count 6
		.amdhsa_user_sgpr_private_segment_buffer 1
		.amdhsa_user_sgpr_dispatch_ptr 0
		.amdhsa_user_sgpr_queue_ptr 0
		.amdhsa_user_sgpr_kernarg_segment_ptr 1
		.amdhsa_user_sgpr_dispatch_id 0
		.amdhsa_user_sgpr_flat_scratch_init 0
		.amdhsa_user_sgpr_private_segment_size 0
		.amdhsa_uses_dynamic_stack 0
		.amdhsa_system_sgpr_private_segment_wavefront_offset 0
		.amdhsa_system_sgpr_workgroup_id_x 1
		.amdhsa_system_sgpr_workgroup_id_y 0
		.amdhsa_system_sgpr_workgroup_id_z 0
		.amdhsa_system_sgpr_workgroup_info 0
		.amdhsa_system_vgpr_workitem_id 0
		.amdhsa_next_free_vgpr 1
		.amdhsa_next_free_sgpr 0
		.amdhsa_reserve_vcc 0
		.amdhsa_reserve_flat_scratch 0
		.amdhsa_float_round_mode_32 0
		.amdhsa_float_round_mode_16_64 0
		.amdhsa_float_denorm_mode_32 3
		.amdhsa_float_denorm_mode_16_64 3
		.amdhsa_dx10_clamp 1
		.amdhsa_ieee_mode 1
		.amdhsa_fp16_overflow 0
		.amdhsa_exception_fp_ieee_invalid_op 0
		.amdhsa_exception_fp_denorm_src 0
		.amdhsa_exception_fp_ieee_div_zero 0
		.amdhsa_exception_fp_ieee_overflow 0
		.amdhsa_exception_fp_ieee_underflow 0
		.amdhsa_exception_fp_ieee_inexact 0
		.amdhsa_exception_int_div_zero 0
	.end_amdhsa_kernel
	.section	.text._ZN7rocprim17ROCPRIM_400000_NS6detail17trampoline_kernelINS0_14default_configENS1_25partition_config_selectorILNS1_17partition_subalgoE5ElNS0_10empty_typeEbEEZZNS1_14partition_implILS5_5ELb0ES3_mN6hipcub16HIPCUB_304000_NS21CountingInputIteratorIllEEPS6_NSA_22TransformInputIteratorIb7NonZeroIaEPalEENS0_5tupleIJPlS6_EEENSJ_IJSD_SD_EEES6_SK_JS6_EEE10hipError_tPvRmT3_T4_T5_T6_T7_T9_mT8_P12ihipStream_tbDpT10_ENKUlT_T0_E_clISt17integral_constantIbLb1EES15_IbLb0EEEEDaS11_S12_EUlS11_E_NS1_11comp_targetILNS1_3genE10ELNS1_11target_archE1200ELNS1_3gpuE4ELNS1_3repE0EEENS1_30default_config_static_selectorELNS0_4arch9wavefront6targetE1EEEvT1_,"axG",@progbits,_ZN7rocprim17ROCPRIM_400000_NS6detail17trampoline_kernelINS0_14default_configENS1_25partition_config_selectorILNS1_17partition_subalgoE5ElNS0_10empty_typeEbEEZZNS1_14partition_implILS5_5ELb0ES3_mN6hipcub16HIPCUB_304000_NS21CountingInputIteratorIllEEPS6_NSA_22TransformInputIteratorIb7NonZeroIaEPalEENS0_5tupleIJPlS6_EEENSJ_IJSD_SD_EEES6_SK_JS6_EEE10hipError_tPvRmT3_T4_T5_T6_T7_T9_mT8_P12ihipStream_tbDpT10_ENKUlT_T0_E_clISt17integral_constantIbLb1EES15_IbLb0EEEEDaS11_S12_EUlS11_E_NS1_11comp_targetILNS1_3genE10ELNS1_11target_archE1200ELNS1_3gpuE4ELNS1_3repE0EEENS1_30default_config_static_selectorELNS0_4arch9wavefront6targetE1EEEvT1_,comdat
.Lfunc_end68:
	.size	_ZN7rocprim17ROCPRIM_400000_NS6detail17trampoline_kernelINS0_14default_configENS1_25partition_config_selectorILNS1_17partition_subalgoE5ElNS0_10empty_typeEbEEZZNS1_14partition_implILS5_5ELb0ES3_mN6hipcub16HIPCUB_304000_NS21CountingInputIteratorIllEEPS6_NSA_22TransformInputIteratorIb7NonZeroIaEPalEENS0_5tupleIJPlS6_EEENSJ_IJSD_SD_EEES6_SK_JS6_EEE10hipError_tPvRmT3_T4_T5_T6_T7_T9_mT8_P12ihipStream_tbDpT10_ENKUlT_T0_E_clISt17integral_constantIbLb1EES15_IbLb0EEEEDaS11_S12_EUlS11_E_NS1_11comp_targetILNS1_3genE10ELNS1_11target_archE1200ELNS1_3gpuE4ELNS1_3repE0EEENS1_30default_config_static_selectorELNS0_4arch9wavefront6targetE1EEEvT1_, .Lfunc_end68-_ZN7rocprim17ROCPRIM_400000_NS6detail17trampoline_kernelINS0_14default_configENS1_25partition_config_selectorILNS1_17partition_subalgoE5ElNS0_10empty_typeEbEEZZNS1_14partition_implILS5_5ELb0ES3_mN6hipcub16HIPCUB_304000_NS21CountingInputIteratorIllEEPS6_NSA_22TransformInputIteratorIb7NonZeroIaEPalEENS0_5tupleIJPlS6_EEENSJ_IJSD_SD_EEES6_SK_JS6_EEE10hipError_tPvRmT3_T4_T5_T6_T7_T9_mT8_P12ihipStream_tbDpT10_ENKUlT_T0_E_clISt17integral_constantIbLb1EES15_IbLb0EEEEDaS11_S12_EUlS11_E_NS1_11comp_targetILNS1_3genE10ELNS1_11target_archE1200ELNS1_3gpuE4ELNS1_3repE0EEENS1_30default_config_static_selectorELNS0_4arch9wavefront6targetE1EEEvT1_
                                        ; -- End function
	.set _ZN7rocprim17ROCPRIM_400000_NS6detail17trampoline_kernelINS0_14default_configENS1_25partition_config_selectorILNS1_17partition_subalgoE5ElNS0_10empty_typeEbEEZZNS1_14partition_implILS5_5ELb0ES3_mN6hipcub16HIPCUB_304000_NS21CountingInputIteratorIllEEPS6_NSA_22TransformInputIteratorIb7NonZeroIaEPalEENS0_5tupleIJPlS6_EEENSJ_IJSD_SD_EEES6_SK_JS6_EEE10hipError_tPvRmT3_T4_T5_T6_T7_T9_mT8_P12ihipStream_tbDpT10_ENKUlT_T0_E_clISt17integral_constantIbLb1EES15_IbLb0EEEEDaS11_S12_EUlS11_E_NS1_11comp_targetILNS1_3genE10ELNS1_11target_archE1200ELNS1_3gpuE4ELNS1_3repE0EEENS1_30default_config_static_selectorELNS0_4arch9wavefront6targetE1EEEvT1_.num_vgpr, 0
	.set _ZN7rocprim17ROCPRIM_400000_NS6detail17trampoline_kernelINS0_14default_configENS1_25partition_config_selectorILNS1_17partition_subalgoE5ElNS0_10empty_typeEbEEZZNS1_14partition_implILS5_5ELb0ES3_mN6hipcub16HIPCUB_304000_NS21CountingInputIteratorIllEEPS6_NSA_22TransformInputIteratorIb7NonZeroIaEPalEENS0_5tupleIJPlS6_EEENSJ_IJSD_SD_EEES6_SK_JS6_EEE10hipError_tPvRmT3_T4_T5_T6_T7_T9_mT8_P12ihipStream_tbDpT10_ENKUlT_T0_E_clISt17integral_constantIbLb1EES15_IbLb0EEEEDaS11_S12_EUlS11_E_NS1_11comp_targetILNS1_3genE10ELNS1_11target_archE1200ELNS1_3gpuE4ELNS1_3repE0EEENS1_30default_config_static_selectorELNS0_4arch9wavefront6targetE1EEEvT1_.num_agpr, 0
	.set _ZN7rocprim17ROCPRIM_400000_NS6detail17trampoline_kernelINS0_14default_configENS1_25partition_config_selectorILNS1_17partition_subalgoE5ElNS0_10empty_typeEbEEZZNS1_14partition_implILS5_5ELb0ES3_mN6hipcub16HIPCUB_304000_NS21CountingInputIteratorIllEEPS6_NSA_22TransformInputIteratorIb7NonZeroIaEPalEENS0_5tupleIJPlS6_EEENSJ_IJSD_SD_EEES6_SK_JS6_EEE10hipError_tPvRmT3_T4_T5_T6_T7_T9_mT8_P12ihipStream_tbDpT10_ENKUlT_T0_E_clISt17integral_constantIbLb1EES15_IbLb0EEEEDaS11_S12_EUlS11_E_NS1_11comp_targetILNS1_3genE10ELNS1_11target_archE1200ELNS1_3gpuE4ELNS1_3repE0EEENS1_30default_config_static_selectorELNS0_4arch9wavefront6targetE1EEEvT1_.numbered_sgpr, 0
	.set _ZN7rocprim17ROCPRIM_400000_NS6detail17trampoline_kernelINS0_14default_configENS1_25partition_config_selectorILNS1_17partition_subalgoE5ElNS0_10empty_typeEbEEZZNS1_14partition_implILS5_5ELb0ES3_mN6hipcub16HIPCUB_304000_NS21CountingInputIteratorIllEEPS6_NSA_22TransformInputIteratorIb7NonZeroIaEPalEENS0_5tupleIJPlS6_EEENSJ_IJSD_SD_EEES6_SK_JS6_EEE10hipError_tPvRmT3_T4_T5_T6_T7_T9_mT8_P12ihipStream_tbDpT10_ENKUlT_T0_E_clISt17integral_constantIbLb1EES15_IbLb0EEEEDaS11_S12_EUlS11_E_NS1_11comp_targetILNS1_3genE10ELNS1_11target_archE1200ELNS1_3gpuE4ELNS1_3repE0EEENS1_30default_config_static_selectorELNS0_4arch9wavefront6targetE1EEEvT1_.num_named_barrier, 0
	.set _ZN7rocprim17ROCPRIM_400000_NS6detail17trampoline_kernelINS0_14default_configENS1_25partition_config_selectorILNS1_17partition_subalgoE5ElNS0_10empty_typeEbEEZZNS1_14partition_implILS5_5ELb0ES3_mN6hipcub16HIPCUB_304000_NS21CountingInputIteratorIllEEPS6_NSA_22TransformInputIteratorIb7NonZeroIaEPalEENS0_5tupleIJPlS6_EEENSJ_IJSD_SD_EEES6_SK_JS6_EEE10hipError_tPvRmT3_T4_T5_T6_T7_T9_mT8_P12ihipStream_tbDpT10_ENKUlT_T0_E_clISt17integral_constantIbLb1EES15_IbLb0EEEEDaS11_S12_EUlS11_E_NS1_11comp_targetILNS1_3genE10ELNS1_11target_archE1200ELNS1_3gpuE4ELNS1_3repE0EEENS1_30default_config_static_selectorELNS0_4arch9wavefront6targetE1EEEvT1_.private_seg_size, 0
	.set _ZN7rocprim17ROCPRIM_400000_NS6detail17trampoline_kernelINS0_14default_configENS1_25partition_config_selectorILNS1_17partition_subalgoE5ElNS0_10empty_typeEbEEZZNS1_14partition_implILS5_5ELb0ES3_mN6hipcub16HIPCUB_304000_NS21CountingInputIteratorIllEEPS6_NSA_22TransformInputIteratorIb7NonZeroIaEPalEENS0_5tupleIJPlS6_EEENSJ_IJSD_SD_EEES6_SK_JS6_EEE10hipError_tPvRmT3_T4_T5_T6_T7_T9_mT8_P12ihipStream_tbDpT10_ENKUlT_T0_E_clISt17integral_constantIbLb1EES15_IbLb0EEEEDaS11_S12_EUlS11_E_NS1_11comp_targetILNS1_3genE10ELNS1_11target_archE1200ELNS1_3gpuE4ELNS1_3repE0EEENS1_30default_config_static_selectorELNS0_4arch9wavefront6targetE1EEEvT1_.uses_vcc, 0
	.set _ZN7rocprim17ROCPRIM_400000_NS6detail17trampoline_kernelINS0_14default_configENS1_25partition_config_selectorILNS1_17partition_subalgoE5ElNS0_10empty_typeEbEEZZNS1_14partition_implILS5_5ELb0ES3_mN6hipcub16HIPCUB_304000_NS21CountingInputIteratorIllEEPS6_NSA_22TransformInputIteratorIb7NonZeroIaEPalEENS0_5tupleIJPlS6_EEENSJ_IJSD_SD_EEES6_SK_JS6_EEE10hipError_tPvRmT3_T4_T5_T6_T7_T9_mT8_P12ihipStream_tbDpT10_ENKUlT_T0_E_clISt17integral_constantIbLb1EES15_IbLb0EEEEDaS11_S12_EUlS11_E_NS1_11comp_targetILNS1_3genE10ELNS1_11target_archE1200ELNS1_3gpuE4ELNS1_3repE0EEENS1_30default_config_static_selectorELNS0_4arch9wavefront6targetE1EEEvT1_.uses_flat_scratch, 0
	.set _ZN7rocprim17ROCPRIM_400000_NS6detail17trampoline_kernelINS0_14default_configENS1_25partition_config_selectorILNS1_17partition_subalgoE5ElNS0_10empty_typeEbEEZZNS1_14partition_implILS5_5ELb0ES3_mN6hipcub16HIPCUB_304000_NS21CountingInputIteratorIllEEPS6_NSA_22TransformInputIteratorIb7NonZeroIaEPalEENS0_5tupleIJPlS6_EEENSJ_IJSD_SD_EEES6_SK_JS6_EEE10hipError_tPvRmT3_T4_T5_T6_T7_T9_mT8_P12ihipStream_tbDpT10_ENKUlT_T0_E_clISt17integral_constantIbLb1EES15_IbLb0EEEEDaS11_S12_EUlS11_E_NS1_11comp_targetILNS1_3genE10ELNS1_11target_archE1200ELNS1_3gpuE4ELNS1_3repE0EEENS1_30default_config_static_selectorELNS0_4arch9wavefront6targetE1EEEvT1_.has_dyn_sized_stack, 0
	.set _ZN7rocprim17ROCPRIM_400000_NS6detail17trampoline_kernelINS0_14default_configENS1_25partition_config_selectorILNS1_17partition_subalgoE5ElNS0_10empty_typeEbEEZZNS1_14partition_implILS5_5ELb0ES3_mN6hipcub16HIPCUB_304000_NS21CountingInputIteratorIllEEPS6_NSA_22TransformInputIteratorIb7NonZeroIaEPalEENS0_5tupleIJPlS6_EEENSJ_IJSD_SD_EEES6_SK_JS6_EEE10hipError_tPvRmT3_T4_T5_T6_T7_T9_mT8_P12ihipStream_tbDpT10_ENKUlT_T0_E_clISt17integral_constantIbLb1EES15_IbLb0EEEEDaS11_S12_EUlS11_E_NS1_11comp_targetILNS1_3genE10ELNS1_11target_archE1200ELNS1_3gpuE4ELNS1_3repE0EEENS1_30default_config_static_selectorELNS0_4arch9wavefront6targetE1EEEvT1_.has_recursion, 0
	.set _ZN7rocprim17ROCPRIM_400000_NS6detail17trampoline_kernelINS0_14default_configENS1_25partition_config_selectorILNS1_17partition_subalgoE5ElNS0_10empty_typeEbEEZZNS1_14partition_implILS5_5ELb0ES3_mN6hipcub16HIPCUB_304000_NS21CountingInputIteratorIllEEPS6_NSA_22TransformInputIteratorIb7NonZeroIaEPalEENS0_5tupleIJPlS6_EEENSJ_IJSD_SD_EEES6_SK_JS6_EEE10hipError_tPvRmT3_T4_T5_T6_T7_T9_mT8_P12ihipStream_tbDpT10_ENKUlT_T0_E_clISt17integral_constantIbLb1EES15_IbLb0EEEEDaS11_S12_EUlS11_E_NS1_11comp_targetILNS1_3genE10ELNS1_11target_archE1200ELNS1_3gpuE4ELNS1_3repE0EEENS1_30default_config_static_selectorELNS0_4arch9wavefront6targetE1EEEvT1_.has_indirect_call, 0
	.section	.AMDGPU.csdata,"",@progbits
; Kernel info:
; codeLenInByte = 0
; TotalNumSgprs: 4
; NumVgprs: 0
; ScratchSize: 0
; MemoryBound: 0
; FloatMode: 240
; IeeeMode: 1
; LDSByteSize: 0 bytes/workgroup (compile time only)
; SGPRBlocks: 0
; VGPRBlocks: 0
; NumSGPRsForWavesPerEU: 4
; NumVGPRsForWavesPerEU: 1
; Occupancy: 10
; WaveLimiterHint : 0
; COMPUTE_PGM_RSRC2:SCRATCH_EN: 0
; COMPUTE_PGM_RSRC2:USER_SGPR: 6
; COMPUTE_PGM_RSRC2:TRAP_HANDLER: 0
; COMPUTE_PGM_RSRC2:TGID_X_EN: 1
; COMPUTE_PGM_RSRC2:TGID_Y_EN: 0
; COMPUTE_PGM_RSRC2:TGID_Z_EN: 0
; COMPUTE_PGM_RSRC2:TIDIG_COMP_CNT: 0
	.section	.text._ZN7rocprim17ROCPRIM_400000_NS6detail17trampoline_kernelINS0_14default_configENS1_25partition_config_selectorILNS1_17partition_subalgoE5ElNS0_10empty_typeEbEEZZNS1_14partition_implILS5_5ELb0ES3_mN6hipcub16HIPCUB_304000_NS21CountingInputIteratorIllEEPS6_NSA_22TransformInputIteratorIb7NonZeroIaEPalEENS0_5tupleIJPlS6_EEENSJ_IJSD_SD_EEES6_SK_JS6_EEE10hipError_tPvRmT3_T4_T5_T6_T7_T9_mT8_P12ihipStream_tbDpT10_ENKUlT_T0_E_clISt17integral_constantIbLb1EES15_IbLb0EEEEDaS11_S12_EUlS11_E_NS1_11comp_targetILNS1_3genE9ELNS1_11target_archE1100ELNS1_3gpuE3ELNS1_3repE0EEENS1_30default_config_static_selectorELNS0_4arch9wavefront6targetE1EEEvT1_,"axG",@progbits,_ZN7rocprim17ROCPRIM_400000_NS6detail17trampoline_kernelINS0_14default_configENS1_25partition_config_selectorILNS1_17partition_subalgoE5ElNS0_10empty_typeEbEEZZNS1_14partition_implILS5_5ELb0ES3_mN6hipcub16HIPCUB_304000_NS21CountingInputIteratorIllEEPS6_NSA_22TransformInputIteratorIb7NonZeroIaEPalEENS0_5tupleIJPlS6_EEENSJ_IJSD_SD_EEES6_SK_JS6_EEE10hipError_tPvRmT3_T4_T5_T6_T7_T9_mT8_P12ihipStream_tbDpT10_ENKUlT_T0_E_clISt17integral_constantIbLb1EES15_IbLb0EEEEDaS11_S12_EUlS11_E_NS1_11comp_targetILNS1_3genE9ELNS1_11target_archE1100ELNS1_3gpuE3ELNS1_3repE0EEENS1_30default_config_static_selectorELNS0_4arch9wavefront6targetE1EEEvT1_,comdat
	.protected	_ZN7rocprim17ROCPRIM_400000_NS6detail17trampoline_kernelINS0_14default_configENS1_25partition_config_selectorILNS1_17partition_subalgoE5ElNS0_10empty_typeEbEEZZNS1_14partition_implILS5_5ELb0ES3_mN6hipcub16HIPCUB_304000_NS21CountingInputIteratorIllEEPS6_NSA_22TransformInputIteratorIb7NonZeroIaEPalEENS0_5tupleIJPlS6_EEENSJ_IJSD_SD_EEES6_SK_JS6_EEE10hipError_tPvRmT3_T4_T5_T6_T7_T9_mT8_P12ihipStream_tbDpT10_ENKUlT_T0_E_clISt17integral_constantIbLb1EES15_IbLb0EEEEDaS11_S12_EUlS11_E_NS1_11comp_targetILNS1_3genE9ELNS1_11target_archE1100ELNS1_3gpuE3ELNS1_3repE0EEENS1_30default_config_static_selectorELNS0_4arch9wavefront6targetE1EEEvT1_ ; -- Begin function _ZN7rocprim17ROCPRIM_400000_NS6detail17trampoline_kernelINS0_14default_configENS1_25partition_config_selectorILNS1_17partition_subalgoE5ElNS0_10empty_typeEbEEZZNS1_14partition_implILS5_5ELb0ES3_mN6hipcub16HIPCUB_304000_NS21CountingInputIteratorIllEEPS6_NSA_22TransformInputIteratorIb7NonZeroIaEPalEENS0_5tupleIJPlS6_EEENSJ_IJSD_SD_EEES6_SK_JS6_EEE10hipError_tPvRmT3_T4_T5_T6_T7_T9_mT8_P12ihipStream_tbDpT10_ENKUlT_T0_E_clISt17integral_constantIbLb1EES15_IbLb0EEEEDaS11_S12_EUlS11_E_NS1_11comp_targetILNS1_3genE9ELNS1_11target_archE1100ELNS1_3gpuE3ELNS1_3repE0EEENS1_30default_config_static_selectorELNS0_4arch9wavefront6targetE1EEEvT1_
	.globl	_ZN7rocprim17ROCPRIM_400000_NS6detail17trampoline_kernelINS0_14default_configENS1_25partition_config_selectorILNS1_17partition_subalgoE5ElNS0_10empty_typeEbEEZZNS1_14partition_implILS5_5ELb0ES3_mN6hipcub16HIPCUB_304000_NS21CountingInputIteratorIllEEPS6_NSA_22TransformInputIteratorIb7NonZeroIaEPalEENS0_5tupleIJPlS6_EEENSJ_IJSD_SD_EEES6_SK_JS6_EEE10hipError_tPvRmT3_T4_T5_T6_T7_T9_mT8_P12ihipStream_tbDpT10_ENKUlT_T0_E_clISt17integral_constantIbLb1EES15_IbLb0EEEEDaS11_S12_EUlS11_E_NS1_11comp_targetILNS1_3genE9ELNS1_11target_archE1100ELNS1_3gpuE3ELNS1_3repE0EEENS1_30default_config_static_selectorELNS0_4arch9wavefront6targetE1EEEvT1_
	.p2align	8
	.type	_ZN7rocprim17ROCPRIM_400000_NS6detail17trampoline_kernelINS0_14default_configENS1_25partition_config_selectorILNS1_17partition_subalgoE5ElNS0_10empty_typeEbEEZZNS1_14partition_implILS5_5ELb0ES3_mN6hipcub16HIPCUB_304000_NS21CountingInputIteratorIllEEPS6_NSA_22TransformInputIteratorIb7NonZeroIaEPalEENS0_5tupleIJPlS6_EEENSJ_IJSD_SD_EEES6_SK_JS6_EEE10hipError_tPvRmT3_T4_T5_T6_T7_T9_mT8_P12ihipStream_tbDpT10_ENKUlT_T0_E_clISt17integral_constantIbLb1EES15_IbLb0EEEEDaS11_S12_EUlS11_E_NS1_11comp_targetILNS1_3genE9ELNS1_11target_archE1100ELNS1_3gpuE3ELNS1_3repE0EEENS1_30default_config_static_selectorELNS0_4arch9wavefront6targetE1EEEvT1_,@function
_ZN7rocprim17ROCPRIM_400000_NS6detail17trampoline_kernelINS0_14default_configENS1_25partition_config_selectorILNS1_17partition_subalgoE5ElNS0_10empty_typeEbEEZZNS1_14partition_implILS5_5ELb0ES3_mN6hipcub16HIPCUB_304000_NS21CountingInputIteratorIllEEPS6_NSA_22TransformInputIteratorIb7NonZeroIaEPalEENS0_5tupleIJPlS6_EEENSJ_IJSD_SD_EEES6_SK_JS6_EEE10hipError_tPvRmT3_T4_T5_T6_T7_T9_mT8_P12ihipStream_tbDpT10_ENKUlT_T0_E_clISt17integral_constantIbLb1EES15_IbLb0EEEEDaS11_S12_EUlS11_E_NS1_11comp_targetILNS1_3genE9ELNS1_11target_archE1100ELNS1_3gpuE3ELNS1_3repE0EEENS1_30default_config_static_selectorELNS0_4arch9wavefront6targetE1EEEvT1_: ; @_ZN7rocprim17ROCPRIM_400000_NS6detail17trampoline_kernelINS0_14default_configENS1_25partition_config_selectorILNS1_17partition_subalgoE5ElNS0_10empty_typeEbEEZZNS1_14partition_implILS5_5ELb0ES3_mN6hipcub16HIPCUB_304000_NS21CountingInputIteratorIllEEPS6_NSA_22TransformInputIteratorIb7NonZeroIaEPalEENS0_5tupleIJPlS6_EEENSJ_IJSD_SD_EEES6_SK_JS6_EEE10hipError_tPvRmT3_T4_T5_T6_T7_T9_mT8_P12ihipStream_tbDpT10_ENKUlT_T0_E_clISt17integral_constantIbLb1EES15_IbLb0EEEEDaS11_S12_EUlS11_E_NS1_11comp_targetILNS1_3genE9ELNS1_11target_archE1100ELNS1_3gpuE3ELNS1_3repE0EEENS1_30default_config_static_selectorELNS0_4arch9wavefront6targetE1EEEvT1_
; %bb.0:
	.section	.rodata,"a",@progbits
	.p2align	6, 0x0
	.amdhsa_kernel _ZN7rocprim17ROCPRIM_400000_NS6detail17trampoline_kernelINS0_14default_configENS1_25partition_config_selectorILNS1_17partition_subalgoE5ElNS0_10empty_typeEbEEZZNS1_14partition_implILS5_5ELb0ES3_mN6hipcub16HIPCUB_304000_NS21CountingInputIteratorIllEEPS6_NSA_22TransformInputIteratorIb7NonZeroIaEPalEENS0_5tupleIJPlS6_EEENSJ_IJSD_SD_EEES6_SK_JS6_EEE10hipError_tPvRmT3_T4_T5_T6_T7_T9_mT8_P12ihipStream_tbDpT10_ENKUlT_T0_E_clISt17integral_constantIbLb1EES15_IbLb0EEEEDaS11_S12_EUlS11_E_NS1_11comp_targetILNS1_3genE9ELNS1_11target_archE1100ELNS1_3gpuE3ELNS1_3repE0EEENS1_30default_config_static_selectorELNS0_4arch9wavefront6targetE1EEEvT1_
		.amdhsa_group_segment_fixed_size 0
		.amdhsa_private_segment_fixed_size 0
		.amdhsa_kernarg_size 120
		.amdhsa_user_sgpr_count 6
		.amdhsa_user_sgpr_private_segment_buffer 1
		.amdhsa_user_sgpr_dispatch_ptr 0
		.amdhsa_user_sgpr_queue_ptr 0
		.amdhsa_user_sgpr_kernarg_segment_ptr 1
		.amdhsa_user_sgpr_dispatch_id 0
		.amdhsa_user_sgpr_flat_scratch_init 0
		.amdhsa_user_sgpr_private_segment_size 0
		.amdhsa_uses_dynamic_stack 0
		.amdhsa_system_sgpr_private_segment_wavefront_offset 0
		.amdhsa_system_sgpr_workgroup_id_x 1
		.amdhsa_system_sgpr_workgroup_id_y 0
		.amdhsa_system_sgpr_workgroup_id_z 0
		.amdhsa_system_sgpr_workgroup_info 0
		.amdhsa_system_vgpr_workitem_id 0
		.amdhsa_next_free_vgpr 1
		.amdhsa_next_free_sgpr 0
		.amdhsa_reserve_vcc 0
		.amdhsa_reserve_flat_scratch 0
		.amdhsa_float_round_mode_32 0
		.amdhsa_float_round_mode_16_64 0
		.amdhsa_float_denorm_mode_32 3
		.amdhsa_float_denorm_mode_16_64 3
		.amdhsa_dx10_clamp 1
		.amdhsa_ieee_mode 1
		.amdhsa_fp16_overflow 0
		.amdhsa_exception_fp_ieee_invalid_op 0
		.amdhsa_exception_fp_denorm_src 0
		.amdhsa_exception_fp_ieee_div_zero 0
		.amdhsa_exception_fp_ieee_overflow 0
		.amdhsa_exception_fp_ieee_underflow 0
		.amdhsa_exception_fp_ieee_inexact 0
		.amdhsa_exception_int_div_zero 0
	.end_amdhsa_kernel
	.section	.text._ZN7rocprim17ROCPRIM_400000_NS6detail17trampoline_kernelINS0_14default_configENS1_25partition_config_selectorILNS1_17partition_subalgoE5ElNS0_10empty_typeEbEEZZNS1_14partition_implILS5_5ELb0ES3_mN6hipcub16HIPCUB_304000_NS21CountingInputIteratorIllEEPS6_NSA_22TransformInputIteratorIb7NonZeroIaEPalEENS0_5tupleIJPlS6_EEENSJ_IJSD_SD_EEES6_SK_JS6_EEE10hipError_tPvRmT3_T4_T5_T6_T7_T9_mT8_P12ihipStream_tbDpT10_ENKUlT_T0_E_clISt17integral_constantIbLb1EES15_IbLb0EEEEDaS11_S12_EUlS11_E_NS1_11comp_targetILNS1_3genE9ELNS1_11target_archE1100ELNS1_3gpuE3ELNS1_3repE0EEENS1_30default_config_static_selectorELNS0_4arch9wavefront6targetE1EEEvT1_,"axG",@progbits,_ZN7rocprim17ROCPRIM_400000_NS6detail17trampoline_kernelINS0_14default_configENS1_25partition_config_selectorILNS1_17partition_subalgoE5ElNS0_10empty_typeEbEEZZNS1_14partition_implILS5_5ELb0ES3_mN6hipcub16HIPCUB_304000_NS21CountingInputIteratorIllEEPS6_NSA_22TransformInputIteratorIb7NonZeroIaEPalEENS0_5tupleIJPlS6_EEENSJ_IJSD_SD_EEES6_SK_JS6_EEE10hipError_tPvRmT3_T4_T5_T6_T7_T9_mT8_P12ihipStream_tbDpT10_ENKUlT_T0_E_clISt17integral_constantIbLb1EES15_IbLb0EEEEDaS11_S12_EUlS11_E_NS1_11comp_targetILNS1_3genE9ELNS1_11target_archE1100ELNS1_3gpuE3ELNS1_3repE0EEENS1_30default_config_static_selectorELNS0_4arch9wavefront6targetE1EEEvT1_,comdat
.Lfunc_end69:
	.size	_ZN7rocprim17ROCPRIM_400000_NS6detail17trampoline_kernelINS0_14default_configENS1_25partition_config_selectorILNS1_17partition_subalgoE5ElNS0_10empty_typeEbEEZZNS1_14partition_implILS5_5ELb0ES3_mN6hipcub16HIPCUB_304000_NS21CountingInputIteratorIllEEPS6_NSA_22TransformInputIteratorIb7NonZeroIaEPalEENS0_5tupleIJPlS6_EEENSJ_IJSD_SD_EEES6_SK_JS6_EEE10hipError_tPvRmT3_T4_T5_T6_T7_T9_mT8_P12ihipStream_tbDpT10_ENKUlT_T0_E_clISt17integral_constantIbLb1EES15_IbLb0EEEEDaS11_S12_EUlS11_E_NS1_11comp_targetILNS1_3genE9ELNS1_11target_archE1100ELNS1_3gpuE3ELNS1_3repE0EEENS1_30default_config_static_selectorELNS0_4arch9wavefront6targetE1EEEvT1_, .Lfunc_end69-_ZN7rocprim17ROCPRIM_400000_NS6detail17trampoline_kernelINS0_14default_configENS1_25partition_config_selectorILNS1_17partition_subalgoE5ElNS0_10empty_typeEbEEZZNS1_14partition_implILS5_5ELb0ES3_mN6hipcub16HIPCUB_304000_NS21CountingInputIteratorIllEEPS6_NSA_22TransformInputIteratorIb7NonZeroIaEPalEENS0_5tupleIJPlS6_EEENSJ_IJSD_SD_EEES6_SK_JS6_EEE10hipError_tPvRmT3_T4_T5_T6_T7_T9_mT8_P12ihipStream_tbDpT10_ENKUlT_T0_E_clISt17integral_constantIbLb1EES15_IbLb0EEEEDaS11_S12_EUlS11_E_NS1_11comp_targetILNS1_3genE9ELNS1_11target_archE1100ELNS1_3gpuE3ELNS1_3repE0EEENS1_30default_config_static_selectorELNS0_4arch9wavefront6targetE1EEEvT1_
                                        ; -- End function
	.set _ZN7rocprim17ROCPRIM_400000_NS6detail17trampoline_kernelINS0_14default_configENS1_25partition_config_selectorILNS1_17partition_subalgoE5ElNS0_10empty_typeEbEEZZNS1_14partition_implILS5_5ELb0ES3_mN6hipcub16HIPCUB_304000_NS21CountingInputIteratorIllEEPS6_NSA_22TransformInputIteratorIb7NonZeroIaEPalEENS0_5tupleIJPlS6_EEENSJ_IJSD_SD_EEES6_SK_JS6_EEE10hipError_tPvRmT3_T4_T5_T6_T7_T9_mT8_P12ihipStream_tbDpT10_ENKUlT_T0_E_clISt17integral_constantIbLb1EES15_IbLb0EEEEDaS11_S12_EUlS11_E_NS1_11comp_targetILNS1_3genE9ELNS1_11target_archE1100ELNS1_3gpuE3ELNS1_3repE0EEENS1_30default_config_static_selectorELNS0_4arch9wavefront6targetE1EEEvT1_.num_vgpr, 0
	.set _ZN7rocprim17ROCPRIM_400000_NS6detail17trampoline_kernelINS0_14default_configENS1_25partition_config_selectorILNS1_17partition_subalgoE5ElNS0_10empty_typeEbEEZZNS1_14partition_implILS5_5ELb0ES3_mN6hipcub16HIPCUB_304000_NS21CountingInputIteratorIllEEPS6_NSA_22TransformInputIteratorIb7NonZeroIaEPalEENS0_5tupleIJPlS6_EEENSJ_IJSD_SD_EEES6_SK_JS6_EEE10hipError_tPvRmT3_T4_T5_T6_T7_T9_mT8_P12ihipStream_tbDpT10_ENKUlT_T0_E_clISt17integral_constantIbLb1EES15_IbLb0EEEEDaS11_S12_EUlS11_E_NS1_11comp_targetILNS1_3genE9ELNS1_11target_archE1100ELNS1_3gpuE3ELNS1_3repE0EEENS1_30default_config_static_selectorELNS0_4arch9wavefront6targetE1EEEvT1_.num_agpr, 0
	.set _ZN7rocprim17ROCPRIM_400000_NS6detail17trampoline_kernelINS0_14default_configENS1_25partition_config_selectorILNS1_17partition_subalgoE5ElNS0_10empty_typeEbEEZZNS1_14partition_implILS5_5ELb0ES3_mN6hipcub16HIPCUB_304000_NS21CountingInputIteratorIllEEPS6_NSA_22TransformInputIteratorIb7NonZeroIaEPalEENS0_5tupleIJPlS6_EEENSJ_IJSD_SD_EEES6_SK_JS6_EEE10hipError_tPvRmT3_T4_T5_T6_T7_T9_mT8_P12ihipStream_tbDpT10_ENKUlT_T0_E_clISt17integral_constantIbLb1EES15_IbLb0EEEEDaS11_S12_EUlS11_E_NS1_11comp_targetILNS1_3genE9ELNS1_11target_archE1100ELNS1_3gpuE3ELNS1_3repE0EEENS1_30default_config_static_selectorELNS0_4arch9wavefront6targetE1EEEvT1_.numbered_sgpr, 0
	.set _ZN7rocprim17ROCPRIM_400000_NS6detail17trampoline_kernelINS0_14default_configENS1_25partition_config_selectorILNS1_17partition_subalgoE5ElNS0_10empty_typeEbEEZZNS1_14partition_implILS5_5ELb0ES3_mN6hipcub16HIPCUB_304000_NS21CountingInputIteratorIllEEPS6_NSA_22TransformInputIteratorIb7NonZeroIaEPalEENS0_5tupleIJPlS6_EEENSJ_IJSD_SD_EEES6_SK_JS6_EEE10hipError_tPvRmT3_T4_T5_T6_T7_T9_mT8_P12ihipStream_tbDpT10_ENKUlT_T0_E_clISt17integral_constantIbLb1EES15_IbLb0EEEEDaS11_S12_EUlS11_E_NS1_11comp_targetILNS1_3genE9ELNS1_11target_archE1100ELNS1_3gpuE3ELNS1_3repE0EEENS1_30default_config_static_selectorELNS0_4arch9wavefront6targetE1EEEvT1_.num_named_barrier, 0
	.set _ZN7rocprim17ROCPRIM_400000_NS6detail17trampoline_kernelINS0_14default_configENS1_25partition_config_selectorILNS1_17partition_subalgoE5ElNS0_10empty_typeEbEEZZNS1_14partition_implILS5_5ELb0ES3_mN6hipcub16HIPCUB_304000_NS21CountingInputIteratorIllEEPS6_NSA_22TransformInputIteratorIb7NonZeroIaEPalEENS0_5tupleIJPlS6_EEENSJ_IJSD_SD_EEES6_SK_JS6_EEE10hipError_tPvRmT3_T4_T5_T6_T7_T9_mT8_P12ihipStream_tbDpT10_ENKUlT_T0_E_clISt17integral_constantIbLb1EES15_IbLb0EEEEDaS11_S12_EUlS11_E_NS1_11comp_targetILNS1_3genE9ELNS1_11target_archE1100ELNS1_3gpuE3ELNS1_3repE0EEENS1_30default_config_static_selectorELNS0_4arch9wavefront6targetE1EEEvT1_.private_seg_size, 0
	.set _ZN7rocprim17ROCPRIM_400000_NS6detail17trampoline_kernelINS0_14default_configENS1_25partition_config_selectorILNS1_17partition_subalgoE5ElNS0_10empty_typeEbEEZZNS1_14partition_implILS5_5ELb0ES3_mN6hipcub16HIPCUB_304000_NS21CountingInputIteratorIllEEPS6_NSA_22TransformInputIteratorIb7NonZeroIaEPalEENS0_5tupleIJPlS6_EEENSJ_IJSD_SD_EEES6_SK_JS6_EEE10hipError_tPvRmT3_T4_T5_T6_T7_T9_mT8_P12ihipStream_tbDpT10_ENKUlT_T0_E_clISt17integral_constantIbLb1EES15_IbLb0EEEEDaS11_S12_EUlS11_E_NS1_11comp_targetILNS1_3genE9ELNS1_11target_archE1100ELNS1_3gpuE3ELNS1_3repE0EEENS1_30default_config_static_selectorELNS0_4arch9wavefront6targetE1EEEvT1_.uses_vcc, 0
	.set _ZN7rocprim17ROCPRIM_400000_NS6detail17trampoline_kernelINS0_14default_configENS1_25partition_config_selectorILNS1_17partition_subalgoE5ElNS0_10empty_typeEbEEZZNS1_14partition_implILS5_5ELb0ES3_mN6hipcub16HIPCUB_304000_NS21CountingInputIteratorIllEEPS6_NSA_22TransformInputIteratorIb7NonZeroIaEPalEENS0_5tupleIJPlS6_EEENSJ_IJSD_SD_EEES6_SK_JS6_EEE10hipError_tPvRmT3_T4_T5_T6_T7_T9_mT8_P12ihipStream_tbDpT10_ENKUlT_T0_E_clISt17integral_constantIbLb1EES15_IbLb0EEEEDaS11_S12_EUlS11_E_NS1_11comp_targetILNS1_3genE9ELNS1_11target_archE1100ELNS1_3gpuE3ELNS1_3repE0EEENS1_30default_config_static_selectorELNS0_4arch9wavefront6targetE1EEEvT1_.uses_flat_scratch, 0
	.set _ZN7rocprim17ROCPRIM_400000_NS6detail17trampoline_kernelINS0_14default_configENS1_25partition_config_selectorILNS1_17partition_subalgoE5ElNS0_10empty_typeEbEEZZNS1_14partition_implILS5_5ELb0ES3_mN6hipcub16HIPCUB_304000_NS21CountingInputIteratorIllEEPS6_NSA_22TransformInputIteratorIb7NonZeroIaEPalEENS0_5tupleIJPlS6_EEENSJ_IJSD_SD_EEES6_SK_JS6_EEE10hipError_tPvRmT3_T4_T5_T6_T7_T9_mT8_P12ihipStream_tbDpT10_ENKUlT_T0_E_clISt17integral_constantIbLb1EES15_IbLb0EEEEDaS11_S12_EUlS11_E_NS1_11comp_targetILNS1_3genE9ELNS1_11target_archE1100ELNS1_3gpuE3ELNS1_3repE0EEENS1_30default_config_static_selectorELNS0_4arch9wavefront6targetE1EEEvT1_.has_dyn_sized_stack, 0
	.set _ZN7rocprim17ROCPRIM_400000_NS6detail17trampoline_kernelINS0_14default_configENS1_25partition_config_selectorILNS1_17partition_subalgoE5ElNS0_10empty_typeEbEEZZNS1_14partition_implILS5_5ELb0ES3_mN6hipcub16HIPCUB_304000_NS21CountingInputIteratorIllEEPS6_NSA_22TransformInputIteratorIb7NonZeroIaEPalEENS0_5tupleIJPlS6_EEENSJ_IJSD_SD_EEES6_SK_JS6_EEE10hipError_tPvRmT3_T4_T5_T6_T7_T9_mT8_P12ihipStream_tbDpT10_ENKUlT_T0_E_clISt17integral_constantIbLb1EES15_IbLb0EEEEDaS11_S12_EUlS11_E_NS1_11comp_targetILNS1_3genE9ELNS1_11target_archE1100ELNS1_3gpuE3ELNS1_3repE0EEENS1_30default_config_static_selectorELNS0_4arch9wavefront6targetE1EEEvT1_.has_recursion, 0
	.set _ZN7rocprim17ROCPRIM_400000_NS6detail17trampoline_kernelINS0_14default_configENS1_25partition_config_selectorILNS1_17partition_subalgoE5ElNS0_10empty_typeEbEEZZNS1_14partition_implILS5_5ELb0ES3_mN6hipcub16HIPCUB_304000_NS21CountingInputIteratorIllEEPS6_NSA_22TransformInputIteratorIb7NonZeroIaEPalEENS0_5tupleIJPlS6_EEENSJ_IJSD_SD_EEES6_SK_JS6_EEE10hipError_tPvRmT3_T4_T5_T6_T7_T9_mT8_P12ihipStream_tbDpT10_ENKUlT_T0_E_clISt17integral_constantIbLb1EES15_IbLb0EEEEDaS11_S12_EUlS11_E_NS1_11comp_targetILNS1_3genE9ELNS1_11target_archE1100ELNS1_3gpuE3ELNS1_3repE0EEENS1_30default_config_static_selectorELNS0_4arch9wavefront6targetE1EEEvT1_.has_indirect_call, 0
	.section	.AMDGPU.csdata,"",@progbits
; Kernel info:
; codeLenInByte = 0
; TotalNumSgprs: 4
; NumVgprs: 0
; ScratchSize: 0
; MemoryBound: 0
; FloatMode: 240
; IeeeMode: 1
; LDSByteSize: 0 bytes/workgroup (compile time only)
; SGPRBlocks: 0
; VGPRBlocks: 0
; NumSGPRsForWavesPerEU: 4
; NumVGPRsForWavesPerEU: 1
; Occupancy: 10
; WaveLimiterHint : 0
; COMPUTE_PGM_RSRC2:SCRATCH_EN: 0
; COMPUTE_PGM_RSRC2:USER_SGPR: 6
; COMPUTE_PGM_RSRC2:TRAP_HANDLER: 0
; COMPUTE_PGM_RSRC2:TGID_X_EN: 1
; COMPUTE_PGM_RSRC2:TGID_Y_EN: 0
; COMPUTE_PGM_RSRC2:TGID_Z_EN: 0
; COMPUTE_PGM_RSRC2:TIDIG_COMP_CNT: 0
	.section	.text._ZN7rocprim17ROCPRIM_400000_NS6detail17trampoline_kernelINS0_14default_configENS1_25partition_config_selectorILNS1_17partition_subalgoE5ElNS0_10empty_typeEbEEZZNS1_14partition_implILS5_5ELb0ES3_mN6hipcub16HIPCUB_304000_NS21CountingInputIteratorIllEEPS6_NSA_22TransformInputIteratorIb7NonZeroIaEPalEENS0_5tupleIJPlS6_EEENSJ_IJSD_SD_EEES6_SK_JS6_EEE10hipError_tPvRmT3_T4_T5_T6_T7_T9_mT8_P12ihipStream_tbDpT10_ENKUlT_T0_E_clISt17integral_constantIbLb1EES15_IbLb0EEEEDaS11_S12_EUlS11_E_NS1_11comp_targetILNS1_3genE8ELNS1_11target_archE1030ELNS1_3gpuE2ELNS1_3repE0EEENS1_30default_config_static_selectorELNS0_4arch9wavefront6targetE1EEEvT1_,"axG",@progbits,_ZN7rocprim17ROCPRIM_400000_NS6detail17trampoline_kernelINS0_14default_configENS1_25partition_config_selectorILNS1_17partition_subalgoE5ElNS0_10empty_typeEbEEZZNS1_14partition_implILS5_5ELb0ES3_mN6hipcub16HIPCUB_304000_NS21CountingInputIteratorIllEEPS6_NSA_22TransformInputIteratorIb7NonZeroIaEPalEENS0_5tupleIJPlS6_EEENSJ_IJSD_SD_EEES6_SK_JS6_EEE10hipError_tPvRmT3_T4_T5_T6_T7_T9_mT8_P12ihipStream_tbDpT10_ENKUlT_T0_E_clISt17integral_constantIbLb1EES15_IbLb0EEEEDaS11_S12_EUlS11_E_NS1_11comp_targetILNS1_3genE8ELNS1_11target_archE1030ELNS1_3gpuE2ELNS1_3repE0EEENS1_30default_config_static_selectorELNS0_4arch9wavefront6targetE1EEEvT1_,comdat
	.protected	_ZN7rocprim17ROCPRIM_400000_NS6detail17trampoline_kernelINS0_14default_configENS1_25partition_config_selectorILNS1_17partition_subalgoE5ElNS0_10empty_typeEbEEZZNS1_14partition_implILS5_5ELb0ES3_mN6hipcub16HIPCUB_304000_NS21CountingInputIteratorIllEEPS6_NSA_22TransformInputIteratorIb7NonZeroIaEPalEENS0_5tupleIJPlS6_EEENSJ_IJSD_SD_EEES6_SK_JS6_EEE10hipError_tPvRmT3_T4_T5_T6_T7_T9_mT8_P12ihipStream_tbDpT10_ENKUlT_T0_E_clISt17integral_constantIbLb1EES15_IbLb0EEEEDaS11_S12_EUlS11_E_NS1_11comp_targetILNS1_3genE8ELNS1_11target_archE1030ELNS1_3gpuE2ELNS1_3repE0EEENS1_30default_config_static_selectorELNS0_4arch9wavefront6targetE1EEEvT1_ ; -- Begin function _ZN7rocprim17ROCPRIM_400000_NS6detail17trampoline_kernelINS0_14default_configENS1_25partition_config_selectorILNS1_17partition_subalgoE5ElNS0_10empty_typeEbEEZZNS1_14partition_implILS5_5ELb0ES3_mN6hipcub16HIPCUB_304000_NS21CountingInputIteratorIllEEPS6_NSA_22TransformInputIteratorIb7NonZeroIaEPalEENS0_5tupleIJPlS6_EEENSJ_IJSD_SD_EEES6_SK_JS6_EEE10hipError_tPvRmT3_T4_T5_T6_T7_T9_mT8_P12ihipStream_tbDpT10_ENKUlT_T0_E_clISt17integral_constantIbLb1EES15_IbLb0EEEEDaS11_S12_EUlS11_E_NS1_11comp_targetILNS1_3genE8ELNS1_11target_archE1030ELNS1_3gpuE2ELNS1_3repE0EEENS1_30default_config_static_selectorELNS0_4arch9wavefront6targetE1EEEvT1_
	.globl	_ZN7rocprim17ROCPRIM_400000_NS6detail17trampoline_kernelINS0_14default_configENS1_25partition_config_selectorILNS1_17partition_subalgoE5ElNS0_10empty_typeEbEEZZNS1_14partition_implILS5_5ELb0ES3_mN6hipcub16HIPCUB_304000_NS21CountingInputIteratorIllEEPS6_NSA_22TransformInputIteratorIb7NonZeroIaEPalEENS0_5tupleIJPlS6_EEENSJ_IJSD_SD_EEES6_SK_JS6_EEE10hipError_tPvRmT3_T4_T5_T6_T7_T9_mT8_P12ihipStream_tbDpT10_ENKUlT_T0_E_clISt17integral_constantIbLb1EES15_IbLb0EEEEDaS11_S12_EUlS11_E_NS1_11comp_targetILNS1_3genE8ELNS1_11target_archE1030ELNS1_3gpuE2ELNS1_3repE0EEENS1_30default_config_static_selectorELNS0_4arch9wavefront6targetE1EEEvT1_
	.p2align	8
	.type	_ZN7rocprim17ROCPRIM_400000_NS6detail17trampoline_kernelINS0_14default_configENS1_25partition_config_selectorILNS1_17partition_subalgoE5ElNS0_10empty_typeEbEEZZNS1_14partition_implILS5_5ELb0ES3_mN6hipcub16HIPCUB_304000_NS21CountingInputIteratorIllEEPS6_NSA_22TransformInputIteratorIb7NonZeroIaEPalEENS0_5tupleIJPlS6_EEENSJ_IJSD_SD_EEES6_SK_JS6_EEE10hipError_tPvRmT3_T4_T5_T6_T7_T9_mT8_P12ihipStream_tbDpT10_ENKUlT_T0_E_clISt17integral_constantIbLb1EES15_IbLb0EEEEDaS11_S12_EUlS11_E_NS1_11comp_targetILNS1_3genE8ELNS1_11target_archE1030ELNS1_3gpuE2ELNS1_3repE0EEENS1_30default_config_static_selectorELNS0_4arch9wavefront6targetE1EEEvT1_,@function
_ZN7rocprim17ROCPRIM_400000_NS6detail17trampoline_kernelINS0_14default_configENS1_25partition_config_selectorILNS1_17partition_subalgoE5ElNS0_10empty_typeEbEEZZNS1_14partition_implILS5_5ELb0ES3_mN6hipcub16HIPCUB_304000_NS21CountingInputIteratorIllEEPS6_NSA_22TransformInputIteratorIb7NonZeroIaEPalEENS0_5tupleIJPlS6_EEENSJ_IJSD_SD_EEES6_SK_JS6_EEE10hipError_tPvRmT3_T4_T5_T6_T7_T9_mT8_P12ihipStream_tbDpT10_ENKUlT_T0_E_clISt17integral_constantIbLb1EES15_IbLb0EEEEDaS11_S12_EUlS11_E_NS1_11comp_targetILNS1_3genE8ELNS1_11target_archE1030ELNS1_3gpuE2ELNS1_3repE0EEENS1_30default_config_static_selectorELNS0_4arch9wavefront6targetE1EEEvT1_: ; @_ZN7rocprim17ROCPRIM_400000_NS6detail17trampoline_kernelINS0_14default_configENS1_25partition_config_selectorILNS1_17partition_subalgoE5ElNS0_10empty_typeEbEEZZNS1_14partition_implILS5_5ELb0ES3_mN6hipcub16HIPCUB_304000_NS21CountingInputIteratorIllEEPS6_NSA_22TransformInputIteratorIb7NonZeroIaEPalEENS0_5tupleIJPlS6_EEENSJ_IJSD_SD_EEES6_SK_JS6_EEE10hipError_tPvRmT3_T4_T5_T6_T7_T9_mT8_P12ihipStream_tbDpT10_ENKUlT_T0_E_clISt17integral_constantIbLb1EES15_IbLb0EEEEDaS11_S12_EUlS11_E_NS1_11comp_targetILNS1_3genE8ELNS1_11target_archE1030ELNS1_3gpuE2ELNS1_3repE0EEENS1_30default_config_static_selectorELNS0_4arch9wavefront6targetE1EEEvT1_
; %bb.0:
	.section	.rodata,"a",@progbits
	.p2align	6, 0x0
	.amdhsa_kernel _ZN7rocprim17ROCPRIM_400000_NS6detail17trampoline_kernelINS0_14default_configENS1_25partition_config_selectorILNS1_17partition_subalgoE5ElNS0_10empty_typeEbEEZZNS1_14partition_implILS5_5ELb0ES3_mN6hipcub16HIPCUB_304000_NS21CountingInputIteratorIllEEPS6_NSA_22TransformInputIteratorIb7NonZeroIaEPalEENS0_5tupleIJPlS6_EEENSJ_IJSD_SD_EEES6_SK_JS6_EEE10hipError_tPvRmT3_T4_T5_T6_T7_T9_mT8_P12ihipStream_tbDpT10_ENKUlT_T0_E_clISt17integral_constantIbLb1EES15_IbLb0EEEEDaS11_S12_EUlS11_E_NS1_11comp_targetILNS1_3genE8ELNS1_11target_archE1030ELNS1_3gpuE2ELNS1_3repE0EEENS1_30default_config_static_selectorELNS0_4arch9wavefront6targetE1EEEvT1_
		.amdhsa_group_segment_fixed_size 0
		.amdhsa_private_segment_fixed_size 0
		.amdhsa_kernarg_size 120
		.amdhsa_user_sgpr_count 6
		.amdhsa_user_sgpr_private_segment_buffer 1
		.amdhsa_user_sgpr_dispatch_ptr 0
		.amdhsa_user_sgpr_queue_ptr 0
		.amdhsa_user_sgpr_kernarg_segment_ptr 1
		.amdhsa_user_sgpr_dispatch_id 0
		.amdhsa_user_sgpr_flat_scratch_init 0
		.amdhsa_user_sgpr_private_segment_size 0
		.amdhsa_uses_dynamic_stack 0
		.amdhsa_system_sgpr_private_segment_wavefront_offset 0
		.amdhsa_system_sgpr_workgroup_id_x 1
		.amdhsa_system_sgpr_workgroup_id_y 0
		.amdhsa_system_sgpr_workgroup_id_z 0
		.amdhsa_system_sgpr_workgroup_info 0
		.amdhsa_system_vgpr_workitem_id 0
		.amdhsa_next_free_vgpr 1
		.amdhsa_next_free_sgpr 0
		.amdhsa_reserve_vcc 0
		.amdhsa_reserve_flat_scratch 0
		.amdhsa_float_round_mode_32 0
		.amdhsa_float_round_mode_16_64 0
		.amdhsa_float_denorm_mode_32 3
		.amdhsa_float_denorm_mode_16_64 3
		.amdhsa_dx10_clamp 1
		.amdhsa_ieee_mode 1
		.amdhsa_fp16_overflow 0
		.amdhsa_exception_fp_ieee_invalid_op 0
		.amdhsa_exception_fp_denorm_src 0
		.amdhsa_exception_fp_ieee_div_zero 0
		.amdhsa_exception_fp_ieee_overflow 0
		.amdhsa_exception_fp_ieee_underflow 0
		.amdhsa_exception_fp_ieee_inexact 0
		.amdhsa_exception_int_div_zero 0
	.end_amdhsa_kernel
	.section	.text._ZN7rocprim17ROCPRIM_400000_NS6detail17trampoline_kernelINS0_14default_configENS1_25partition_config_selectorILNS1_17partition_subalgoE5ElNS0_10empty_typeEbEEZZNS1_14partition_implILS5_5ELb0ES3_mN6hipcub16HIPCUB_304000_NS21CountingInputIteratorIllEEPS6_NSA_22TransformInputIteratorIb7NonZeroIaEPalEENS0_5tupleIJPlS6_EEENSJ_IJSD_SD_EEES6_SK_JS6_EEE10hipError_tPvRmT3_T4_T5_T6_T7_T9_mT8_P12ihipStream_tbDpT10_ENKUlT_T0_E_clISt17integral_constantIbLb1EES15_IbLb0EEEEDaS11_S12_EUlS11_E_NS1_11comp_targetILNS1_3genE8ELNS1_11target_archE1030ELNS1_3gpuE2ELNS1_3repE0EEENS1_30default_config_static_selectorELNS0_4arch9wavefront6targetE1EEEvT1_,"axG",@progbits,_ZN7rocprim17ROCPRIM_400000_NS6detail17trampoline_kernelINS0_14default_configENS1_25partition_config_selectorILNS1_17partition_subalgoE5ElNS0_10empty_typeEbEEZZNS1_14partition_implILS5_5ELb0ES3_mN6hipcub16HIPCUB_304000_NS21CountingInputIteratorIllEEPS6_NSA_22TransformInputIteratorIb7NonZeroIaEPalEENS0_5tupleIJPlS6_EEENSJ_IJSD_SD_EEES6_SK_JS6_EEE10hipError_tPvRmT3_T4_T5_T6_T7_T9_mT8_P12ihipStream_tbDpT10_ENKUlT_T0_E_clISt17integral_constantIbLb1EES15_IbLb0EEEEDaS11_S12_EUlS11_E_NS1_11comp_targetILNS1_3genE8ELNS1_11target_archE1030ELNS1_3gpuE2ELNS1_3repE0EEENS1_30default_config_static_selectorELNS0_4arch9wavefront6targetE1EEEvT1_,comdat
.Lfunc_end70:
	.size	_ZN7rocprim17ROCPRIM_400000_NS6detail17trampoline_kernelINS0_14default_configENS1_25partition_config_selectorILNS1_17partition_subalgoE5ElNS0_10empty_typeEbEEZZNS1_14partition_implILS5_5ELb0ES3_mN6hipcub16HIPCUB_304000_NS21CountingInputIteratorIllEEPS6_NSA_22TransformInputIteratorIb7NonZeroIaEPalEENS0_5tupleIJPlS6_EEENSJ_IJSD_SD_EEES6_SK_JS6_EEE10hipError_tPvRmT3_T4_T5_T6_T7_T9_mT8_P12ihipStream_tbDpT10_ENKUlT_T0_E_clISt17integral_constantIbLb1EES15_IbLb0EEEEDaS11_S12_EUlS11_E_NS1_11comp_targetILNS1_3genE8ELNS1_11target_archE1030ELNS1_3gpuE2ELNS1_3repE0EEENS1_30default_config_static_selectorELNS0_4arch9wavefront6targetE1EEEvT1_, .Lfunc_end70-_ZN7rocprim17ROCPRIM_400000_NS6detail17trampoline_kernelINS0_14default_configENS1_25partition_config_selectorILNS1_17partition_subalgoE5ElNS0_10empty_typeEbEEZZNS1_14partition_implILS5_5ELb0ES3_mN6hipcub16HIPCUB_304000_NS21CountingInputIteratorIllEEPS6_NSA_22TransformInputIteratorIb7NonZeroIaEPalEENS0_5tupleIJPlS6_EEENSJ_IJSD_SD_EEES6_SK_JS6_EEE10hipError_tPvRmT3_T4_T5_T6_T7_T9_mT8_P12ihipStream_tbDpT10_ENKUlT_T0_E_clISt17integral_constantIbLb1EES15_IbLb0EEEEDaS11_S12_EUlS11_E_NS1_11comp_targetILNS1_3genE8ELNS1_11target_archE1030ELNS1_3gpuE2ELNS1_3repE0EEENS1_30default_config_static_selectorELNS0_4arch9wavefront6targetE1EEEvT1_
                                        ; -- End function
	.set _ZN7rocprim17ROCPRIM_400000_NS6detail17trampoline_kernelINS0_14default_configENS1_25partition_config_selectorILNS1_17partition_subalgoE5ElNS0_10empty_typeEbEEZZNS1_14partition_implILS5_5ELb0ES3_mN6hipcub16HIPCUB_304000_NS21CountingInputIteratorIllEEPS6_NSA_22TransformInputIteratorIb7NonZeroIaEPalEENS0_5tupleIJPlS6_EEENSJ_IJSD_SD_EEES6_SK_JS6_EEE10hipError_tPvRmT3_T4_T5_T6_T7_T9_mT8_P12ihipStream_tbDpT10_ENKUlT_T0_E_clISt17integral_constantIbLb1EES15_IbLb0EEEEDaS11_S12_EUlS11_E_NS1_11comp_targetILNS1_3genE8ELNS1_11target_archE1030ELNS1_3gpuE2ELNS1_3repE0EEENS1_30default_config_static_selectorELNS0_4arch9wavefront6targetE1EEEvT1_.num_vgpr, 0
	.set _ZN7rocprim17ROCPRIM_400000_NS6detail17trampoline_kernelINS0_14default_configENS1_25partition_config_selectorILNS1_17partition_subalgoE5ElNS0_10empty_typeEbEEZZNS1_14partition_implILS5_5ELb0ES3_mN6hipcub16HIPCUB_304000_NS21CountingInputIteratorIllEEPS6_NSA_22TransformInputIteratorIb7NonZeroIaEPalEENS0_5tupleIJPlS6_EEENSJ_IJSD_SD_EEES6_SK_JS6_EEE10hipError_tPvRmT3_T4_T5_T6_T7_T9_mT8_P12ihipStream_tbDpT10_ENKUlT_T0_E_clISt17integral_constantIbLb1EES15_IbLb0EEEEDaS11_S12_EUlS11_E_NS1_11comp_targetILNS1_3genE8ELNS1_11target_archE1030ELNS1_3gpuE2ELNS1_3repE0EEENS1_30default_config_static_selectorELNS0_4arch9wavefront6targetE1EEEvT1_.num_agpr, 0
	.set _ZN7rocprim17ROCPRIM_400000_NS6detail17trampoline_kernelINS0_14default_configENS1_25partition_config_selectorILNS1_17partition_subalgoE5ElNS0_10empty_typeEbEEZZNS1_14partition_implILS5_5ELb0ES3_mN6hipcub16HIPCUB_304000_NS21CountingInputIteratorIllEEPS6_NSA_22TransformInputIteratorIb7NonZeroIaEPalEENS0_5tupleIJPlS6_EEENSJ_IJSD_SD_EEES6_SK_JS6_EEE10hipError_tPvRmT3_T4_T5_T6_T7_T9_mT8_P12ihipStream_tbDpT10_ENKUlT_T0_E_clISt17integral_constantIbLb1EES15_IbLb0EEEEDaS11_S12_EUlS11_E_NS1_11comp_targetILNS1_3genE8ELNS1_11target_archE1030ELNS1_3gpuE2ELNS1_3repE0EEENS1_30default_config_static_selectorELNS0_4arch9wavefront6targetE1EEEvT1_.numbered_sgpr, 0
	.set _ZN7rocprim17ROCPRIM_400000_NS6detail17trampoline_kernelINS0_14default_configENS1_25partition_config_selectorILNS1_17partition_subalgoE5ElNS0_10empty_typeEbEEZZNS1_14partition_implILS5_5ELb0ES3_mN6hipcub16HIPCUB_304000_NS21CountingInputIteratorIllEEPS6_NSA_22TransformInputIteratorIb7NonZeroIaEPalEENS0_5tupleIJPlS6_EEENSJ_IJSD_SD_EEES6_SK_JS6_EEE10hipError_tPvRmT3_T4_T5_T6_T7_T9_mT8_P12ihipStream_tbDpT10_ENKUlT_T0_E_clISt17integral_constantIbLb1EES15_IbLb0EEEEDaS11_S12_EUlS11_E_NS1_11comp_targetILNS1_3genE8ELNS1_11target_archE1030ELNS1_3gpuE2ELNS1_3repE0EEENS1_30default_config_static_selectorELNS0_4arch9wavefront6targetE1EEEvT1_.num_named_barrier, 0
	.set _ZN7rocprim17ROCPRIM_400000_NS6detail17trampoline_kernelINS0_14default_configENS1_25partition_config_selectorILNS1_17partition_subalgoE5ElNS0_10empty_typeEbEEZZNS1_14partition_implILS5_5ELb0ES3_mN6hipcub16HIPCUB_304000_NS21CountingInputIteratorIllEEPS6_NSA_22TransformInputIteratorIb7NonZeroIaEPalEENS0_5tupleIJPlS6_EEENSJ_IJSD_SD_EEES6_SK_JS6_EEE10hipError_tPvRmT3_T4_T5_T6_T7_T9_mT8_P12ihipStream_tbDpT10_ENKUlT_T0_E_clISt17integral_constantIbLb1EES15_IbLb0EEEEDaS11_S12_EUlS11_E_NS1_11comp_targetILNS1_3genE8ELNS1_11target_archE1030ELNS1_3gpuE2ELNS1_3repE0EEENS1_30default_config_static_selectorELNS0_4arch9wavefront6targetE1EEEvT1_.private_seg_size, 0
	.set _ZN7rocprim17ROCPRIM_400000_NS6detail17trampoline_kernelINS0_14default_configENS1_25partition_config_selectorILNS1_17partition_subalgoE5ElNS0_10empty_typeEbEEZZNS1_14partition_implILS5_5ELb0ES3_mN6hipcub16HIPCUB_304000_NS21CountingInputIteratorIllEEPS6_NSA_22TransformInputIteratorIb7NonZeroIaEPalEENS0_5tupleIJPlS6_EEENSJ_IJSD_SD_EEES6_SK_JS6_EEE10hipError_tPvRmT3_T4_T5_T6_T7_T9_mT8_P12ihipStream_tbDpT10_ENKUlT_T0_E_clISt17integral_constantIbLb1EES15_IbLb0EEEEDaS11_S12_EUlS11_E_NS1_11comp_targetILNS1_3genE8ELNS1_11target_archE1030ELNS1_3gpuE2ELNS1_3repE0EEENS1_30default_config_static_selectorELNS0_4arch9wavefront6targetE1EEEvT1_.uses_vcc, 0
	.set _ZN7rocprim17ROCPRIM_400000_NS6detail17trampoline_kernelINS0_14default_configENS1_25partition_config_selectorILNS1_17partition_subalgoE5ElNS0_10empty_typeEbEEZZNS1_14partition_implILS5_5ELb0ES3_mN6hipcub16HIPCUB_304000_NS21CountingInputIteratorIllEEPS6_NSA_22TransformInputIteratorIb7NonZeroIaEPalEENS0_5tupleIJPlS6_EEENSJ_IJSD_SD_EEES6_SK_JS6_EEE10hipError_tPvRmT3_T4_T5_T6_T7_T9_mT8_P12ihipStream_tbDpT10_ENKUlT_T0_E_clISt17integral_constantIbLb1EES15_IbLb0EEEEDaS11_S12_EUlS11_E_NS1_11comp_targetILNS1_3genE8ELNS1_11target_archE1030ELNS1_3gpuE2ELNS1_3repE0EEENS1_30default_config_static_selectorELNS0_4arch9wavefront6targetE1EEEvT1_.uses_flat_scratch, 0
	.set _ZN7rocprim17ROCPRIM_400000_NS6detail17trampoline_kernelINS0_14default_configENS1_25partition_config_selectorILNS1_17partition_subalgoE5ElNS0_10empty_typeEbEEZZNS1_14partition_implILS5_5ELb0ES3_mN6hipcub16HIPCUB_304000_NS21CountingInputIteratorIllEEPS6_NSA_22TransformInputIteratorIb7NonZeroIaEPalEENS0_5tupleIJPlS6_EEENSJ_IJSD_SD_EEES6_SK_JS6_EEE10hipError_tPvRmT3_T4_T5_T6_T7_T9_mT8_P12ihipStream_tbDpT10_ENKUlT_T0_E_clISt17integral_constantIbLb1EES15_IbLb0EEEEDaS11_S12_EUlS11_E_NS1_11comp_targetILNS1_3genE8ELNS1_11target_archE1030ELNS1_3gpuE2ELNS1_3repE0EEENS1_30default_config_static_selectorELNS0_4arch9wavefront6targetE1EEEvT1_.has_dyn_sized_stack, 0
	.set _ZN7rocprim17ROCPRIM_400000_NS6detail17trampoline_kernelINS0_14default_configENS1_25partition_config_selectorILNS1_17partition_subalgoE5ElNS0_10empty_typeEbEEZZNS1_14partition_implILS5_5ELb0ES3_mN6hipcub16HIPCUB_304000_NS21CountingInputIteratorIllEEPS6_NSA_22TransformInputIteratorIb7NonZeroIaEPalEENS0_5tupleIJPlS6_EEENSJ_IJSD_SD_EEES6_SK_JS6_EEE10hipError_tPvRmT3_T4_T5_T6_T7_T9_mT8_P12ihipStream_tbDpT10_ENKUlT_T0_E_clISt17integral_constantIbLb1EES15_IbLb0EEEEDaS11_S12_EUlS11_E_NS1_11comp_targetILNS1_3genE8ELNS1_11target_archE1030ELNS1_3gpuE2ELNS1_3repE0EEENS1_30default_config_static_selectorELNS0_4arch9wavefront6targetE1EEEvT1_.has_recursion, 0
	.set _ZN7rocprim17ROCPRIM_400000_NS6detail17trampoline_kernelINS0_14default_configENS1_25partition_config_selectorILNS1_17partition_subalgoE5ElNS0_10empty_typeEbEEZZNS1_14partition_implILS5_5ELb0ES3_mN6hipcub16HIPCUB_304000_NS21CountingInputIteratorIllEEPS6_NSA_22TransformInputIteratorIb7NonZeroIaEPalEENS0_5tupleIJPlS6_EEENSJ_IJSD_SD_EEES6_SK_JS6_EEE10hipError_tPvRmT3_T4_T5_T6_T7_T9_mT8_P12ihipStream_tbDpT10_ENKUlT_T0_E_clISt17integral_constantIbLb1EES15_IbLb0EEEEDaS11_S12_EUlS11_E_NS1_11comp_targetILNS1_3genE8ELNS1_11target_archE1030ELNS1_3gpuE2ELNS1_3repE0EEENS1_30default_config_static_selectorELNS0_4arch9wavefront6targetE1EEEvT1_.has_indirect_call, 0
	.section	.AMDGPU.csdata,"",@progbits
; Kernel info:
; codeLenInByte = 0
; TotalNumSgprs: 4
; NumVgprs: 0
; ScratchSize: 0
; MemoryBound: 0
; FloatMode: 240
; IeeeMode: 1
; LDSByteSize: 0 bytes/workgroup (compile time only)
; SGPRBlocks: 0
; VGPRBlocks: 0
; NumSGPRsForWavesPerEU: 4
; NumVGPRsForWavesPerEU: 1
; Occupancy: 10
; WaveLimiterHint : 0
; COMPUTE_PGM_RSRC2:SCRATCH_EN: 0
; COMPUTE_PGM_RSRC2:USER_SGPR: 6
; COMPUTE_PGM_RSRC2:TRAP_HANDLER: 0
; COMPUTE_PGM_RSRC2:TGID_X_EN: 1
; COMPUTE_PGM_RSRC2:TGID_Y_EN: 0
; COMPUTE_PGM_RSRC2:TGID_Z_EN: 0
; COMPUTE_PGM_RSRC2:TIDIG_COMP_CNT: 0
	.section	.text._ZN7rocprim17ROCPRIM_400000_NS6detail31init_lookback_scan_state_kernelINS1_19lookback_scan_stateImLb0ELb1EEENS1_16block_id_wrapperIjLb1EEEEEvT_jT0_jPNS7_10value_typeE,"axG",@progbits,_ZN7rocprim17ROCPRIM_400000_NS6detail31init_lookback_scan_state_kernelINS1_19lookback_scan_stateImLb0ELb1EEENS1_16block_id_wrapperIjLb1EEEEEvT_jT0_jPNS7_10value_typeE,comdat
	.protected	_ZN7rocprim17ROCPRIM_400000_NS6detail31init_lookback_scan_state_kernelINS1_19lookback_scan_stateImLb0ELb1EEENS1_16block_id_wrapperIjLb1EEEEEvT_jT0_jPNS7_10value_typeE ; -- Begin function _ZN7rocprim17ROCPRIM_400000_NS6detail31init_lookback_scan_state_kernelINS1_19lookback_scan_stateImLb0ELb1EEENS1_16block_id_wrapperIjLb1EEEEEvT_jT0_jPNS7_10value_typeE
	.globl	_ZN7rocprim17ROCPRIM_400000_NS6detail31init_lookback_scan_state_kernelINS1_19lookback_scan_stateImLb0ELb1EEENS1_16block_id_wrapperIjLb1EEEEEvT_jT0_jPNS7_10value_typeE
	.p2align	8
	.type	_ZN7rocprim17ROCPRIM_400000_NS6detail31init_lookback_scan_state_kernelINS1_19lookback_scan_stateImLb0ELb1EEENS1_16block_id_wrapperIjLb1EEEEEvT_jT0_jPNS7_10value_typeE,@function
_ZN7rocprim17ROCPRIM_400000_NS6detail31init_lookback_scan_state_kernelINS1_19lookback_scan_stateImLb0ELb1EEENS1_16block_id_wrapperIjLb1EEEEEvT_jT0_jPNS7_10value_typeE: ; @_ZN7rocprim17ROCPRIM_400000_NS6detail31init_lookback_scan_state_kernelINS1_19lookback_scan_stateImLb0ELb1EEENS1_16block_id_wrapperIjLb1EEEEEvT_jT0_jPNS7_10value_typeE
; %bb.0:
	s_load_dword s7, s[4:5], 0x34
	s_load_dwordx2 s[2:3], s[4:5], 0x20
	s_load_dwordx2 s[0:1], s[4:5], 0x0
	s_load_dword s14, s[4:5], 0x8
	s_waitcnt lgkmcnt(0)
	s_and_b32 s7, s7, 0xffff
	s_mul_i32 s6, s6, s7
	s_cmp_eq_u64 s[2:3], 0
	v_add_u32_e32 v0, s6, v0
	s_cbranch_scc1 .LBB71_8
; %bb.1:
	s_load_dword s8, s[4:5], 0x18
	s_mov_b32 s9, 0
	s_waitcnt lgkmcnt(0)
	s_cmp_lt_u32 s8, s14
	s_cselect_b32 s6, s8, 0
	v_cmp_eq_u32_e32 vcc, s6, v0
	s_and_saveexec_b64 s[6:7], vcc
	s_cbranch_execz .LBB71_7
; %bb.2:
	s_add_i32 s8, s8, 64
	s_lshl_b64 s[8:9], s[8:9], 4
	s_add_u32 s12, s0, s8
	s_addc_u32 s13, s1, s9
	v_mov_b32_e32 v1, s12
	v_mov_b32_e32 v2, s13
	;;#ASMSTART
	global_load_dwordx4 v[1:4], v[1:2] off glc	
s_waitcnt vmcnt(0)
	;;#ASMEND
	v_and_b32_e32 v4, 0xff, v3
	v_mov_b32_e32 v5, 0
	v_cmp_eq_u64_e32 vcc, 0, v[4:5]
	s_mov_b64 s[10:11], 0
	s_and_saveexec_b64 s[8:9], vcc
	s_cbranch_execz .LBB71_6
; %bb.3:
	v_mov_b32_e32 v6, s12
	v_mov_b32_e32 v7, s13
.LBB71_4:                               ; =>This Inner Loop Header: Depth=1
	;;#ASMSTART
	global_load_dwordx4 v[1:4], v[6:7] off glc	
s_waitcnt vmcnt(0)
	;;#ASMEND
	v_and_b32_e32 v4, 0xff, v3
	v_cmp_ne_u64_e32 vcc, 0, v[4:5]
	s_or_b64 s[10:11], vcc, s[10:11]
	s_andn2_b64 exec, exec, s[10:11]
	s_cbranch_execnz .LBB71_4
; %bb.5:
	s_or_b64 exec, exec, s[10:11]
.LBB71_6:
	s_or_b64 exec, exec, s[8:9]
	v_mov_b32_e32 v3, 0
	global_store_dwordx2 v3, v[1:2], s[2:3]
.LBB71_7:
	s_or_b64 exec, exec, s[6:7]
.LBB71_8:
	v_cmp_eq_u32_e32 vcc, 0, v0
	s_and_saveexec_b64 s[2:3], vcc
	s_cbranch_execnz .LBB71_12
; %bb.9:
	s_or_b64 exec, exec, s[2:3]
	v_cmp_gt_u32_e32 vcc, s14, v0
	s_and_saveexec_b64 s[2:3], vcc
	s_cbranch_execnz .LBB71_13
.LBB71_10:
	s_or_b64 exec, exec, s[2:3]
	v_cmp_gt_u32_e32 vcc, 64, v0
	s_and_saveexec_b64 s[2:3], vcc
	s_cbranch_execnz .LBB71_14
.LBB71_11:
	s_endpgm
.LBB71_12:
	s_load_dwordx2 s[4:5], s[4:5], 0x10
	v_mov_b32_e32 v1, 0
	s_waitcnt lgkmcnt(0)
	global_store_dword v1, v1, s[4:5]
	s_or_b64 exec, exec, s[2:3]
	v_cmp_gt_u32_e32 vcc, s14, v0
	s_and_saveexec_b64 s[2:3], vcc
	s_cbranch_execz .LBB71_10
.LBB71_13:
	v_add_u32_e32 v1, 64, v0
	v_mov_b32_e32 v2, 0
	v_lshlrev_b64 v[3:4], 4, v[1:2]
	v_mov_b32_e32 v1, s1
	v_add_co_u32_e32 v5, vcc, s0, v3
	v_addc_co_u32_e32 v6, vcc, v1, v4, vcc
	v_mov_b32_e32 v1, v2
	v_mov_b32_e32 v3, v2
	;; [unrolled: 1-line block ×3, first 2 shown]
	global_store_dwordx4 v[5:6], v[1:4], off
	s_or_b64 exec, exec, s[2:3]
	v_cmp_gt_u32_e32 vcc, 64, v0
	s_and_saveexec_b64 s[2:3], vcc
	s_cbranch_execz .LBB71_11
.LBB71_14:
	v_mov_b32_e32 v1, 0
	v_lshlrev_b64 v[2:3], 4, v[0:1]
	v_mov_b32_e32 v0, s1
	v_add_co_u32_e32 v4, vcc, s0, v2
	v_addc_co_u32_e32 v5, vcc, v0, v3, vcc
	v_mov_b32_e32 v2, 0xff
	v_mov_b32_e32 v0, v1
	;; [unrolled: 1-line block ×3, first 2 shown]
	global_store_dwordx4 v[4:5], v[0:3], off
	s_endpgm
	.section	.rodata,"a",@progbits
	.p2align	6, 0x0
	.amdhsa_kernel _ZN7rocprim17ROCPRIM_400000_NS6detail31init_lookback_scan_state_kernelINS1_19lookback_scan_stateImLb0ELb1EEENS1_16block_id_wrapperIjLb1EEEEEvT_jT0_jPNS7_10value_typeE
		.amdhsa_group_segment_fixed_size 0
		.amdhsa_private_segment_fixed_size 0
		.amdhsa_kernarg_size 296
		.amdhsa_user_sgpr_count 6
		.amdhsa_user_sgpr_private_segment_buffer 1
		.amdhsa_user_sgpr_dispatch_ptr 0
		.amdhsa_user_sgpr_queue_ptr 0
		.amdhsa_user_sgpr_kernarg_segment_ptr 1
		.amdhsa_user_sgpr_dispatch_id 0
		.amdhsa_user_sgpr_flat_scratch_init 0
		.amdhsa_user_sgpr_private_segment_size 0
		.amdhsa_uses_dynamic_stack 0
		.amdhsa_system_sgpr_private_segment_wavefront_offset 0
		.amdhsa_system_sgpr_workgroup_id_x 1
		.amdhsa_system_sgpr_workgroup_id_y 0
		.amdhsa_system_sgpr_workgroup_id_z 0
		.amdhsa_system_sgpr_workgroup_info 0
		.amdhsa_system_vgpr_workitem_id 0
		.amdhsa_next_free_vgpr 8
		.amdhsa_next_free_sgpr 15
		.amdhsa_reserve_vcc 1
		.amdhsa_reserve_flat_scratch 0
		.amdhsa_float_round_mode_32 0
		.amdhsa_float_round_mode_16_64 0
		.amdhsa_float_denorm_mode_32 3
		.amdhsa_float_denorm_mode_16_64 3
		.amdhsa_dx10_clamp 1
		.amdhsa_ieee_mode 1
		.amdhsa_fp16_overflow 0
		.amdhsa_exception_fp_ieee_invalid_op 0
		.amdhsa_exception_fp_denorm_src 0
		.amdhsa_exception_fp_ieee_div_zero 0
		.amdhsa_exception_fp_ieee_overflow 0
		.amdhsa_exception_fp_ieee_underflow 0
		.amdhsa_exception_fp_ieee_inexact 0
		.amdhsa_exception_int_div_zero 0
	.end_amdhsa_kernel
	.section	.text._ZN7rocprim17ROCPRIM_400000_NS6detail31init_lookback_scan_state_kernelINS1_19lookback_scan_stateImLb0ELb1EEENS1_16block_id_wrapperIjLb1EEEEEvT_jT0_jPNS7_10value_typeE,"axG",@progbits,_ZN7rocprim17ROCPRIM_400000_NS6detail31init_lookback_scan_state_kernelINS1_19lookback_scan_stateImLb0ELb1EEENS1_16block_id_wrapperIjLb1EEEEEvT_jT0_jPNS7_10value_typeE,comdat
.Lfunc_end71:
	.size	_ZN7rocprim17ROCPRIM_400000_NS6detail31init_lookback_scan_state_kernelINS1_19lookback_scan_stateImLb0ELb1EEENS1_16block_id_wrapperIjLb1EEEEEvT_jT0_jPNS7_10value_typeE, .Lfunc_end71-_ZN7rocprim17ROCPRIM_400000_NS6detail31init_lookback_scan_state_kernelINS1_19lookback_scan_stateImLb0ELb1EEENS1_16block_id_wrapperIjLb1EEEEEvT_jT0_jPNS7_10value_typeE
                                        ; -- End function
	.set _ZN7rocprim17ROCPRIM_400000_NS6detail31init_lookback_scan_state_kernelINS1_19lookback_scan_stateImLb0ELb1EEENS1_16block_id_wrapperIjLb1EEEEEvT_jT0_jPNS7_10value_typeE.num_vgpr, 8
	.set _ZN7rocprim17ROCPRIM_400000_NS6detail31init_lookback_scan_state_kernelINS1_19lookback_scan_stateImLb0ELb1EEENS1_16block_id_wrapperIjLb1EEEEEvT_jT0_jPNS7_10value_typeE.num_agpr, 0
	.set _ZN7rocprim17ROCPRIM_400000_NS6detail31init_lookback_scan_state_kernelINS1_19lookback_scan_stateImLb0ELb1EEENS1_16block_id_wrapperIjLb1EEEEEvT_jT0_jPNS7_10value_typeE.numbered_sgpr, 15
	.set _ZN7rocprim17ROCPRIM_400000_NS6detail31init_lookback_scan_state_kernelINS1_19lookback_scan_stateImLb0ELb1EEENS1_16block_id_wrapperIjLb1EEEEEvT_jT0_jPNS7_10value_typeE.num_named_barrier, 0
	.set _ZN7rocprim17ROCPRIM_400000_NS6detail31init_lookback_scan_state_kernelINS1_19lookback_scan_stateImLb0ELb1EEENS1_16block_id_wrapperIjLb1EEEEEvT_jT0_jPNS7_10value_typeE.private_seg_size, 0
	.set _ZN7rocprim17ROCPRIM_400000_NS6detail31init_lookback_scan_state_kernelINS1_19lookback_scan_stateImLb0ELb1EEENS1_16block_id_wrapperIjLb1EEEEEvT_jT0_jPNS7_10value_typeE.uses_vcc, 1
	.set _ZN7rocprim17ROCPRIM_400000_NS6detail31init_lookback_scan_state_kernelINS1_19lookback_scan_stateImLb0ELb1EEENS1_16block_id_wrapperIjLb1EEEEEvT_jT0_jPNS7_10value_typeE.uses_flat_scratch, 0
	.set _ZN7rocprim17ROCPRIM_400000_NS6detail31init_lookback_scan_state_kernelINS1_19lookback_scan_stateImLb0ELb1EEENS1_16block_id_wrapperIjLb1EEEEEvT_jT0_jPNS7_10value_typeE.has_dyn_sized_stack, 0
	.set _ZN7rocprim17ROCPRIM_400000_NS6detail31init_lookback_scan_state_kernelINS1_19lookback_scan_stateImLb0ELb1EEENS1_16block_id_wrapperIjLb1EEEEEvT_jT0_jPNS7_10value_typeE.has_recursion, 0
	.set _ZN7rocprim17ROCPRIM_400000_NS6detail31init_lookback_scan_state_kernelINS1_19lookback_scan_stateImLb0ELb1EEENS1_16block_id_wrapperIjLb1EEEEEvT_jT0_jPNS7_10value_typeE.has_indirect_call, 0
	.section	.AMDGPU.csdata,"",@progbits
; Kernel info:
; codeLenInByte = 440
; TotalNumSgprs: 19
; NumVgprs: 8
; ScratchSize: 0
; MemoryBound: 0
; FloatMode: 240
; IeeeMode: 1
; LDSByteSize: 0 bytes/workgroup (compile time only)
; SGPRBlocks: 2
; VGPRBlocks: 1
; NumSGPRsForWavesPerEU: 19
; NumVGPRsForWavesPerEU: 8
; Occupancy: 10
; WaveLimiterHint : 0
; COMPUTE_PGM_RSRC2:SCRATCH_EN: 0
; COMPUTE_PGM_RSRC2:USER_SGPR: 6
; COMPUTE_PGM_RSRC2:TRAP_HANDLER: 0
; COMPUTE_PGM_RSRC2:TGID_X_EN: 1
; COMPUTE_PGM_RSRC2:TGID_Y_EN: 0
; COMPUTE_PGM_RSRC2:TGID_Z_EN: 0
; COMPUTE_PGM_RSRC2:TIDIG_COMP_CNT: 0
	.section	.text._ZN7rocprim17ROCPRIM_400000_NS6detail17trampoline_kernelINS0_14default_configENS1_25partition_config_selectorILNS1_17partition_subalgoE5ElNS0_10empty_typeEbEEZZNS1_14partition_implILS5_5ELb0ES3_mN6hipcub16HIPCUB_304000_NS21CountingInputIteratorIllEEPS6_NSA_22TransformInputIteratorIb7NonZeroIaEPalEENS0_5tupleIJPlS6_EEENSJ_IJSD_SD_EEES6_SK_JS6_EEE10hipError_tPvRmT3_T4_T5_T6_T7_T9_mT8_P12ihipStream_tbDpT10_ENKUlT_T0_E_clISt17integral_constantIbLb0EES15_IbLb1EEEEDaS11_S12_EUlS11_E_NS1_11comp_targetILNS1_3genE0ELNS1_11target_archE4294967295ELNS1_3gpuE0ELNS1_3repE0EEENS1_30default_config_static_selectorELNS0_4arch9wavefront6targetE1EEEvT1_,"axG",@progbits,_ZN7rocprim17ROCPRIM_400000_NS6detail17trampoline_kernelINS0_14default_configENS1_25partition_config_selectorILNS1_17partition_subalgoE5ElNS0_10empty_typeEbEEZZNS1_14partition_implILS5_5ELb0ES3_mN6hipcub16HIPCUB_304000_NS21CountingInputIteratorIllEEPS6_NSA_22TransformInputIteratorIb7NonZeroIaEPalEENS0_5tupleIJPlS6_EEENSJ_IJSD_SD_EEES6_SK_JS6_EEE10hipError_tPvRmT3_T4_T5_T6_T7_T9_mT8_P12ihipStream_tbDpT10_ENKUlT_T0_E_clISt17integral_constantIbLb0EES15_IbLb1EEEEDaS11_S12_EUlS11_E_NS1_11comp_targetILNS1_3genE0ELNS1_11target_archE4294967295ELNS1_3gpuE0ELNS1_3repE0EEENS1_30default_config_static_selectorELNS0_4arch9wavefront6targetE1EEEvT1_,comdat
	.protected	_ZN7rocprim17ROCPRIM_400000_NS6detail17trampoline_kernelINS0_14default_configENS1_25partition_config_selectorILNS1_17partition_subalgoE5ElNS0_10empty_typeEbEEZZNS1_14partition_implILS5_5ELb0ES3_mN6hipcub16HIPCUB_304000_NS21CountingInputIteratorIllEEPS6_NSA_22TransformInputIteratorIb7NonZeroIaEPalEENS0_5tupleIJPlS6_EEENSJ_IJSD_SD_EEES6_SK_JS6_EEE10hipError_tPvRmT3_T4_T5_T6_T7_T9_mT8_P12ihipStream_tbDpT10_ENKUlT_T0_E_clISt17integral_constantIbLb0EES15_IbLb1EEEEDaS11_S12_EUlS11_E_NS1_11comp_targetILNS1_3genE0ELNS1_11target_archE4294967295ELNS1_3gpuE0ELNS1_3repE0EEENS1_30default_config_static_selectorELNS0_4arch9wavefront6targetE1EEEvT1_ ; -- Begin function _ZN7rocprim17ROCPRIM_400000_NS6detail17trampoline_kernelINS0_14default_configENS1_25partition_config_selectorILNS1_17partition_subalgoE5ElNS0_10empty_typeEbEEZZNS1_14partition_implILS5_5ELb0ES3_mN6hipcub16HIPCUB_304000_NS21CountingInputIteratorIllEEPS6_NSA_22TransformInputIteratorIb7NonZeroIaEPalEENS0_5tupleIJPlS6_EEENSJ_IJSD_SD_EEES6_SK_JS6_EEE10hipError_tPvRmT3_T4_T5_T6_T7_T9_mT8_P12ihipStream_tbDpT10_ENKUlT_T0_E_clISt17integral_constantIbLb0EES15_IbLb1EEEEDaS11_S12_EUlS11_E_NS1_11comp_targetILNS1_3genE0ELNS1_11target_archE4294967295ELNS1_3gpuE0ELNS1_3repE0EEENS1_30default_config_static_selectorELNS0_4arch9wavefront6targetE1EEEvT1_
	.globl	_ZN7rocprim17ROCPRIM_400000_NS6detail17trampoline_kernelINS0_14default_configENS1_25partition_config_selectorILNS1_17partition_subalgoE5ElNS0_10empty_typeEbEEZZNS1_14partition_implILS5_5ELb0ES3_mN6hipcub16HIPCUB_304000_NS21CountingInputIteratorIllEEPS6_NSA_22TransformInputIteratorIb7NonZeroIaEPalEENS0_5tupleIJPlS6_EEENSJ_IJSD_SD_EEES6_SK_JS6_EEE10hipError_tPvRmT3_T4_T5_T6_T7_T9_mT8_P12ihipStream_tbDpT10_ENKUlT_T0_E_clISt17integral_constantIbLb0EES15_IbLb1EEEEDaS11_S12_EUlS11_E_NS1_11comp_targetILNS1_3genE0ELNS1_11target_archE4294967295ELNS1_3gpuE0ELNS1_3repE0EEENS1_30default_config_static_selectorELNS0_4arch9wavefront6targetE1EEEvT1_
	.p2align	8
	.type	_ZN7rocprim17ROCPRIM_400000_NS6detail17trampoline_kernelINS0_14default_configENS1_25partition_config_selectorILNS1_17partition_subalgoE5ElNS0_10empty_typeEbEEZZNS1_14partition_implILS5_5ELb0ES3_mN6hipcub16HIPCUB_304000_NS21CountingInputIteratorIllEEPS6_NSA_22TransformInputIteratorIb7NonZeroIaEPalEENS0_5tupleIJPlS6_EEENSJ_IJSD_SD_EEES6_SK_JS6_EEE10hipError_tPvRmT3_T4_T5_T6_T7_T9_mT8_P12ihipStream_tbDpT10_ENKUlT_T0_E_clISt17integral_constantIbLb0EES15_IbLb1EEEEDaS11_S12_EUlS11_E_NS1_11comp_targetILNS1_3genE0ELNS1_11target_archE4294967295ELNS1_3gpuE0ELNS1_3repE0EEENS1_30default_config_static_selectorELNS0_4arch9wavefront6targetE1EEEvT1_,@function
_ZN7rocprim17ROCPRIM_400000_NS6detail17trampoline_kernelINS0_14default_configENS1_25partition_config_selectorILNS1_17partition_subalgoE5ElNS0_10empty_typeEbEEZZNS1_14partition_implILS5_5ELb0ES3_mN6hipcub16HIPCUB_304000_NS21CountingInputIteratorIllEEPS6_NSA_22TransformInputIteratorIb7NonZeroIaEPalEENS0_5tupleIJPlS6_EEENSJ_IJSD_SD_EEES6_SK_JS6_EEE10hipError_tPvRmT3_T4_T5_T6_T7_T9_mT8_P12ihipStream_tbDpT10_ENKUlT_T0_E_clISt17integral_constantIbLb0EES15_IbLb1EEEEDaS11_S12_EUlS11_E_NS1_11comp_targetILNS1_3genE0ELNS1_11target_archE4294967295ELNS1_3gpuE0ELNS1_3repE0EEENS1_30default_config_static_selectorELNS0_4arch9wavefront6targetE1EEEvT1_: ; @_ZN7rocprim17ROCPRIM_400000_NS6detail17trampoline_kernelINS0_14default_configENS1_25partition_config_selectorILNS1_17partition_subalgoE5ElNS0_10empty_typeEbEEZZNS1_14partition_implILS5_5ELb0ES3_mN6hipcub16HIPCUB_304000_NS21CountingInputIteratorIllEEPS6_NSA_22TransformInputIteratorIb7NonZeroIaEPalEENS0_5tupleIJPlS6_EEENSJ_IJSD_SD_EEES6_SK_JS6_EEE10hipError_tPvRmT3_T4_T5_T6_T7_T9_mT8_P12ihipStream_tbDpT10_ENKUlT_T0_E_clISt17integral_constantIbLb0EES15_IbLb1EEEEDaS11_S12_EUlS11_E_NS1_11comp_targetILNS1_3genE0ELNS1_11target_archE4294967295ELNS1_3gpuE0ELNS1_3repE0EEENS1_30default_config_static_selectorELNS0_4arch9wavefront6targetE1EEEvT1_
; %bb.0:
	.section	.rodata,"a",@progbits
	.p2align	6, 0x0
	.amdhsa_kernel _ZN7rocprim17ROCPRIM_400000_NS6detail17trampoline_kernelINS0_14default_configENS1_25partition_config_selectorILNS1_17partition_subalgoE5ElNS0_10empty_typeEbEEZZNS1_14partition_implILS5_5ELb0ES3_mN6hipcub16HIPCUB_304000_NS21CountingInputIteratorIllEEPS6_NSA_22TransformInputIteratorIb7NonZeroIaEPalEENS0_5tupleIJPlS6_EEENSJ_IJSD_SD_EEES6_SK_JS6_EEE10hipError_tPvRmT3_T4_T5_T6_T7_T9_mT8_P12ihipStream_tbDpT10_ENKUlT_T0_E_clISt17integral_constantIbLb0EES15_IbLb1EEEEDaS11_S12_EUlS11_E_NS1_11comp_targetILNS1_3genE0ELNS1_11target_archE4294967295ELNS1_3gpuE0ELNS1_3repE0EEENS1_30default_config_static_selectorELNS0_4arch9wavefront6targetE1EEEvT1_
		.amdhsa_group_segment_fixed_size 0
		.amdhsa_private_segment_fixed_size 0
		.amdhsa_kernarg_size 136
		.amdhsa_user_sgpr_count 6
		.amdhsa_user_sgpr_private_segment_buffer 1
		.amdhsa_user_sgpr_dispatch_ptr 0
		.amdhsa_user_sgpr_queue_ptr 0
		.amdhsa_user_sgpr_kernarg_segment_ptr 1
		.amdhsa_user_sgpr_dispatch_id 0
		.amdhsa_user_sgpr_flat_scratch_init 0
		.amdhsa_user_sgpr_private_segment_size 0
		.amdhsa_uses_dynamic_stack 0
		.amdhsa_system_sgpr_private_segment_wavefront_offset 0
		.amdhsa_system_sgpr_workgroup_id_x 1
		.amdhsa_system_sgpr_workgroup_id_y 0
		.amdhsa_system_sgpr_workgroup_id_z 0
		.amdhsa_system_sgpr_workgroup_info 0
		.amdhsa_system_vgpr_workitem_id 0
		.amdhsa_next_free_vgpr 1
		.amdhsa_next_free_sgpr 0
		.amdhsa_reserve_vcc 0
		.amdhsa_reserve_flat_scratch 0
		.amdhsa_float_round_mode_32 0
		.amdhsa_float_round_mode_16_64 0
		.amdhsa_float_denorm_mode_32 3
		.amdhsa_float_denorm_mode_16_64 3
		.amdhsa_dx10_clamp 1
		.amdhsa_ieee_mode 1
		.amdhsa_fp16_overflow 0
		.amdhsa_exception_fp_ieee_invalid_op 0
		.amdhsa_exception_fp_denorm_src 0
		.amdhsa_exception_fp_ieee_div_zero 0
		.amdhsa_exception_fp_ieee_overflow 0
		.amdhsa_exception_fp_ieee_underflow 0
		.amdhsa_exception_fp_ieee_inexact 0
		.amdhsa_exception_int_div_zero 0
	.end_amdhsa_kernel
	.section	.text._ZN7rocprim17ROCPRIM_400000_NS6detail17trampoline_kernelINS0_14default_configENS1_25partition_config_selectorILNS1_17partition_subalgoE5ElNS0_10empty_typeEbEEZZNS1_14partition_implILS5_5ELb0ES3_mN6hipcub16HIPCUB_304000_NS21CountingInputIteratorIllEEPS6_NSA_22TransformInputIteratorIb7NonZeroIaEPalEENS0_5tupleIJPlS6_EEENSJ_IJSD_SD_EEES6_SK_JS6_EEE10hipError_tPvRmT3_T4_T5_T6_T7_T9_mT8_P12ihipStream_tbDpT10_ENKUlT_T0_E_clISt17integral_constantIbLb0EES15_IbLb1EEEEDaS11_S12_EUlS11_E_NS1_11comp_targetILNS1_3genE0ELNS1_11target_archE4294967295ELNS1_3gpuE0ELNS1_3repE0EEENS1_30default_config_static_selectorELNS0_4arch9wavefront6targetE1EEEvT1_,"axG",@progbits,_ZN7rocprim17ROCPRIM_400000_NS6detail17trampoline_kernelINS0_14default_configENS1_25partition_config_selectorILNS1_17partition_subalgoE5ElNS0_10empty_typeEbEEZZNS1_14partition_implILS5_5ELb0ES3_mN6hipcub16HIPCUB_304000_NS21CountingInputIteratorIllEEPS6_NSA_22TransformInputIteratorIb7NonZeroIaEPalEENS0_5tupleIJPlS6_EEENSJ_IJSD_SD_EEES6_SK_JS6_EEE10hipError_tPvRmT3_T4_T5_T6_T7_T9_mT8_P12ihipStream_tbDpT10_ENKUlT_T0_E_clISt17integral_constantIbLb0EES15_IbLb1EEEEDaS11_S12_EUlS11_E_NS1_11comp_targetILNS1_3genE0ELNS1_11target_archE4294967295ELNS1_3gpuE0ELNS1_3repE0EEENS1_30default_config_static_selectorELNS0_4arch9wavefront6targetE1EEEvT1_,comdat
.Lfunc_end72:
	.size	_ZN7rocprim17ROCPRIM_400000_NS6detail17trampoline_kernelINS0_14default_configENS1_25partition_config_selectorILNS1_17partition_subalgoE5ElNS0_10empty_typeEbEEZZNS1_14partition_implILS5_5ELb0ES3_mN6hipcub16HIPCUB_304000_NS21CountingInputIteratorIllEEPS6_NSA_22TransformInputIteratorIb7NonZeroIaEPalEENS0_5tupleIJPlS6_EEENSJ_IJSD_SD_EEES6_SK_JS6_EEE10hipError_tPvRmT3_T4_T5_T6_T7_T9_mT8_P12ihipStream_tbDpT10_ENKUlT_T0_E_clISt17integral_constantIbLb0EES15_IbLb1EEEEDaS11_S12_EUlS11_E_NS1_11comp_targetILNS1_3genE0ELNS1_11target_archE4294967295ELNS1_3gpuE0ELNS1_3repE0EEENS1_30default_config_static_selectorELNS0_4arch9wavefront6targetE1EEEvT1_, .Lfunc_end72-_ZN7rocprim17ROCPRIM_400000_NS6detail17trampoline_kernelINS0_14default_configENS1_25partition_config_selectorILNS1_17partition_subalgoE5ElNS0_10empty_typeEbEEZZNS1_14partition_implILS5_5ELb0ES3_mN6hipcub16HIPCUB_304000_NS21CountingInputIteratorIllEEPS6_NSA_22TransformInputIteratorIb7NonZeroIaEPalEENS0_5tupleIJPlS6_EEENSJ_IJSD_SD_EEES6_SK_JS6_EEE10hipError_tPvRmT3_T4_T5_T6_T7_T9_mT8_P12ihipStream_tbDpT10_ENKUlT_T0_E_clISt17integral_constantIbLb0EES15_IbLb1EEEEDaS11_S12_EUlS11_E_NS1_11comp_targetILNS1_3genE0ELNS1_11target_archE4294967295ELNS1_3gpuE0ELNS1_3repE0EEENS1_30default_config_static_selectorELNS0_4arch9wavefront6targetE1EEEvT1_
                                        ; -- End function
	.set _ZN7rocprim17ROCPRIM_400000_NS6detail17trampoline_kernelINS0_14default_configENS1_25partition_config_selectorILNS1_17partition_subalgoE5ElNS0_10empty_typeEbEEZZNS1_14partition_implILS5_5ELb0ES3_mN6hipcub16HIPCUB_304000_NS21CountingInputIteratorIllEEPS6_NSA_22TransformInputIteratorIb7NonZeroIaEPalEENS0_5tupleIJPlS6_EEENSJ_IJSD_SD_EEES6_SK_JS6_EEE10hipError_tPvRmT3_T4_T5_T6_T7_T9_mT8_P12ihipStream_tbDpT10_ENKUlT_T0_E_clISt17integral_constantIbLb0EES15_IbLb1EEEEDaS11_S12_EUlS11_E_NS1_11comp_targetILNS1_3genE0ELNS1_11target_archE4294967295ELNS1_3gpuE0ELNS1_3repE0EEENS1_30default_config_static_selectorELNS0_4arch9wavefront6targetE1EEEvT1_.num_vgpr, 0
	.set _ZN7rocprim17ROCPRIM_400000_NS6detail17trampoline_kernelINS0_14default_configENS1_25partition_config_selectorILNS1_17partition_subalgoE5ElNS0_10empty_typeEbEEZZNS1_14partition_implILS5_5ELb0ES3_mN6hipcub16HIPCUB_304000_NS21CountingInputIteratorIllEEPS6_NSA_22TransformInputIteratorIb7NonZeroIaEPalEENS0_5tupleIJPlS6_EEENSJ_IJSD_SD_EEES6_SK_JS6_EEE10hipError_tPvRmT3_T4_T5_T6_T7_T9_mT8_P12ihipStream_tbDpT10_ENKUlT_T0_E_clISt17integral_constantIbLb0EES15_IbLb1EEEEDaS11_S12_EUlS11_E_NS1_11comp_targetILNS1_3genE0ELNS1_11target_archE4294967295ELNS1_3gpuE0ELNS1_3repE0EEENS1_30default_config_static_selectorELNS0_4arch9wavefront6targetE1EEEvT1_.num_agpr, 0
	.set _ZN7rocprim17ROCPRIM_400000_NS6detail17trampoline_kernelINS0_14default_configENS1_25partition_config_selectorILNS1_17partition_subalgoE5ElNS0_10empty_typeEbEEZZNS1_14partition_implILS5_5ELb0ES3_mN6hipcub16HIPCUB_304000_NS21CountingInputIteratorIllEEPS6_NSA_22TransformInputIteratorIb7NonZeroIaEPalEENS0_5tupleIJPlS6_EEENSJ_IJSD_SD_EEES6_SK_JS6_EEE10hipError_tPvRmT3_T4_T5_T6_T7_T9_mT8_P12ihipStream_tbDpT10_ENKUlT_T0_E_clISt17integral_constantIbLb0EES15_IbLb1EEEEDaS11_S12_EUlS11_E_NS1_11comp_targetILNS1_3genE0ELNS1_11target_archE4294967295ELNS1_3gpuE0ELNS1_3repE0EEENS1_30default_config_static_selectorELNS0_4arch9wavefront6targetE1EEEvT1_.numbered_sgpr, 0
	.set _ZN7rocprim17ROCPRIM_400000_NS6detail17trampoline_kernelINS0_14default_configENS1_25partition_config_selectorILNS1_17partition_subalgoE5ElNS0_10empty_typeEbEEZZNS1_14partition_implILS5_5ELb0ES3_mN6hipcub16HIPCUB_304000_NS21CountingInputIteratorIllEEPS6_NSA_22TransformInputIteratorIb7NonZeroIaEPalEENS0_5tupleIJPlS6_EEENSJ_IJSD_SD_EEES6_SK_JS6_EEE10hipError_tPvRmT3_T4_T5_T6_T7_T9_mT8_P12ihipStream_tbDpT10_ENKUlT_T0_E_clISt17integral_constantIbLb0EES15_IbLb1EEEEDaS11_S12_EUlS11_E_NS1_11comp_targetILNS1_3genE0ELNS1_11target_archE4294967295ELNS1_3gpuE0ELNS1_3repE0EEENS1_30default_config_static_selectorELNS0_4arch9wavefront6targetE1EEEvT1_.num_named_barrier, 0
	.set _ZN7rocprim17ROCPRIM_400000_NS6detail17trampoline_kernelINS0_14default_configENS1_25partition_config_selectorILNS1_17partition_subalgoE5ElNS0_10empty_typeEbEEZZNS1_14partition_implILS5_5ELb0ES3_mN6hipcub16HIPCUB_304000_NS21CountingInputIteratorIllEEPS6_NSA_22TransformInputIteratorIb7NonZeroIaEPalEENS0_5tupleIJPlS6_EEENSJ_IJSD_SD_EEES6_SK_JS6_EEE10hipError_tPvRmT3_T4_T5_T6_T7_T9_mT8_P12ihipStream_tbDpT10_ENKUlT_T0_E_clISt17integral_constantIbLb0EES15_IbLb1EEEEDaS11_S12_EUlS11_E_NS1_11comp_targetILNS1_3genE0ELNS1_11target_archE4294967295ELNS1_3gpuE0ELNS1_3repE0EEENS1_30default_config_static_selectorELNS0_4arch9wavefront6targetE1EEEvT1_.private_seg_size, 0
	.set _ZN7rocprim17ROCPRIM_400000_NS6detail17trampoline_kernelINS0_14default_configENS1_25partition_config_selectorILNS1_17partition_subalgoE5ElNS0_10empty_typeEbEEZZNS1_14partition_implILS5_5ELb0ES3_mN6hipcub16HIPCUB_304000_NS21CountingInputIteratorIllEEPS6_NSA_22TransformInputIteratorIb7NonZeroIaEPalEENS0_5tupleIJPlS6_EEENSJ_IJSD_SD_EEES6_SK_JS6_EEE10hipError_tPvRmT3_T4_T5_T6_T7_T9_mT8_P12ihipStream_tbDpT10_ENKUlT_T0_E_clISt17integral_constantIbLb0EES15_IbLb1EEEEDaS11_S12_EUlS11_E_NS1_11comp_targetILNS1_3genE0ELNS1_11target_archE4294967295ELNS1_3gpuE0ELNS1_3repE0EEENS1_30default_config_static_selectorELNS0_4arch9wavefront6targetE1EEEvT1_.uses_vcc, 0
	.set _ZN7rocprim17ROCPRIM_400000_NS6detail17trampoline_kernelINS0_14default_configENS1_25partition_config_selectorILNS1_17partition_subalgoE5ElNS0_10empty_typeEbEEZZNS1_14partition_implILS5_5ELb0ES3_mN6hipcub16HIPCUB_304000_NS21CountingInputIteratorIllEEPS6_NSA_22TransformInputIteratorIb7NonZeroIaEPalEENS0_5tupleIJPlS6_EEENSJ_IJSD_SD_EEES6_SK_JS6_EEE10hipError_tPvRmT3_T4_T5_T6_T7_T9_mT8_P12ihipStream_tbDpT10_ENKUlT_T0_E_clISt17integral_constantIbLb0EES15_IbLb1EEEEDaS11_S12_EUlS11_E_NS1_11comp_targetILNS1_3genE0ELNS1_11target_archE4294967295ELNS1_3gpuE0ELNS1_3repE0EEENS1_30default_config_static_selectorELNS0_4arch9wavefront6targetE1EEEvT1_.uses_flat_scratch, 0
	.set _ZN7rocprim17ROCPRIM_400000_NS6detail17trampoline_kernelINS0_14default_configENS1_25partition_config_selectorILNS1_17partition_subalgoE5ElNS0_10empty_typeEbEEZZNS1_14partition_implILS5_5ELb0ES3_mN6hipcub16HIPCUB_304000_NS21CountingInputIteratorIllEEPS6_NSA_22TransformInputIteratorIb7NonZeroIaEPalEENS0_5tupleIJPlS6_EEENSJ_IJSD_SD_EEES6_SK_JS6_EEE10hipError_tPvRmT3_T4_T5_T6_T7_T9_mT8_P12ihipStream_tbDpT10_ENKUlT_T0_E_clISt17integral_constantIbLb0EES15_IbLb1EEEEDaS11_S12_EUlS11_E_NS1_11comp_targetILNS1_3genE0ELNS1_11target_archE4294967295ELNS1_3gpuE0ELNS1_3repE0EEENS1_30default_config_static_selectorELNS0_4arch9wavefront6targetE1EEEvT1_.has_dyn_sized_stack, 0
	.set _ZN7rocprim17ROCPRIM_400000_NS6detail17trampoline_kernelINS0_14default_configENS1_25partition_config_selectorILNS1_17partition_subalgoE5ElNS0_10empty_typeEbEEZZNS1_14partition_implILS5_5ELb0ES3_mN6hipcub16HIPCUB_304000_NS21CountingInputIteratorIllEEPS6_NSA_22TransformInputIteratorIb7NonZeroIaEPalEENS0_5tupleIJPlS6_EEENSJ_IJSD_SD_EEES6_SK_JS6_EEE10hipError_tPvRmT3_T4_T5_T6_T7_T9_mT8_P12ihipStream_tbDpT10_ENKUlT_T0_E_clISt17integral_constantIbLb0EES15_IbLb1EEEEDaS11_S12_EUlS11_E_NS1_11comp_targetILNS1_3genE0ELNS1_11target_archE4294967295ELNS1_3gpuE0ELNS1_3repE0EEENS1_30default_config_static_selectorELNS0_4arch9wavefront6targetE1EEEvT1_.has_recursion, 0
	.set _ZN7rocprim17ROCPRIM_400000_NS6detail17trampoline_kernelINS0_14default_configENS1_25partition_config_selectorILNS1_17partition_subalgoE5ElNS0_10empty_typeEbEEZZNS1_14partition_implILS5_5ELb0ES3_mN6hipcub16HIPCUB_304000_NS21CountingInputIteratorIllEEPS6_NSA_22TransformInputIteratorIb7NonZeroIaEPalEENS0_5tupleIJPlS6_EEENSJ_IJSD_SD_EEES6_SK_JS6_EEE10hipError_tPvRmT3_T4_T5_T6_T7_T9_mT8_P12ihipStream_tbDpT10_ENKUlT_T0_E_clISt17integral_constantIbLb0EES15_IbLb1EEEEDaS11_S12_EUlS11_E_NS1_11comp_targetILNS1_3genE0ELNS1_11target_archE4294967295ELNS1_3gpuE0ELNS1_3repE0EEENS1_30default_config_static_selectorELNS0_4arch9wavefront6targetE1EEEvT1_.has_indirect_call, 0
	.section	.AMDGPU.csdata,"",@progbits
; Kernel info:
; codeLenInByte = 0
; TotalNumSgprs: 4
; NumVgprs: 0
; ScratchSize: 0
; MemoryBound: 0
; FloatMode: 240
; IeeeMode: 1
; LDSByteSize: 0 bytes/workgroup (compile time only)
; SGPRBlocks: 0
; VGPRBlocks: 0
; NumSGPRsForWavesPerEU: 4
; NumVGPRsForWavesPerEU: 1
; Occupancy: 10
; WaveLimiterHint : 0
; COMPUTE_PGM_RSRC2:SCRATCH_EN: 0
; COMPUTE_PGM_RSRC2:USER_SGPR: 6
; COMPUTE_PGM_RSRC2:TRAP_HANDLER: 0
; COMPUTE_PGM_RSRC2:TGID_X_EN: 1
; COMPUTE_PGM_RSRC2:TGID_Y_EN: 0
; COMPUTE_PGM_RSRC2:TGID_Z_EN: 0
; COMPUTE_PGM_RSRC2:TIDIG_COMP_CNT: 0
	.section	.text._ZN7rocprim17ROCPRIM_400000_NS6detail17trampoline_kernelINS0_14default_configENS1_25partition_config_selectorILNS1_17partition_subalgoE5ElNS0_10empty_typeEbEEZZNS1_14partition_implILS5_5ELb0ES3_mN6hipcub16HIPCUB_304000_NS21CountingInputIteratorIllEEPS6_NSA_22TransformInputIteratorIb7NonZeroIaEPalEENS0_5tupleIJPlS6_EEENSJ_IJSD_SD_EEES6_SK_JS6_EEE10hipError_tPvRmT3_T4_T5_T6_T7_T9_mT8_P12ihipStream_tbDpT10_ENKUlT_T0_E_clISt17integral_constantIbLb0EES15_IbLb1EEEEDaS11_S12_EUlS11_E_NS1_11comp_targetILNS1_3genE5ELNS1_11target_archE942ELNS1_3gpuE9ELNS1_3repE0EEENS1_30default_config_static_selectorELNS0_4arch9wavefront6targetE1EEEvT1_,"axG",@progbits,_ZN7rocprim17ROCPRIM_400000_NS6detail17trampoline_kernelINS0_14default_configENS1_25partition_config_selectorILNS1_17partition_subalgoE5ElNS0_10empty_typeEbEEZZNS1_14partition_implILS5_5ELb0ES3_mN6hipcub16HIPCUB_304000_NS21CountingInputIteratorIllEEPS6_NSA_22TransformInputIteratorIb7NonZeroIaEPalEENS0_5tupleIJPlS6_EEENSJ_IJSD_SD_EEES6_SK_JS6_EEE10hipError_tPvRmT3_T4_T5_T6_T7_T9_mT8_P12ihipStream_tbDpT10_ENKUlT_T0_E_clISt17integral_constantIbLb0EES15_IbLb1EEEEDaS11_S12_EUlS11_E_NS1_11comp_targetILNS1_3genE5ELNS1_11target_archE942ELNS1_3gpuE9ELNS1_3repE0EEENS1_30default_config_static_selectorELNS0_4arch9wavefront6targetE1EEEvT1_,comdat
	.protected	_ZN7rocprim17ROCPRIM_400000_NS6detail17trampoline_kernelINS0_14default_configENS1_25partition_config_selectorILNS1_17partition_subalgoE5ElNS0_10empty_typeEbEEZZNS1_14partition_implILS5_5ELb0ES3_mN6hipcub16HIPCUB_304000_NS21CountingInputIteratorIllEEPS6_NSA_22TransformInputIteratorIb7NonZeroIaEPalEENS0_5tupleIJPlS6_EEENSJ_IJSD_SD_EEES6_SK_JS6_EEE10hipError_tPvRmT3_T4_T5_T6_T7_T9_mT8_P12ihipStream_tbDpT10_ENKUlT_T0_E_clISt17integral_constantIbLb0EES15_IbLb1EEEEDaS11_S12_EUlS11_E_NS1_11comp_targetILNS1_3genE5ELNS1_11target_archE942ELNS1_3gpuE9ELNS1_3repE0EEENS1_30default_config_static_selectorELNS0_4arch9wavefront6targetE1EEEvT1_ ; -- Begin function _ZN7rocprim17ROCPRIM_400000_NS6detail17trampoline_kernelINS0_14default_configENS1_25partition_config_selectorILNS1_17partition_subalgoE5ElNS0_10empty_typeEbEEZZNS1_14partition_implILS5_5ELb0ES3_mN6hipcub16HIPCUB_304000_NS21CountingInputIteratorIllEEPS6_NSA_22TransformInputIteratorIb7NonZeroIaEPalEENS0_5tupleIJPlS6_EEENSJ_IJSD_SD_EEES6_SK_JS6_EEE10hipError_tPvRmT3_T4_T5_T6_T7_T9_mT8_P12ihipStream_tbDpT10_ENKUlT_T0_E_clISt17integral_constantIbLb0EES15_IbLb1EEEEDaS11_S12_EUlS11_E_NS1_11comp_targetILNS1_3genE5ELNS1_11target_archE942ELNS1_3gpuE9ELNS1_3repE0EEENS1_30default_config_static_selectorELNS0_4arch9wavefront6targetE1EEEvT1_
	.globl	_ZN7rocprim17ROCPRIM_400000_NS6detail17trampoline_kernelINS0_14default_configENS1_25partition_config_selectorILNS1_17partition_subalgoE5ElNS0_10empty_typeEbEEZZNS1_14partition_implILS5_5ELb0ES3_mN6hipcub16HIPCUB_304000_NS21CountingInputIteratorIllEEPS6_NSA_22TransformInputIteratorIb7NonZeroIaEPalEENS0_5tupleIJPlS6_EEENSJ_IJSD_SD_EEES6_SK_JS6_EEE10hipError_tPvRmT3_T4_T5_T6_T7_T9_mT8_P12ihipStream_tbDpT10_ENKUlT_T0_E_clISt17integral_constantIbLb0EES15_IbLb1EEEEDaS11_S12_EUlS11_E_NS1_11comp_targetILNS1_3genE5ELNS1_11target_archE942ELNS1_3gpuE9ELNS1_3repE0EEENS1_30default_config_static_selectorELNS0_4arch9wavefront6targetE1EEEvT1_
	.p2align	8
	.type	_ZN7rocprim17ROCPRIM_400000_NS6detail17trampoline_kernelINS0_14default_configENS1_25partition_config_selectorILNS1_17partition_subalgoE5ElNS0_10empty_typeEbEEZZNS1_14partition_implILS5_5ELb0ES3_mN6hipcub16HIPCUB_304000_NS21CountingInputIteratorIllEEPS6_NSA_22TransformInputIteratorIb7NonZeroIaEPalEENS0_5tupleIJPlS6_EEENSJ_IJSD_SD_EEES6_SK_JS6_EEE10hipError_tPvRmT3_T4_T5_T6_T7_T9_mT8_P12ihipStream_tbDpT10_ENKUlT_T0_E_clISt17integral_constantIbLb0EES15_IbLb1EEEEDaS11_S12_EUlS11_E_NS1_11comp_targetILNS1_3genE5ELNS1_11target_archE942ELNS1_3gpuE9ELNS1_3repE0EEENS1_30default_config_static_selectorELNS0_4arch9wavefront6targetE1EEEvT1_,@function
_ZN7rocprim17ROCPRIM_400000_NS6detail17trampoline_kernelINS0_14default_configENS1_25partition_config_selectorILNS1_17partition_subalgoE5ElNS0_10empty_typeEbEEZZNS1_14partition_implILS5_5ELb0ES3_mN6hipcub16HIPCUB_304000_NS21CountingInputIteratorIllEEPS6_NSA_22TransformInputIteratorIb7NonZeroIaEPalEENS0_5tupleIJPlS6_EEENSJ_IJSD_SD_EEES6_SK_JS6_EEE10hipError_tPvRmT3_T4_T5_T6_T7_T9_mT8_P12ihipStream_tbDpT10_ENKUlT_T0_E_clISt17integral_constantIbLb0EES15_IbLb1EEEEDaS11_S12_EUlS11_E_NS1_11comp_targetILNS1_3genE5ELNS1_11target_archE942ELNS1_3gpuE9ELNS1_3repE0EEENS1_30default_config_static_selectorELNS0_4arch9wavefront6targetE1EEEvT1_: ; @_ZN7rocprim17ROCPRIM_400000_NS6detail17trampoline_kernelINS0_14default_configENS1_25partition_config_selectorILNS1_17partition_subalgoE5ElNS0_10empty_typeEbEEZZNS1_14partition_implILS5_5ELb0ES3_mN6hipcub16HIPCUB_304000_NS21CountingInputIteratorIllEEPS6_NSA_22TransformInputIteratorIb7NonZeroIaEPalEENS0_5tupleIJPlS6_EEENSJ_IJSD_SD_EEES6_SK_JS6_EEE10hipError_tPvRmT3_T4_T5_T6_T7_T9_mT8_P12ihipStream_tbDpT10_ENKUlT_T0_E_clISt17integral_constantIbLb0EES15_IbLb1EEEEDaS11_S12_EUlS11_E_NS1_11comp_targetILNS1_3genE5ELNS1_11target_archE942ELNS1_3gpuE9ELNS1_3repE0EEENS1_30default_config_static_selectorELNS0_4arch9wavefront6targetE1EEEvT1_
; %bb.0:
	.section	.rodata,"a",@progbits
	.p2align	6, 0x0
	.amdhsa_kernel _ZN7rocprim17ROCPRIM_400000_NS6detail17trampoline_kernelINS0_14default_configENS1_25partition_config_selectorILNS1_17partition_subalgoE5ElNS0_10empty_typeEbEEZZNS1_14partition_implILS5_5ELb0ES3_mN6hipcub16HIPCUB_304000_NS21CountingInputIteratorIllEEPS6_NSA_22TransformInputIteratorIb7NonZeroIaEPalEENS0_5tupleIJPlS6_EEENSJ_IJSD_SD_EEES6_SK_JS6_EEE10hipError_tPvRmT3_T4_T5_T6_T7_T9_mT8_P12ihipStream_tbDpT10_ENKUlT_T0_E_clISt17integral_constantIbLb0EES15_IbLb1EEEEDaS11_S12_EUlS11_E_NS1_11comp_targetILNS1_3genE5ELNS1_11target_archE942ELNS1_3gpuE9ELNS1_3repE0EEENS1_30default_config_static_selectorELNS0_4arch9wavefront6targetE1EEEvT1_
		.amdhsa_group_segment_fixed_size 0
		.amdhsa_private_segment_fixed_size 0
		.amdhsa_kernarg_size 136
		.amdhsa_user_sgpr_count 6
		.amdhsa_user_sgpr_private_segment_buffer 1
		.amdhsa_user_sgpr_dispatch_ptr 0
		.amdhsa_user_sgpr_queue_ptr 0
		.amdhsa_user_sgpr_kernarg_segment_ptr 1
		.amdhsa_user_sgpr_dispatch_id 0
		.amdhsa_user_sgpr_flat_scratch_init 0
		.amdhsa_user_sgpr_private_segment_size 0
		.amdhsa_uses_dynamic_stack 0
		.amdhsa_system_sgpr_private_segment_wavefront_offset 0
		.amdhsa_system_sgpr_workgroup_id_x 1
		.amdhsa_system_sgpr_workgroup_id_y 0
		.amdhsa_system_sgpr_workgroup_id_z 0
		.amdhsa_system_sgpr_workgroup_info 0
		.amdhsa_system_vgpr_workitem_id 0
		.amdhsa_next_free_vgpr 1
		.amdhsa_next_free_sgpr 0
		.amdhsa_reserve_vcc 0
		.amdhsa_reserve_flat_scratch 0
		.amdhsa_float_round_mode_32 0
		.amdhsa_float_round_mode_16_64 0
		.amdhsa_float_denorm_mode_32 3
		.amdhsa_float_denorm_mode_16_64 3
		.amdhsa_dx10_clamp 1
		.amdhsa_ieee_mode 1
		.amdhsa_fp16_overflow 0
		.amdhsa_exception_fp_ieee_invalid_op 0
		.amdhsa_exception_fp_denorm_src 0
		.amdhsa_exception_fp_ieee_div_zero 0
		.amdhsa_exception_fp_ieee_overflow 0
		.amdhsa_exception_fp_ieee_underflow 0
		.amdhsa_exception_fp_ieee_inexact 0
		.amdhsa_exception_int_div_zero 0
	.end_amdhsa_kernel
	.section	.text._ZN7rocprim17ROCPRIM_400000_NS6detail17trampoline_kernelINS0_14default_configENS1_25partition_config_selectorILNS1_17partition_subalgoE5ElNS0_10empty_typeEbEEZZNS1_14partition_implILS5_5ELb0ES3_mN6hipcub16HIPCUB_304000_NS21CountingInputIteratorIllEEPS6_NSA_22TransformInputIteratorIb7NonZeroIaEPalEENS0_5tupleIJPlS6_EEENSJ_IJSD_SD_EEES6_SK_JS6_EEE10hipError_tPvRmT3_T4_T5_T6_T7_T9_mT8_P12ihipStream_tbDpT10_ENKUlT_T0_E_clISt17integral_constantIbLb0EES15_IbLb1EEEEDaS11_S12_EUlS11_E_NS1_11comp_targetILNS1_3genE5ELNS1_11target_archE942ELNS1_3gpuE9ELNS1_3repE0EEENS1_30default_config_static_selectorELNS0_4arch9wavefront6targetE1EEEvT1_,"axG",@progbits,_ZN7rocprim17ROCPRIM_400000_NS6detail17trampoline_kernelINS0_14default_configENS1_25partition_config_selectorILNS1_17partition_subalgoE5ElNS0_10empty_typeEbEEZZNS1_14partition_implILS5_5ELb0ES3_mN6hipcub16HIPCUB_304000_NS21CountingInputIteratorIllEEPS6_NSA_22TransformInputIteratorIb7NonZeroIaEPalEENS0_5tupleIJPlS6_EEENSJ_IJSD_SD_EEES6_SK_JS6_EEE10hipError_tPvRmT3_T4_T5_T6_T7_T9_mT8_P12ihipStream_tbDpT10_ENKUlT_T0_E_clISt17integral_constantIbLb0EES15_IbLb1EEEEDaS11_S12_EUlS11_E_NS1_11comp_targetILNS1_3genE5ELNS1_11target_archE942ELNS1_3gpuE9ELNS1_3repE0EEENS1_30default_config_static_selectorELNS0_4arch9wavefront6targetE1EEEvT1_,comdat
.Lfunc_end73:
	.size	_ZN7rocprim17ROCPRIM_400000_NS6detail17trampoline_kernelINS0_14default_configENS1_25partition_config_selectorILNS1_17partition_subalgoE5ElNS0_10empty_typeEbEEZZNS1_14partition_implILS5_5ELb0ES3_mN6hipcub16HIPCUB_304000_NS21CountingInputIteratorIllEEPS6_NSA_22TransformInputIteratorIb7NonZeroIaEPalEENS0_5tupleIJPlS6_EEENSJ_IJSD_SD_EEES6_SK_JS6_EEE10hipError_tPvRmT3_T4_T5_T6_T7_T9_mT8_P12ihipStream_tbDpT10_ENKUlT_T0_E_clISt17integral_constantIbLb0EES15_IbLb1EEEEDaS11_S12_EUlS11_E_NS1_11comp_targetILNS1_3genE5ELNS1_11target_archE942ELNS1_3gpuE9ELNS1_3repE0EEENS1_30default_config_static_selectorELNS0_4arch9wavefront6targetE1EEEvT1_, .Lfunc_end73-_ZN7rocprim17ROCPRIM_400000_NS6detail17trampoline_kernelINS0_14default_configENS1_25partition_config_selectorILNS1_17partition_subalgoE5ElNS0_10empty_typeEbEEZZNS1_14partition_implILS5_5ELb0ES3_mN6hipcub16HIPCUB_304000_NS21CountingInputIteratorIllEEPS6_NSA_22TransformInputIteratorIb7NonZeroIaEPalEENS0_5tupleIJPlS6_EEENSJ_IJSD_SD_EEES6_SK_JS6_EEE10hipError_tPvRmT3_T4_T5_T6_T7_T9_mT8_P12ihipStream_tbDpT10_ENKUlT_T0_E_clISt17integral_constantIbLb0EES15_IbLb1EEEEDaS11_S12_EUlS11_E_NS1_11comp_targetILNS1_3genE5ELNS1_11target_archE942ELNS1_3gpuE9ELNS1_3repE0EEENS1_30default_config_static_selectorELNS0_4arch9wavefront6targetE1EEEvT1_
                                        ; -- End function
	.set _ZN7rocprim17ROCPRIM_400000_NS6detail17trampoline_kernelINS0_14default_configENS1_25partition_config_selectorILNS1_17partition_subalgoE5ElNS0_10empty_typeEbEEZZNS1_14partition_implILS5_5ELb0ES3_mN6hipcub16HIPCUB_304000_NS21CountingInputIteratorIllEEPS6_NSA_22TransformInputIteratorIb7NonZeroIaEPalEENS0_5tupleIJPlS6_EEENSJ_IJSD_SD_EEES6_SK_JS6_EEE10hipError_tPvRmT3_T4_T5_T6_T7_T9_mT8_P12ihipStream_tbDpT10_ENKUlT_T0_E_clISt17integral_constantIbLb0EES15_IbLb1EEEEDaS11_S12_EUlS11_E_NS1_11comp_targetILNS1_3genE5ELNS1_11target_archE942ELNS1_3gpuE9ELNS1_3repE0EEENS1_30default_config_static_selectorELNS0_4arch9wavefront6targetE1EEEvT1_.num_vgpr, 0
	.set _ZN7rocprim17ROCPRIM_400000_NS6detail17trampoline_kernelINS0_14default_configENS1_25partition_config_selectorILNS1_17partition_subalgoE5ElNS0_10empty_typeEbEEZZNS1_14partition_implILS5_5ELb0ES3_mN6hipcub16HIPCUB_304000_NS21CountingInputIteratorIllEEPS6_NSA_22TransformInputIteratorIb7NonZeroIaEPalEENS0_5tupleIJPlS6_EEENSJ_IJSD_SD_EEES6_SK_JS6_EEE10hipError_tPvRmT3_T4_T5_T6_T7_T9_mT8_P12ihipStream_tbDpT10_ENKUlT_T0_E_clISt17integral_constantIbLb0EES15_IbLb1EEEEDaS11_S12_EUlS11_E_NS1_11comp_targetILNS1_3genE5ELNS1_11target_archE942ELNS1_3gpuE9ELNS1_3repE0EEENS1_30default_config_static_selectorELNS0_4arch9wavefront6targetE1EEEvT1_.num_agpr, 0
	.set _ZN7rocprim17ROCPRIM_400000_NS6detail17trampoline_kernelINS0_14default_configENS1_25partition_config_selectorILNS1_17partition_subalgoE5ElNS0_10empty_typeEbEEZZNS1_14partition_implILS5_5ELb0ES3_mN6hipcub16HIPCUB_304000_NS21CountingInputIteratorIllEEPS6_NSA_22TransformInputIteratorIb7NonZeroIaEPalEENS0_5tupleIJPlS6_EEENSJ_IJSD_SD_EEES6_SK_JS6_EEE10hipError_tPvRmT3_T4_T5_T6_T7_T9_mT8_P12ihipStream_tbDpT10_ENKUlT_T0_E_clISt17integral_constantIbLb0EES15_IbLb1EEEEDaS11_S12_EUlS11_E_NS1_11comp_targetILNS1_3genE5ELNS1_11target_archE942ELNS1_3gpuE9ELNS1_3repE0EEENS1_30default_config_static_selectorELNS0_4arch9wavefront6targetE1EEEvT1_.numbered_sgpr, 0
	.set _ZN7rocprim17ROCPRIM_400000_NS6detail17trampoline_kernelINS0_14default_configENS1_25partition_config_selectorILNS1_17partition_subalgoE5ElNS0_10empty_typeEbEEZZNS1_14partition_implILS5_5ELb0ES3_mN6hipcub16HIPCUB_304000_NS21CountingInputIteratorIllEEPS6_NSA_22TransformInputIteratorIb7NonZeroIaEPalEENS0_5tupleIJPlS6_EEENSJ_IJSD_SD_EEES6_SK_JS6_EEE10hipError_tPvRmT3_T4_T5_T6_T7_T9_mT8_P12ihipStream_tbDpT10_ENKUlT_T0_E_clISt17integral_constantIbLb0EES15_IbLb1EEEEDaS11_S12_EUlS11_E_NS1_11comp_targetILNS1_3genE5ELNS1_11target_archE942ELNS1_3gpuE9ELNS1_3repE0EEENS1_30default_config_static_selectorELNS0_4arch9wavefront6targetE1EEEvT1_.num_named_barrier, 0
	.set _ZN7rocprim17ROCPRIM_400000_NS6detail17trampoline_kernelINS0_14default_configENS1_25partition_config_selectorILNS1_17partition_subalgoE5ElNS0_10empty_typeEbEEZZNS1_14partition_implILS5_5ELb0ES3_mN6hipcub16HIPCUB_304000_NS21CountingInputIteratorIllEEPS6_NSA_22TransformInputIteratorIb7NonZeroIaEPalEENS0_5tupleIJPlS6_EEENSJ_IJSD_SD_EEES6_SK_JS6_EEE10hipError_tPvRmT3_T4_T5_T6_T7_T9_mT8_P12ihipStream_tbDpT10_ENKUlT_T0_E_clISt17integral_constantIbLb0EES15_IbLb1EEEEDaS11_S12_EUlS11_E_NS1_11comp_targetILNS1_3genE5ELNS1_11target_archE942ELNS1_3gpuE9ELNS1_3repE0EEENS1_30default_config_static_selectorELNS0_4arch9wavefront6targetE1EEEvT1_.private_seg_size, 0
	.set _ZN7rocprim17ROCPRIM_400000_NS6detail17trampoline_kernelINS0_14default_configENS1_25partition_config_selectorILNS1_17partition_subalgoE5ElNS0_10empty_typeEbEEZZNS1_14partition_implILS5_5ELb0ES3_mN6hipcub16HIPCUB_304000_NS21CountingInputIteratorIllEEPS6_NSA_22TransformInputIteratorIb7NonZeroIaEPalEENS0_5tupleIJPlS6_EEENSJ_IJSD_SD_EEES6_SK_JS6_EEE10hipError_tPvRmT3_T4_T5_T6_T7_T9_mT8_P12ihipStream_tbDpT10_ENKUlT_T0_E_clISt17integral_constantIbLb0EES15_IbLb1EEEEDaS11_S12_EUlS11_E_NS1_11comp_targetILNS1_3genE5ELNS1_11target_archE942ELNS1_3gpuE9ELNS1_3repE0EEENS1_30default_config_static_selectorELNS0_4arch9wavefront6targetE1EEEvT1_.uses_vcc, 0
	.set _ZN7rocprim17ROCPRIM_400000_NS6detail17trampoline_kernelINS0_14default_configENS1_25partition_config_selectorILNS1_17partition_subalgoE5ElNS0_10empty_typeEbEEZZNS1_14partition_implILS5_5ELb0ES3_mN6hipcub16HIPCUB_304000_NS21CountingInputIteratorIllEEPS6_NSA_22TransformInputIteratorIb7NonZeroIaEPalEENS0_5tupleIJPlS6_EEENSJ_IJSD_SD_EEES6_SK_JS6_EEE10hipError_tPvRmT3_T4_T5_T6_T7_T9_mT8_P12ihipStream_tbDpT10_ENKUlT_T0_E_clISt17integral_constantIbLb0EES15_IbLb1EEEEDaS11_S12_EUlS11_E_NS1_11comp_targetILNS1_3genE5ELNS1_11target_archE942ELNS1_3gpuE9ELNS1_3repE0EEENS1_30default_config_static_selectorELNS0_4arch9wavefront6targetE1EEEvT1_.uses_flat_scratch, 0
	.set _ZN7rocprim17ROCPRIM_400000_NS6detail17trampoline_kernelINS0_14default_configENS1_25partition_config_selectorILNS1_17partition_subalgoE5ElNS0_10empty_typeEbEEZZNS1_14partition_implILS5_5ELb0ES3_mN6hipcub16HIPCUB_304000_NS21CountingInputIteratorIllEEPS6_NSA_22TransformInputIteratorIb7NonZeroIaEPalEENS0_5tupleIJPlS6_EEENSJ_IJSD_SD_EEES6_SK_JS6_EEE10hipError_tPvRmT3_T4_T5_T6_T7_T9_mT8_P12ihipStream_tbDpT10_ENKUlT_T0_E_clISt17integral_constantIbLb0EES15_IbLb1EEEEDaS11_S12_EUlS11_E_NS1_11comp_targetILNS1_3genE5ELNS1_11target_archE942ELNS1_3gpuE9ELNS1_3repE0EEENS1_30default_config_static_selectorELNS0_4arch9wavefront6targetE1EEEvT1_.has_dyn_sized_stack, 0
	.set _ZN7rocprim17ROCPRIM_400000_NS6detail17trampoline_kernelINS0_14default_configENS1_25partition_config_selectorILNS1_17partition_subalgoE5ElNS0_10empty_typeEbEEZZNS1_14partition_implILS5_5ELb0ES3_mN6hipcub16HIPCUB_304000_NS21CountingInputIteratorIllEEPS6_NSA_22TransformInputIteratorIb7NonZeroIaEPalEENS0_5tupleIJPlS6_EEENSJ_IJSD_SD_EEES6_SK_JS6_EEE10hipError_tPvRmT3_T4_T5_T6_T7_T9_mT8_P12ihipStream_tbDpT10_ENKUlT_T0_E_clISt17integral_constantIbLb0EES15_IbLb1EEEEDaS11_S12_EUlS11_E_NS1_11comp_targetILNS1_3genE5ELNS1_11target_archE942ELNS1_3gpuE9ELNS1_3repE0EEENS1_30default_config_static_selectorELNS0_4arch9wavefront6targetE1EEEvT1_.has_recursion, 0
	.set _ZN7rocprim17ROCPRIM_400000_NS6detail17trampoline_kernelINS0_14default_configENS1_25partition_config_selectorILNS1_17partition_subalgoE5ElNS0_10empty_typeEbEEZZNS1_14partition_implILS5_5ELb0ES3_mN6hipcub16HIPCUB_304000_NS21CountingInputIteratorIllEEPS6_NSA_22TransformInputIteratorIb7NonZeroIaEPalEENS0_5tupleIJPlS6_EEENSJ_IJSD_SD_EEES6_SK_JS6_EEE10hipError_tPvRmT3_T4_T5_T6_T7_T9_mT8_P12ihipStream_tbDpT10_ENKUlT_T0_E_clISt17integral_constantIbLb0EES15_IbLb1EEEEDaS11_S12_EUlS11_E_NS1_11comp_targetILNS1_3genE5ELNS1_11target_archE942ELNS1_3gpuE9ELNS1_3repE0EEENS1_30default_config_static_selectorELNS0_4arch9wavefront6targetE1EEEvT1_.has_indirect_call, 0
	.section	.AMDGPU.csdata,"",@progbits
; Kernel info:
; codeLenInByte = 0
; TotalNumSgprs: 4
; NumVgprs: 0
; ScratchSize: 0
; MemoryBound: 0
; FloatMode: 240
; IeeeMode: 1
; LDSByteSize: 0 bytes/workgroup (compile time only)
; SGPRBlocks: 0
; VGPRBlocks: 0
; NumSGPRsForWavesPerEU: 4
; NumVGPRsForWavesPerEU: 1
; Occupancy: 10
; WaveLimiterHint : 0
; COMPUTE_PGM_RSRC2:SCRATCH_EN: 0
; COMPUTE_PGM_RSRC2:USER_SGPR: 6
; COMPUTE_PGM_RSRC2:TRAP_HANDLER: 0
; COMPUTE_PGM_RSRC2:TGID_X_EN: 1
; COMPUTE_PGM_RSRC2:TGID_Y_EN: 0
; COMPUTE_PGM_RSRC2:TGID_Z_EN: 0
; COMPUTE_PGM_RSRC2:TIDIG_COMP_CNT: 0
	.section	.text._ZN7rocprim17ROCPRIM_400000_NS6detail17trampoline_kernelINS0_14default_configENS1_25partition_config_selectorILNS1_17partition_subalgoE5ElNS0_10empty_typeEbEEZZNS1_14partition_implILS5_5ELb0ES3_mN6hipcub16HIPCUB_304000_NS21CountingInputIteratorIllEEPS6_NSA_22TransformInputIteratorIb7NonZeroIaEPalEENS0_5tupleIJPlS6_EEENSJ_IJSD_SD_EEES6_SK_JS6_EEE10hipError_tPvRmT3_T4_T5_T6_T7_T9_mT8_P12ihipStream_tbDpT10_ENKUlT_T0_E_clISt17integral_constantIbLb0EES15_IbLb1EEEEDaS11_S12_EUlS11_E_NS1_11comp_targetILNS1_3genE4ELNS1_11target_archE910ELNS1_3gpuE8ELNS1_3repE0EEENS1_30default_config_static_selectorELNS0_4arch9wavefront6targetE1EEEvT1_,"axG",@progbits,_ZN7rocprim17ROCPRIM_400000_NS6detail17trampoline_kernelINS0_14default_configENS1_25partition_config_selectorILNS1_17partition_subalgoE5ElNS0_10empty_typeEbEEZZNS1_14partition_implILS5_5ELb0ES3_mN6hipcub16HIPCUB_304000_NS21CountingInputIteratorIllEEPS6_NSA_22TransformInputIteratorIb7NonZeroIaEPalEENS0_5tupleIJPlS6_EEENSJ_IJSD_SD_EEES6_SK_JS6_EEE10hipError_tPvRmT3_T4_T5_T6_T7_T9_mT8_P12ihipStream_tbDpT10_ENKUlT_T0_E_clISt17integral_constantIbLb0EES15_IbLb1EEEEDaS11_S12_EUlS11_E_NS1_11comp_targetILNS1_3genE4ELNS1_11target_archE910ELNS1_3gpuE8ELNS1_3repE0EEENS1_30default_config_static_selectorELNS0_4arch9wavefront6targetE1EEEvT1_,comdat
	.protected	_ZN7rocprim17ROCPRIM_400000_NS6detail17trampoline_kernelINS0_14default_configENS1_25partition_config_selectorILNS1_17partition_subalgoE5ElNS0_10empty_typeEbEEZZNS1_14partition_implILS5_5ELb0ES3_mN6hipcub16HIPCUB_304000_NS21CountingInputIteratorIllEEPS6_NSA_22TransformInputIteratorIb7NonZeroIaEPalEENS0_5tupleIJPlS6_EEENSJ_IJSD_SD_EEES6_SK_JS6_EEE10hipError_tPvRmT3_T4_T5_T6_T7_T9_mT8_P12ihipStream_tbDpT10_ENKUlT_T0_E_clISt17integral_constantIbLb0EES15_IbLb1EEEEDaS11_S12_EUlS11_E_NS1_11comp_targetILNS1_3genE4ELNS1_11target_archE910ELNS1_3gpuE8ELNS1_3repE0EEENS1_30default_config_static_selectorELNS0_4arch9wavefront6targetE1EEEvT1_ ; -- Begin function _ZN7rocprim17ROCPRIM_400000_NS6detail17trampoline_kernelINS0_14default_configENS1_25partition_config_selectorILNS1_17partition_subalgoE5ElNS0_10empty_typeEbEEZZNS1_14partition_implILS5_5ELb0ES3_mN6hipcub16HIPCUB_304000_NS21CountingInputIteratorIllEEPS6_NSA_22TransformInputIteratorIb7NonZeroIaEPalEENS0_5tupleIJPlS6_EEENSJ_IJSD_SD_EEES6_SK_JS6_EEE10hipError_tPvRmT3_T4_T5_T6_T7_T9_mT8_P12ihipStream_tbDpT10_ENKUlT_T0_E_clISt17integral_constantIbLb0EES15_IbLb1EEEEDaS11_S12_EUlS11_E_NS1_11comp_targetILNS1_3genE4ELNS1_11target_archE910ELNS1_3gpuE8ELNS1_3repE0EEENS1_30default_config_static_selectorELNS0_4arch9wavefront6targetE1EEEvT1_
	.globl	_ZN7rocprim17ROCPRIM_400000_NS6detail17trampoline_kernelINS0_14default_configENS1_25partition_config_selectorILNS1_17partition_subalgoE5ElNS0_10empty_typeEbEEZZNS1_14partition_implILS5_5ELb0ES3_mN6hipcub16HIPCUB_304000_NS21CountingInputIteratorIllEEPS6_NSA_22TransformInputIteratorIb7NonZeroIaEPalEENS0_5tupleIJPlS6_EEENSJ_IJSD_SD_EEES6_SK_JS6_EEE10hipError_tPvRmT3_T4_T5_T6_T7_T9_mT8_P12ihipStream_tbDpT10_ENKUlT_T0_E_clISt17integral_constantIbLb0EES15_IbLb1EEEEDaS11_S12_EUlS11_E_NS1_11comp_targetILNS1_3genE4ELNS1_11target_archE910ELNS1_3gpuE8ELNS1_3repE0EEENS1_30default_config_static_selectorELNS0_4arch9wavefront6targetE1EEEvT1_
	.p2align	8
	.type	_ZN7rocprim17ROCPRIM_400000_NS6detail17trampoline_kernelINS0_14default_configENS1_25partition_config_selectorILNS1_17partition_subalgoE5ElNS0_10empty_typeEbEEZZNS1_14partition_implILS5_5ELb0ES3_mN6hipcub16HIPCUB_304000_NS21CountingInputIteratorIllEEPS6_NSA_22TransformInputIteratorIb7NonZeroIaEPalEENS0_5tupleIJPlS6_EEENSJ_IJSD_SD_EEES6_SK_JS6_EEE10hipError_tPvRmT3_T4_T5_T6_T7_T9_mT8_P12ihipStream_tbDpT10_ENKUlT_T0_E_clISt17integral_constantIbLb0EES15_IbLb1EEEEDaS11_S12_EUlS11_E_NS1_11comp_targetILNS1_3genE4ELNS1_11target_archE910ELNS1_3gpuE8ELNS1_3repE0EEENS1_30default_config_static_selectorELNS0_4arch9wavefront6targetE1EEEvT1_,@function
_ZN7rocprim17ROCPRIM_400000_NS6detail17trampoline_kernelINS0_14default_configENS1_25partition_config_selectorILNS1_17partition_subalgoE5ElNS0_10empty_typeEbEEZZNS1_14partition_implILS5_5ELb0ES3_mN6hipcub16HIPCUB_304000_NS21CountingInputIteratorIllEEPS6_NSA_22TransformInputIteratorIb7NonZeroIaEPalEENS0_5tupleIJPlS6_EEENSJ_IJSD_SD_EEES6_SK_JS6_EEE10hipError_tPvRmT3_T4_T5_T6_T7_T9_mT8_P12ihipStream_tbDpT10_ENKUlT_T0_E_clISt17integral_constantIbLb0EES15_IbLb1EEEEDaS11_S12_EUlS11_E_NS1_11comp_targetILNS1_3genE4ELNS1_11target_archE910ELNS1_3gpuE8ELNS1_3repE0EEENS1_30default_config_static_selectorELNS0_4arch9wavefront6targetE1EEEvT1_: ; @_ZN7rocprim17ROCPRIM_400000_NS6detail17trampoline_kernelINS0_14default_configENS1_25partition_config_selectorILNS1_17partition_subalgoE5ElNS0_10empty_typeEbEEZZNS1_14partition_implILS5_5ELb0ES3_mN6hipcub16HIPCUB_304000_NS21CountingInputIteratorIllEEPS6_NSA_22TransformInputIteratorIb7NonZeroIaEPalEENS0_5tupleIJPlS6_EEENSJ_IJSD_SD_EEES6_SK_JS6_EEE10hipError_tPvRmT3_T4_T5_T6_T7_T9_mT8_P12ihipStream_tbDpT10_ENKUlT_T0_E_clISt17integral_constantIbLb0EES15_IbLb1EEEEDaS11_S12_EUlS11_E_NS1_11comp_targetILNS1_3genE4ELNS1_11target_archE910ELNS1_3gpuE8ELNS1_3repE0EEENS1_30default_config_static_selectorELNS0_4arch9wavefront6targetE1EEEvT1_
; %bb.0:
	.section	.rodata,"a",@progbits
	.p2align	6, 0x0
	.amdhsa_kernel _ZN7rocprim17ROCPRIM_400000_NS6detail17trampoline_kernelINS0_14default_configENS1_25partition_config_selectorILNS1_17partition_subalgoE5ElNS0_10empty_typeEbEEZZNS1_14partition_implILS5_5ELb0ES3_mN6hipcub16HIPCUB_304000_NS21CountingInputIteratorIllEEPS6_NSA_22TransformInputIteratorIb7NonZeroIaEPalEENS0_5tupleIJPlS6_EEENSJ_IJSD_SD_EEES6_SK_JS6_EEE10hipError_tPvRmT3_T4_T5_T6_T7_T9_mT8_P12ihipStream_tbDpT10_ENKUlT_T0_E_clISt17integral_constantIbLb0EES15_IbLb1EEEEDaS11_S12_EUlS11_E_NS1_11comp_targetILNS1_3genE4ELNS1_11target_archE910ELNS1_3gpuE8ELNS1_3repE0EEENS1_30default_config_static_selectorELNS0_4arch9wavefront6targetE1EEEvT1_
		.amdhsa_group_segment_fixed_size 0
		.amdhsa_private_segment_fixed_size 0
		.amdhsa_kernarg_size 136
		.amdhsa_user_sgpr_count 6
		.amdhsa_user_sgpr_private_segment_buffer 1
		.amdhsa_user_sgpr_dispatch_ptr 0
		.amdhsa_user_sgpr_queue_ptr 0
		.amdhsa_user_sgpr_kernarg_segment_ptr 1
		.amdhsa_user_sgpr_dispatch_id 0
		.amdhsa_user_sgpr_flat_scratch_init 0
		.amdhsa_user_sgpr_private_segment_size 0
		.amdhsa_uses_dynamic_stack 0
		.amdhsa_system_sgpr_private_segment_wavefront_offset 0
		.amdhsa_system_sgpr_workgroup_id_x 1
		.amdhsa_system_sgpr_workgroup_id_y 0
		.amdhsa_system_sgpr_workgroup_id_z 0
		.amdhsa_system_sgpr_workgroup_info 0
		.amdhsa_system_vgpr_workitem_id 0
		.amdhsa_next_free_vgpr 1
		.amdhsa_next_free_sgpr 0
		.amdhsa_reserve_vcc 0
		.amdhsa_reserve_flat_scratch 0
		.amdhsa_float_round_mode_32 0
		.amdhsa_float_round_mode_16_64 0
		.amdhsa_float_denorm_mode_32 3
		.amdhsa_float_denorm_mode_16_64 3
		.amdhsa_dx10_clamp 1
		.amdhsa_ieee_mode 1
		.amdhsa_fp16_overflow 0
		.amdhsa_exception_fp_ieee_invalid_op 0
		.amdhsa_exception_fp_denorm_src 0
		.amdhsa_exception_fp_ieee_div_zero 0
		.amdhsa_exception_fp_ieee_overflow 0
		.amdhsa_exception_fp_ieee_underflow 0
		.amdhsa_exception_fp_ieee_inexact 0
		.amdhsa_exception_int_div_zero 0
	.end_amdhsa_kernel
	.section	.text._ZN7rocprim17ROCPRIM_400000_NS6detail17trampoline_kernelINS0_14default_configENS1_25partition_config_selectorILNS1_17partition_subalgoE5ElNS0_10empty_typeEbEEZZNS1_14partition_implILS5_5ELb0ES3_mN6hipcub16HIPCUB_304000_NS21CountingInputIteratorIllEEPS6_NSA_22TransformInputIteratorIb7NonZeroIaEPalEENS0_5tupleIJPlS6_EEENSJ_IJSD_SD_EEES6_SK_JS6_EEE10hipError_tPvRmT3_T4_T5_T6_T7_T9_mT8_P12ihipStream_tbDpT10_ENKUlT_T0_E_clISt17integral_constantIbLb0EES15_IbLb1EEEEDaS11_S12_EUlS11_E_NS1_11comp_targetILNS1_3genE4ELNS1_11target_archE910ELNS1_3gpuE8ELNS1_3repE0EEENS1_30default_config_static_selectorELNS0_4arch9wavefront6targetE1EEEvT1_,"axG",@progbits,_ZN7rocprim17ROCPRIM_400000_NS6detail17trampoline_kernelINS0_14default_configENS1_25partition_config_selectorILNS1_17partition_subalgoE5ElNS0_10empty_typeEbEEZZNS1_14partition_implILS5_5ELb0ES3_mN6hipcub16HIPCUB_304000_NS21CountingInputIteratorIllEEPS6_NSA_22TransformInputIteratorIb7NonZeroIaEPalEENS0_5tupleIJPlS6_EEENSJ_IJSD_SD_EEES6_SK_JS6_EEE10hipError_tPvRmT3_T4_T5_T6_T7_T9_mT8_P12ihipStream_tbDpT10_ENKUlT_T0_E_clISt17integral_constantIbLb0EES15_IbLb1EEEEDaS11_S12_EUlS11_E_NS1_11comp_targetILNS1_3genE4ELNS1_11target_archE910ELNS1_3gpuE8ELNS1_3repE0EEENS1_30default_config_static_selectorELNS0_4arch9wavefront6targetE1EEEvT1_,comdat
.Lfunc_end74:
	.size	_ZN7rocprim17ROCPRIM_400000_NS6detail17trampoline_kernelINS0_14default_configENS1_25partition_config_selectorILNS1_17partition_subalgoE5ElNS0_10empty_typeEbEEZZNS1_14partition_implILS5_5ELb0ES3_mN6hipcub16HIPCUB_304000_NS21CountingInputIteratorIllEEPS6_NSA_22TransformInputIteratorIb7NonZeroIaEPalEENS0_5tupleIJPlS6_EEENSJ_IJSD_SD_EEES6_SK_JS6_EEE10hipError_tPvRmT3_T4_T5_T6_T7_T9_mT8_P12ihipStream_tbDpT10_ENKUlT_T0_E_clISt17integral_constantIbLb0EES15_IbLb1EEEEDaS11_S12_EUlS11_E_NS1_11comp_targetILNS1_3genE4ELNS1_11target_archE910ELNS1_3gpuE8ELNS1_3repE0EEENS1_30default_config_static_selectorELNS0_4arch9wavefront6targetE1EEEvT1_, .Lfunc_end74-_ZN7rocprim17ROCPRIM_400000_NS6detail17trampoline_kernelINS0_14default_configENS1_25partition_config_selectorILNS1_17partition_subalgoE5ElNS0_10empty_typeEbEEZZNS1_14partition_implILS5_5ELb0ES3_mN6hipcub16HIPCUB_304000_NS21CountingInputIteratorIllEEPS6_NSA_22TransformInputIteratorIb7NonZeroIaEPalEENS0_5tupleIJPlS6_EEENSJ_IJSD_SD_EEES6_SK_JS6_EEE10hipError_tPvRmT3_T4_T5_T6_T7_T9_mT8_P12ihipStream_tbDpT10_ENKUlT_T0_E_clISt17integral_constantIbLb0EES15_IbLb1EEEEDaS11_S12_EUlS11_E_NS1_11comp_targetILNS1_3genE4ELNS1_11target_archE910ELNS1_3gpuE8ELNS1_3repE0EEENS1_30default_config_static_selectorELNS0_4arch9wavefront6targetE1EEEvT1_
                                        ; -- End function
	.set _ZN7rocprim17ROCPRIM_400000_NS6detail17trampoline_kernelINS0_14default_configENS1_25partition_config_selectorILNS1_17partition_subalgoE5ElNS0_10empty_typeEbEEZZNS1_14partition_implILS5_5ELb0ES3_mN6hipcub16HIPCUB_304000_NS21CountingInputIteratorIllEEPS6_NSA_22TransformInputIteratorIb7NonZeroIaEPalEENS0_5tupleIJPlS6_EEENSJ_IJSD_SD_EEES6_SK_JS6_EEE10hipError_tPvRmT3_T4_T5_T6_T7_T9_mT8_P12ihipStream_tbDpT10_ENKUlT_T0_E_clISt17integral_constantIbLb0EES15_IbLb1EEEEDaS11_S12_EUlS11_E_NS1_11comp_targetILNS1_3genE4ELNS1_11target_archE910ELNS1_3gpuE8ELNS1_3repE0EEENS1_30default_config_static_selectorELNS0_4arch9wavefront6targetE1EEEvT1_.num_vgpr, 0
	.set _ZN7rocprim17ROCPRIM_400000_NS6detail17trampoline_kernelINS0_14default_configENS1_25partition_config_selectorILNS1_17partition_subalgoE5ElNS0_10empty_typeEbEEZZNS1_14partition_implILS5_5ELb0ES3_mN6hipcub16HIPCUB_304000_NS21CountingInputIteratorIllEEPS6_NSA_22TransformInputIteratorIb7NonZeroIaEPalEENS0_5tupleIJPlS6_EEENSJ_IJSD_SD_EEES6_SK_JS6_EEE10hipError_tPvRmT3_T4_T5_T6_T7_T9_mT8_P12ihipStream_tbDpT10_ENKUlT_T0_E_clISt17integral_constantIbLb0EES15_IbLb1EEEEDaS11_S12_EUlS11_E_NS1_11comp_targetILNS1_3genE4ELNS1_11target_archE910ELNS1_3gpuE8ELNS1_3repE0EEENS1_30default_config_static_selectorELNS0_4arch9wavefront6targetE1EEEvT1_.num_agpr, 0
	.set _ZN7rocprim17ROCPRIM_400000_NS6detail17trampoline_kernelINS0_14default_configENS1_25partition_config_selectorILNS1_17partition_subalgoE5ElNS0_10empty_typeEbEEZZNS1_14partition_implILS5_5ELb0ES3_mN6hipcub16HIPCUB_304000_NS21CountingInputIteratorIllEEPS6_NSA_22TransformInputIteratorIb7NonZeroIaEPalEENS0_5tupleIJPlS6_EEENSJ_IJSD_SD_EEES6_SK_JS6_EEE10hipError_tPvRmT3_T4_T5_T6_T7_T9_mT8_P12ihipStream_tbDpT10_ENKUlT_T0_E_clISt17integral_constantIbLb0EES15_IbLb1EEEEDaS11_S12_EUlS11_E_NS1_11comp_targetILNS1_3genE4ELNS1_11target_archE910ELNS1_3gpuE8ELNS1_3repE0EEENS1_30default_config_static_selectorELNS0_4arch9wavefront6targetE1EEEvT1_.numbered_sgpr, 0
	.set _ZN7rocprim17ROCPRIM_400000_NS6detail17trampoline_kernelINS0_14default_configENS1_25partition_config_selectorILNS1_17partition_subalgoE5ElNS0_10empty_typeEbEEZZNS1_14partition_implILS5_5ELb0ES3_mN6hipcub16HIPCUB_304000_NS21CountingInputIteratorIllEEPS6_NSA_22TransformInputIteratorIb7NonZeroIaEPalEENS0_5tupleIJPlS6_EEENSJ_IJSD_SD_EEES6_SK_JS6_EEE10hipError_tPvRmT3_T4_T5_T6_T7_T9_mT8_P12ihipStream_tbDpT10_ENKUlT_T0_E_clISt17integral_constantIbLb0EES15_IbLb1EEEEDaS11_S12_EUlS11_E_NS1_11comp_targetILNS1_3genE4ELNS1_11target_archE910ELNS1_3gpuE8ELNS1_3repE0EEENS1_30default_config_static_selectorELNS0_4arch9wavefront6targetE1EEEvT1_.num_named_barrier, 0
	.set _ZN7rocprim17ROCPRIM_400000_NS6detail17trampoline_kernelINS0_14default_configENS1_25partition_config_selectorILNS1_17partition_subalgoE5ElNS0_10empty_typeEbEEZZNS1_14partition_implILS5_5ELb0ES3_mN6hipcub16HIPCUB_304000_NS21CountingInputIteratorIllEEPS6_NSA_22TransformInputIteratorIb7NonZeroIaEPalEENS0_5tupleIJPlS6_EEENSJ_IJSD_SD_EEES6_SK_JS6_EEE10hipError_tPvRmT3_T4_T5_T6_T7_T9_mT8_P12ihipStream_tbDpT10_ENKUlT_T0_E_clISt17integral_constantIbLb0EES15_IbLb1EEEEDaS11_S12_EUlS11_E_NS1_11comp_targetILNS1_3genE4ELNS1_11target_archE910ELNS1_3gpuE8ELNS1_3repE0EEENS1_30default_config_static_selectorELNS0_4arch9wavefront6targetE1EEEvT1_.private_seg_size, 0
	.set _ZN7rocprim17ROCPRIM_400000_NS6detail17trampoline_kernelINS0_14default_configENS1_25partition_config_selectorILNS1_17partition_subalgoE5ElNS0_10empty_typeEbEEZZNS1_14partition_implILS5_5ELb0ES3_mN6hipcub16HIPCUB_304000_NS21CountingInputIteratorIllEEPS6_NSA_22TransformInputIteratorIb7NonZeroIaEPalEENS0_5tupleIJPlS6_EEENSJ_IJSD_SD_EEES6_SK_JS6_EEE10hipError_tPvRmT3_T4_T5_T6_T7_T9_mT8_P12ihipStream_tbDpT10_ENKUlT_T0_E_clISt17integral_constantIbLb0EES15_IbLb1EEEEDaS11_S12_EUlS11_E_NS1_11comp_targetILNS1_3genE4ELNS1_11target_archE910ELNS1_3gpuE8ELNS1_3repE0EEENS1_30default_config_static_selectorELNS0_4arch9wavefront6targetE1EEEvT1_.uses_vcc, 0
	.set _ZN7rocprim17ROCPRIM_400000_NS6detail17trampoline_kernelINS0_14default_configENS1_25partition_config_selectorILNS1_17partition_subalgoE5ElNS0_10empty_typeEbEEZZNS1_14partition_implILS5_5ELb0ES3_mN6hipcub16HIPCUB_304000_NS21CountingInputIteratorIllEEPS6_NSA_22TransformInputIteratorIb7NonZeroIaEPalEENS0_5tupleIJPlS6_EEENSJ_IJSD_SD_EEES6_SK_JS6_EEE10hipError_tPvRmT3_T4_T5_T6_T7_T9_mT8_P12ihipStream_tbDpT10_ENKUlT_T0_E_clISt17integral_constantIbLb0EES15_IbLb1EEEEDaS11_S12_EUlS11_E_NS1_11comp_targetILNS1_3genE4ELNS1_11target_archE910ELNS1_3gpuE8ELNS1_3repE0EEENS1_30default_config_static_selectorELNS0_4arch9wavefront6targetE1EEEvT1_.uses_flat_scratch, 0
	.set _ZN7rocprim17ROCPRIM_400000_NS6detail17trampoline_kernelINS0_14default_configENS1_25partition_config_selectorILNS1_17partition_subalgoE5ElNS0_10empty_typeEbEEZZNS1_14partition_implILS5_5ELb0ES3_mN6hipcub16HIPCUB_304000_NS21CountingInputIteratorIllEEPS6_NSA_22TransformInputIteratorIb7NonZeroIaEPalEENS0_5tupleIJPlS6_EEENSJ_IJSD_SD_EEES6_SK_JS6_EEE10hipError_tPvRmT3_T4_T5_T6_T7_T9_mT8_P12ihipStream_tbDpT10_ENKUlT_T0_E_clISt17integral_constantIbLb0EES15_IbLb1EEEEDaS11_S12_EUlS11_E_NS1_11comp_targetILNS1_3genE4ELNS1_11target_archE910ELNS1_3gpuE8ELNS1_3repE0EEENS1_30default_config_static_selectorELNS0_4arch9wavefront6targetE1EEEvT1_.has_dyn_sized_stack, 0
	.set _ZN7rocprim17ROCPRIM_400000_NS6detail17trampoline_kernelINS0_14default_configENS1_25partition_config_selectorILNS1_17partition_subalgoE5ElNS0_10empty_typeEbEEZZNS1_14partition_implILS5_5ELb0ES3_mN6hipcub16HIPCUB_304000_NS21CountingInputIteratorIllEEPS6_NSA_22TransformInputIteratorIb7NonZeroIaEPalEENS0_5tupleIJPlS6_EEENSJ_IJSD_SD_EEES6_SK_JS6_EEE10hipError_tPvRmT3_T4_T5_T6_T7_T9_mT8_P12ihipStream_tbDpT10_ENKUlT_T0_E_clISt17integral_constantIbLb0EES15_IbLb1EEEEDaS11_S12_EUlS11_E_NS1_11comp_targetILNS1_3genE4ELNS1_11target_archE910ELNS1_3gpuE8ELNS1_3repE0EEENS1_30default_config_static_selectorELNS0_4arch9wavefront6targetE1EEEvT1_.has_recursion, 0
	.set _ZN7rocprim17ROCPRIM_400000_NS6detail17trampoline_kernelINS0_14default_configENS1_25partition_config_selectorILNS1_17partition_subalgoE5ElNS0_10empty_typeEbEEZZNS1_14partition_implILS5_5ELb0ES3_mN6hipcub16HIPCUB_304000_NS21CountingInputIteratorIllEEPS6_NSA_22TransformInputIteratorIb7NonZeroIaEPalEENS0_5tupleIJPlS6_EEENSJ_IJSD_SD_EEES6_SK_JS6_EEE10hipError_tPvRmT3_T4_T5_T6_T7_T9_mT8_P12ihipStream_tbDpT10_ENKUlT_T0_E_clISt17integral_constantIbLb0EES15_IbLb1EEEEDaS11_S12_EUlS11_E_NS1_11comp_targetILNS1_3genE4ELNS1_11target_archE910ELNS1_3gpuE8ELNS1_3repE0EEENS1_30default_config_static_selectorELNS0_4arch9wavefront6targetE1EEEvT1_.has_indirect_call, 0
	.section	.AMDGPU.csdata,"",@progbits
; Kernel info:
; codeLenInByte = 0
; TotalNumSgprs: 4
; NumVgprs: 0
; ScratchSize: 0
; MemoryBound: 0
; FloatMode: 240
; IeeeMode: 1
; LDSByteSize: 0 bytes/workgroup (compile time only)
; SGPRBlocks: 0
; VGPRBlocks: 0
; NumSGPRsForWavesPerEU: 4
; NumVGPRsForWavesPerEU: 1
; Occupancy: 10
; WaveLimiterHint : 0
; COMPUTE_PGM_RSRC2:SCRATCH_EN: 0
; COMPUTE_PGM_RSRC2:USER_SGPR: 6
; COMPUTE_PGM_RSRC2:TRAP_HANDLER: 0
; COMPUTE_PGM_RSRC2:TGID_X_EN: 1
; COMPUTE_PGM_RSRC2:TGID_Y_EN: 0
; COMPUTE_PGM_RSRC2:TGID_Z_EN: 0
; COMPUTE_PGM_RSRC2:TIDIG_COMP_CNT: 0
	.section	.text._ZN7rocprim17ROCPRIM_400000_NS6detail17trampoline_kernelINS0_14default_configENS1_25partition_config_selectorILNS1_17partition_subalgoE5ElNS0_10empty_typeEbEEZZNS1_14partition_implILS5_5ELb0ES3_mN6hipcub16HIPCUB_304000_NS21CountingInputIteratorIllEEPS6_NSA_22TransformInputIteratorIb7NonZeroIaEPalEENS0_5tupleIJPlS6_EEENSJ_IJSD_SD_EEES6_SK_JS6_EEE10hipError_tPvRmT3_T4_T5_T6_T7_T9_mT8_P12ihipStream_tbDpT10_ENKUlT_T0_E_clISt17integral_constantIbLb0EES15_IbLb1EEEEDaS11_S12_EUlS11_E_NS1_11comp_targetILNS1_3genE3ELNS1_11target_archE908ELNS1_3gpuE7ELNS1_3repE0EEENS1_30default_config_static_selectorELNS0_4arch9wavefront6targetE1EEEvT1_,"axG",@progbits,_ZN7rocprim17ROCPRIM_400000_NS6detail17trampoline_kernelINS0_14default_configENS1_25partition_config_selectorILNS1_17partition_subalgoE5ElNS0_10empty_typeEbEEZZNS1_14partition_implILS5_5ELb0ES3_mN6hipcub16HIPCUB_304000_NS21CountingInputIteratorIllEEPS6_NSA_22TransformInputIteratorIb7NonZeroIaEPalEENS0_5tupleIJPlS6_EEENSJ_IJSD_SD_EEES6_SK_JS6_EEE10hipError_tPvRmT3_T4_T5_T6_T7_T9_mT8_P12ihipStream_tbDpT10_ENKUlT_T0_E_clISt17integral_constantIbLb0EES15_IbLb1EEEEDaS11_S12_EUlS11_E_NS1_11comp_targetILNS1_3genE3ELNS1_11target_archE908ELNS1_3gpuE7ELNS1_3repE0EEENS1_30default_config_static_selectorELNS0_4arch9wavefront6targetE1EEEvT1_,comdat
	.protected	_ZN7rocprim17ROCPRIM_400000_NS6detail17trampoline_kernelINS0_14default_configENS1_25partition_config_selectorILNS1_17partition_subalgoE5ElNS0_10empty_typeEbEEZZNS1_14partition_implILS5_5ELb0ES3_mN6hipcub16HIPCUB_304000_NS21CountingInputIteratorIllEEPS6_NSA_22TransformInputIteratorIb7NonZeroIaEPalEENS0_5tupleIJPlS6_EEENSJ_IJSD_SD_EEES6_SK_JS6_EEE10hipError_tPvRmT3_T4_T5_T6_T7_T9_mT8_P12ihipStream_tbDpT10_ENKUlT_T0_E_clISt17integral_constantIbLb0EES15_IbLb1EEEEDaS11_S12_EUlS11_E_NS1_11comp_targetILNS1_3genE3ELNS1_11target_archE908ELNS1_3gpuE7ELNS1_3repE0EEENS1_30default_config_static_selectorELNS0_4arch9wavefront6targetE1EEEvT1_ ; -- Begin function _ZN7rocprim17ROCPRIM_400000_NS6detail17trampoline_kernelINS0_14default_configENS1_25partition_config_selectorILNS1_17partition_subalgoE5ElNS0_10empty_typeEbEEZZNS1_14partition_implILS5_5ELb0ES3_mN6hipcub16HIPCUB_304000_NS21CountingInputIteratorIllEEPS6_NSA_22TransformInputIteratorIb7NonZeroIaEPalEENS0_5tupleIJPlS6_EEENSJ_IJSD_SD_EEES6_SK_JS6_EEE10hipError_tPvRmT3_T4_T5_T6_T7_T9_mT8_P12ihipStream_tbDpT10_ENKUlT_T0_E_clISt17integral_constantIbLb0EES15_IbLb1EEEEDaS11_S12_EUlS11_E_NS1_11comp_targetILNS1_3genE3ELNS1_11target_archE908ELNS1_3gpuE7ELNS1_3repE0EEENS1_30default_config_static_selectorELNS0_4arch9wavefront6targetE1EEEvT1_
	.globl	_ZN7rocprim17ROCPRIM_400000_NS6detail17trampoline_kernelINS0_14default_configENS1_25partition_config_selectorILNS1_17partition_subalgoE5ElNS0_10empty_typeEbEEZZNS1_14partition_implILS5_5ELb0ES3_mN6hipcub16HIPCUB_304000_NS21CountingInputIteratorIllEEPS6_NSA_22TransformInputIteratorIb7NonZeroIaEPalEENS0_5tupleIJPlS6_EEENSJ_IJSD_SD_EEES6_SK_JS6_EEE10hipError_tPvRmT3_T4_T5_T6_T7_T9_mT8_P12ihipStream_tbDpT10_ENKUlT_T0_E_clISt17integral_constantIbLb0EES15_IbLb1EEEEDaS11_S12_EUlS11_E_NS1_11comp_targetILNS1_3genE3ELNS1_11target_archE908ELNS1_3gpuE7ELNS1_3repE0EEENS1_30default_config_static_selectorELNS0_4arch9wavefront6targetE1EEEvT1_
	.p2align	8
	.type	_ZN7rocprim17ROCPRIM_400000_NS6detail17trampoline_kernelINS0_14default_configENS1_25partition_config_selectorILNS1_17partition_subalgoE5ElNS0_10empty_typeEbEEZZNS1_14partition_implILS5_5ELb0ES3_mN6hipcub16HIPCUB_304000_NS21CountingInputIteratorIllEEPS6_NSA_22TransformInputIteratorIb7NonZeroIaEPalEENS0_5tupleIJPlS6_EEENSJ_IJSD_SD_EEES6_SK_JS6_EEE10hipError_tPvRmT3_T4_T5_T6_T7_T9_mT8_P12ihipStream_tbDpT10_ENKUlT_T0_E_clISt17integral_constantIbLb0EES15_IbLb1EEEEDaS11_S12_EUlS11_E_NS1_11comp_targetILNS1_3genE3ELNS1_11target_archE908ELNS1_3gpuE7ELNS1_3repE0EEENS1_30default_config_static_selectorELNS0_4arch9wavefront6targetE1EEEvT1_,@function
_ZN7rocprim17ROCPRIM_400000_NS6detail17trampoline_kernelINS0_14default_configENS1_25partition_config_selectorILNS1_17partition_subalgoE5ElNS0_10empty_typeEbEEZZNS1_14partition_implILS5_5ELb0ES3_mN6hipcub16HIPCUB_304000_NS21CountingInputIteratorIllEEPS6_NSA_22TransformInputIteratorIb7NonZeroIaEPalEENS0_5tupleIJPlS6_EEENSJ_IJSD_SD_EEES6_SK_JS6_EEE10hipError_tPvRmT3_T4_T5_T6_T7_T9_mT8_P12ihipStream_tbDpT10_ENKUlT_T0_E_clISt17integral_constantIbLb0EES15_IbLb1EEEEDaS11_S12_EUlS11_E_NS1_11comp_targetILNS1_3genE3ELNS1_11target_archE908ELNS1_3gpuE7ELNS1_3repE0EEENS1_30default_config_static_selectorELNS0_4arch9wavefront6targetE1EEEvT1_: ; @_ZN7rocprim17ROCPRIM_400000_NS6detail17trampoline_kernelINS0_14default_configENS1_25partition_config_selectorILNS1_17partition_subalgoE5ElNS0_10empty_typeEbEEZZNS1_14partition_implILS5_5ELb0ES3_mN6hipcub16HIPCUB_304000_NS21CountingInputIteratorIllEEPS6_NSA_22TransformInputIteratorIb7NonZeroIaEPalEENS0_5tupleIJPlS6_EEENSJ_IJSD_SD_EEES6_SK_JS6_EEE10hipError_tPvRmT3_T4_T5_T6_T7_T9_mT8_P12ihipStream_tbDpT10_ENKUlT_T0_E_clISt17integral_constantIbLb0EES15_IbLb1EEEEDaS11_S12_EUlS11_E_NS1_11comp_targetILNS1_3genE3ELNS1_11target_archE908ELNS1_3gpuE7ELNS1_3repE0EEENS1_30default_config_static_selectorELNS0_4arch9wavefront6targetE1EEEvT1_
; %bb.0:
	.section	.rodata,"a",@progbits
	.p2align	6, 0x0
	.amdhsa_kernel _ZN7rocprim17ROCPRIM_400000_NS6detail17trampoline_kernelINS0_14default_configENS1_25partition_config_selectorILNS1_17partition_subalgoE5ElNS0_10empty_typeEbEEZZNS1_14partition_implILS5_5ELb0ES3_mN6hipcub16HIPCUB_304000_NS21CountingInputIteratorIllEEPS6_NSA_22TransformInputIteratorIb7NonZeroIaEPalEENS0_5tupleIJPlS6_EEENSJ_IJSD_SD_EEES6_SK_JS6_EEE10hipError_tPvRmT3_T4_T5_T6_T7_T9_mT8_P12ihipStream_tbDpT10_ENKUlT_T0_E_clISt17integral_constantIbLb0EES15_IbLb1EEEEDaS11_S12_EUlS11_E_NS1_11comp_targetILNS1_3genE3ELNS1_11target_archE908ELNS1_3gpuE7ELNS1_3repE0EEENS1_30default_config_static_selectorELNS0_4arch9wavefront6targetE1EEEvT1_
		.amdhsa_group_segment_fixed_size 0
		.amdhsa_private_segment_fixed_size 0
		.amdhsa_kernarg_size 136
		.amdhsa_user_sgpr_count 6
		.amdhsa_user_sgpr_private_segment_buffer 1
		.amdhsa_user_sgpr_dispatch_ptr 0
		.amdhsa_user_sgpr_queue_ptr 0
		.amdhsa_user_sgpr_kernarg_segment_ptr 1
		.amdhsa_user_sgpr_dispatch_id 0
		.amdhsa_user_sgpr_flat_scratch_init 0
		.amdhsa_user_sgpr_private_segment_size 0
		.amdhsa_uses_dynamic_stack 0
		.amdhsa_system_sgpr_private_segment_wavefront_offset 0
		.amdhsa_system_sgpr_workgroup_id_x 1
		.amdhsa_system_sgpr_workgroup_id_y 0
		.amdhsa_system_sgpr_workgroup_id_z 0
		.amdhsa_system_sgpr_workgroup_info 0
		.amdhsa_system_vgpr_workitem_id 0
		.amdhsa_next_free_vgpr 1
		.amdhsa_next_free_sgpr 0
		.amdhsa_reserve_vcc 0
		.amdhsa_reserve_flat_scratch 0
		.amdhsa_float_round_mode_32 0
		.amdhsa_float_round_mode_16_64 0
		.amdhsa_float_denorm_mode_32 3
		.amdhsa_float_denorm_mode_16_64 3
		.amdhsa_dx10_clamp 1
		.amdhsa_ieee_mode 1
		.amdhsa_fp16_overflow 0
		.amdhsa_exception_fp_ieee_invalid_op 0
		.amdhsa_exception_fp_denorm_src 0
		.amdhsa_exception_fp_ieee_div_zero 0
		.amdhsa_exception_fp_ieee_overflow 0
		.amdhsa_exception_fp_ieee_underflow 0
		.amdhsa_exception_fp_ieee_inexact 0
		.amdhsa_exception_int_div_zero 0
	.end_amdhsa_kernel
	.section	.text._ZN7rocprim17ROCPRIM_400000_NS6detail17trampoline_kernelINS0_14default_configENS1_25partition_config_selectorILNS1_17partition_subalgoE5ElNS0_10empty_typeEbEEZZNS1_14partition_implILS5_5ELb0ES3_mN6hipcub16HIPCUB_304000_NS21CountingInputIteratorIllEEPS6_NSA_22TransformInputIteratorIb7NonZeroIaEPalEENS0_5tupleIJPlS6_EEENSJ_IJSD_SD_EEES6_SK_JS6_EEE10hipError_tPvRmT3_T4_T5_T6_T7_T9_mT8_P12ihipStream_tbDpT10_ENKUlT_T0_E_clISt17integral_constantIbLb0EES15_IbLb1EEEEDaS11_S12_EUlS11_E_NS1_11comp_targetILNS1_3genE3ELNS1_11target_archE908ELNS1_3gpuE7ELNS1_3repE0EEENS1_30default_config_static_selectorELNS0_4arch9wavefront6targetE1EEEvT1_,"axG",@progbits,_ZN7rocprim17ROCPRIM_400000_NS6detail17trampoline_kernelINS0_14default_configENS1_25partition_config_selectorILNS1_17partition_subalgoE5ElNS0_10empty_typeEbEEZZNS1_14partition_implILS5_5ELb0ES3_mN6hipcub16HIPCUB_304000_NS21CountingInputIteratorIllEEPS6_NSA_22TransformInputIteratorIb7NonZeroIaEPalEENS0_5tupleIJPlS6_EEENSJ_IJSD_SD_EEES6_SK_JS6_EEE10hipError_tPvRmT3_T4_T5_T6_T7_T9_mT8_P12ihipStream_tbDpT10_ENKUlT_T0_E_clISt17integral_constantIbLb0EES15_IbLb1EEEEDaS11_S12_EUlS11_E_NS1_11comp_targetILNS1_3genE3ELNS1_11target_archE908ELNS1_3gpuE7ELNS1_3repE0EEENS1_30default_config_static_selectorELNS0_4arch9wavefront6targetE1EEEvT1_,comdat
.Lfunc_end75:
	.size	_ZN7rocprim17ROCPRIM_400000_NS6detail17trampoline_kernelINS0_14default_configENS1_25partition_config_selectorILNS1_17partition_subalgoE5ElNS0_10empty_typeEbEEZZNS1_14partition_implILS5_5ELb0ES3_mN6hipcub16HIPCUB_304000_NS21CountingInputIteratorIllEEPS6_NSA_22TransformInputIteratorIb7NonZeroIaEPalEENS0_5tupleIJPlS6_EEENSJ_IJSD_SD_EEES6_SK_JS6_EEE10hipError_tPvRmT3_T4_T5_T6_T7_T9_mT8_P12ihipStream_tbDpT10_ENKUlT_T0_E_clISt17integral_constantIbLb0EES15_IbLb1EEEEDaS11_S12_EUlS11_E_NS1_11comp_targetILNS1_3genE3ELNS1_11target_archE908ELNS1_3gpuE7ELNS1_3repE0EEENS1_30default_config_static_selectorELNS0_4arch9wavefront6targetE1EEEvT1_, .Lfunc_end75-_ZN7rocprim17ROCPRIM_400000_NS6detail17trampoline_kernelINS0_14default_configENS1_25partition_config_selectorILNS1_17partition_subalgoE5ElNS0_10empty_typeEbEEZZNS1_14partition_implILS5_5ELb0ES3_mN6hipcub16HIPCUB_304000_NS21CountingInputIteratorIllEEPS6_NSA_22TransformInputIteratorIb7NonZeroIaEPalEENS0_5tupleIJPlS6_EEENSJ_IJSD_SD_EEES6_SK_JS6_EEE10hipError_tPvRmT3_T4_T5_T6_T7_T9_mT8_P12ihipStream_tbDpT10_ENKUlT_T0_E_clISt17integral_constantIbLb0EES15_IbLb1EEEEDaS11_S12_EUlS11_E_NS1_11comp_targetILNS1_3genE3ELNS1_11target_archE908ELNS1_3gpuE7ELNS1_3repE0EEENS1_30default_config_static_selectorELNS0_4arch9wavefront6targetE1EEEvT1_
                                        ; -- End function
	.set _ZN7rocprim17ROCPRIM_400000_NS6detail17trampoline_kernelINS0_14default_configENS1_25partition_config_selectorILNS1_17partition_subalgoE5ElNS0_10empty_typeEbEEZZNS1_14partition_implILS5_5ELb0ES3_mN6hipcub16HIPCUB_304000_NS21CountingInputIteratorIllEEPS6_NSA_22TransformInputIteratorIb7NonZeroIaEPalEENS0_5tupleIJPlS6_EEENSJ_IJSD_SD_EEES6_SK_JS6_EEE10hipError_tPvRmT3_T4_T5_T6_T7_T9_mT8_P12ihipStream_tbDpT10_ENKUlT_T0_E_clISt17integral_constantIbLb0EES15_IbLb1EEEEDaS11_S12_EUlS11_E_NS1_11comp_targetILNS1_3genE3ELNS1_11target_archE908ELNS1_3gpuE7ELNS1_3repE0EEENS1_30default_config_static_selectorELNS0_4arch9wavefront6targetE1EEEvT1_.num_vgpr, 0
	.set _ZN7rocprim17ROCPRIM_400000_NS6detail17trampoline_kernelINS0_14default_configENS1_25partition_config_selectorILNS1_17partition_subalgoE5ElNS0_10empty_typeEbEEZZNS1_14partition_implILS5_5ELb0ES3_mN6hipcub16HIPCUB_304000_NS21CountingInputIteratorIllEEPS6_NSA_22TransformInputIteratorIb7NonZeroIaEPalEENS0_5tupleIJPlS6_EEENSJ_IJSD_SD_EEES6_SK_JS6_EEE10hipError_tPvRmT3_T4_T5_T6_T7_T9_mT8_P12ihipStream_tbDpT10_ENKUlT_T0_E_clISt17integral_constantIbLb0EES15_IbLb1EEEEDaS11_S12_EUlS11_E_NS1_11comp_targetILNS1_3genE3ELNS1_11target_archE908ELNS1_3gpuE7ELNS1_3repE0EEENS1_30default_config_static_selectorELNS0_4arch9wavefront6targetE1EEEvT1_.num_agpr, 0
	.set _ZN7rocprim17ROCPRIM_400000_NS6detail17trampoline_kernelINS0_14default_configENS1_25partition_config_selectorILNS1_17partition_subalgoE5ElNS0_10empty_typeEbEEZZNS1_14partition_implILS5_5ELb0ES3_mN6hipcub16HIPCUB_304000_NS21CountingInputIteratorIllEEPS6_NSA_22TransformInputIteratorIb7NonZeroIaEPalEENS0_5tupleIJPlS6_EEENSJ_IJSD_SD_EEES6_SK_JS6_EEE10hipError_tPvRmT3_T4_T5_T6_T7_T9_mT8_P12ihipStream_tbDpT10_ENKUlT_T0_E_clISt17integral_constantIbLb0EES15_IbLb1EEEEDaS11_S12_EUlS11_E_NS1_11comp_targetILNS1_3genE3ELNS1_11target_archE908ELNS1_3gpuE7ELNS1_3repE0EEENS1_30default_config_static_selectorELNS0_4arch9wavefront6targetE1EEEvT1_.numbered_sgpr, 0
	.set _ZN7rocprim17ROCPRIM_400000_NS6detail17trampoline_kernelINS0_14default_configENS1_25partition_config_selectorILNS1_17partition_subalgoE5ElNS0_10empty_typeEbEEZZNS1_14partition_implILS5_5ELb0ES3_mN6hipcub16HIPCUB_304000_NS21CountingInputIteratorIllEEPS6_NSA_22TransformInputIteratorIb7NonZeroIaEPalEENS0_5tupleIJPlS6_EEENSJ_IJSD_SD_EEES6_SK_JS6_EEE10hipError_tPvRmT3_T4_T5_T6_T7_T9_mT8_P12ihipStream_tbDpT10_ENKUlT_T0_E_clISt17integral_constantIbLb0EES15_IbLb1EEEEDaS11_S12_EUlS11_E_NS1_11comp_targetILNS1_3genE3ELNS1_11target_archE908ELNS1_3gpuE7ELNS1_3repE0EEENS1_30default_config_static_selectorELNS0_4arch9wavefront6targetE1EEEvT1_.num_named_barrier, 0
	.set _ZN7rocprim17ROCPRIM_400000_NS6detail17trampoline_kernelINS0_14default_configENS1_25partition_config_selectorILNS1_17partition_subalgoE5ElNS0_10empty_typeEbEEZZNS1_14partition_implILS5_5ELb0ES3_mN6hipcub16HIPCUB_304000_NS21CountingInputIteratorIllEEPS6_NSA_22TransformInputIteratorIb7NonZeroIaEPalEENS0_5tupleIJPlS6_EEENSJ_IJSD_SD_EEES6_SK_JS6_EEE10hipError_tPvRmT3_T4_T5_T6_T7_T9_mT8_P12ihipStream_tbDpT10_ENKUlT_T0_E_clISt17integral_constantIbLb0EES15_IbLb1EEEEDaS11_S12_EUlS11_E_NS1_11comp_targetILNS1_3genE3ELNS1_11target_archE908ELNS1_3gpuE7ELNS1_3repE0EEENS1_30default_config_static_selectorELNS0_4arch9wavefront6targetE1EEEvT1_.private_seg_size, 0
	.set _ZN7rocprim17ROCPRIM_400000_NS6detail17trampoline_kernelINS0_14default_configENS1_25partition_config_selectorILNS1_17partition_subalgoE5ElNS0_10empty_typeEbEEZZNS1_14partition_implILS5_5ELb0ES3_mN6hipcub16HIPCUB_304000_NS21CountingInputIteratorIllEEPS6_NSA_22TransformInputIteratorIb7NonZeroIaEPalEENS0_5tupleIJPlS6_EEENSJ_IJSD_SD_EEES6_SK_JS6_EEE10hipError_tPvRmT3_T4_T5_T6_T7_T9_mT8_P12ihipStream_tbDpT10_ENKUlT_T0_E_clISt17integral_constantIbLb0EES15_IbLb1EEEEDaS11_S12_EUlS11_E_NS1_11comp_targetILNS1_3genE3ELNS1_11target_archE908ELNS1_3gpuE7ELNS1_3repE0EEENS1_30default_config_static_selectorELNS0_4arch9wavefront6targetE1EEEvT1_.uses_vcc, 0
	.set _ZN7rocprim17ROCPRIM_400000_NS6detail17trampoline_kernelINS0_14default_configENS1_25partition_config_selectorILNS1_17partition_subalgoE5ElNS0_10empty_typeEbEEZZNS1_14partition_implILS5_5ELb0ES3_mN6hipcub16HIPCUB_304000_NS21CountingInputIteratorIllEEPS6_NSA_22TransformInputIteratorIb7NonZeroIaEPalEENS0_5tupleIJPlS6_EEENSJ_IJSD_SD_EEES6_SK_JS6_EEE10hipError_tPvRmT3_T4_T5_T6_T7_T9_mT8_P12ihipStream_tbDpT10_ENKUlT_T0_E_clISt17integral_constantIbLb0EES15_IbLb1EEEEDaS11_S12_EUlS11_E_NS1_11comp_targetILNS1_3genE3ELNS1_11target_archE908ELNS1_3gpuE7ELNS1_3repE0EEENS1_30default_config_static_selectorELNS0_4arch9wavefront6targetE1EEEvT1_.uses_flat_scratch, 0
	.set _ZN7rocprim17ROCPRIM_400000_NS6detail17trampoline_kernelINS0_14default_configENS1_25partition_config_selectorILNS1_17partition_subalgoE5ElNS0_10empty_typeEbEEZZNS1_14partition_implILS5_5ELb0ES3_mN6hipcub16HIPCUB_304000_NS21CountingInputIteratorIllEEPS6_NSA_22TransformInputIteratorIb7NonZeroIaEPalEENS0_5tupleIJPlS6_EEENSJ_IJSD_SD_EEES6_SK_JS6_EEE10hipError_tPvRmT3_T4_T5_T6_T7_T9_mT8_P12ihipStream_tbDpT10_ENKUlT_T0_E_clISt17integral_constantIbLb0EES15_IbLb1EEEEDaS11_S12_EUlS11_E_NS1_11comp_targetILNS1_3genE3ELNS1_11target_archE908ELNS1_3gpuE7ELNS1_3repE0EEENS1_30default_config_static_selectorELNS0_4arch9wavefront6targetE1EEEvT1_.has_dyn_sized_stack, 0
	.set _ZN7rocprim17ROCPRIM_400000_NS6detail17trampoline_kernelINS0_14default_configENS1_25partition_config_selectorILNS1_17partition_subalgoE5ElNS0_10empty_typeEbEEZZNS1_14partition_implILS5_5ELb0ES3_mN6hipcub16HIPCUB_304000_NS21CountingInputIteratorIllEEPS6_NSA_22TransformInputIteratorIb7NonZeroIaEPalEENS0_5tupleIJPlS6_EEENSJ_IJSD_SD_EEES6_SK_JS6_EEE10hipError_tPvRmT3_T4_T5_T6_T7_T9_mT8_P12ihipStream_tbDpT10_ENKUlT_T0_E_clISt17integral_constantIbLb0EES15_IbLb1EEEEDaS11_S12_EUlS11_E_NS1_11comp_targetILNS1_3genE3ELNS1_11target_archE908ELNS1_3gpuE7ELNS1_3repE0EEENS1_30default_config_static_selectorELNS0_4arch9wavefront6targetE1EEEvT1_.has_recursion, 0
	.set _ZN7rocprim17ROCPRIM_400000_NS6detail17trampoline_kernelINS0_14default_configENS1_25partition_config_selectorILNS1_17partition_subalgoE5ElNS0_10empty_typeEbEEZZNS1_14partition_implILS5_5ELb0ES3_mN6hipcub16HIPCUB_304000_NS21CountingInputIteratorIllEEPS6_NSA_22TransformInputIteratorIb7NonZeroIaEPalEENS0_5tupleIJPlS6_EEENSJ_IJSD_SD_EEES6_SK_JS6_EEE10hipError_tPvRmT3_T4_T5_T6_T7_T9_mT8_P12ihipStream_tbDpT10_ENKUlT_T0_E_clISt17integral_constantIbLb0EES15_IbLb1EEEEDaS11_S12_EUlS11_E_NS1_11comp_targetILNS1_3genE3ELNS1_11target_archE908ELNS1_3gpuE7ELNS1_3repE0EEENS1_30default_config_static_selectorELNS0_4arch9wavefront6targetE1EEEvT1_.has_indirect_call, 0
	.section	.AMDGPU.csdata,"",@progbits
; Kernel info:
; codeLenInByte = 0
; TotalNumSgprs: 4
; NumVgprs: 0
; ScratchSize: 0
; MemoryBound: 0
; FloatMode: 240
; IeeeMode: 1
; LDSByteSize: 0 bytes/workgroup (compile time only)
; SGPRBlocks: 0
; VGPRBlocks: 0
; NumSGPRsForWavesPerEU: 4
; NumVGPRsForWavesPerEU: 1
; Occupancy: 10
; WaveLimiterHint : 0
; COMPUTE_PGM_RSRC2:SCRATCH_EN: 0
; COMPUTE_PGM_RSRC2:USER_SGPR: 6
; COMPUTE_PGM_RSRC2:TRAP_HANDLER: 0
; COMPUTE_PGM_RSRC2:TGID_X_EN: 1
; COMPUTE_PGM_RSRC2:TGID_Y_EN: 0
; COMPUTE_PGM_RSRC2:TGID_Z_EN: 0
; COMPUTE_PGM_RSRC2:TIDIG_COMP_CNT: 0
	.section	.text._ZN7rocprim17ROCPRIM_400000_NS6detail17trampoline_kernelINS0_14default_configENS1_25partition_config_selectorILNS1_17partition_subalgoE5ElNS0_10empty_typeEbEEZZNS1_14partition_implILS5_5ELb0ES3_mN6hipcub16HIPCUB_304000_NS21CountingInputIteratorIllEEPS6_NSA_22TransformInputIteratorIb7NonZeroIaEPalEENS0_5tupleIJPlS6_EEENSJ_IJSD_SD_EEES6_SK_JS6_EEE10hipError_tPvRmT3_T4_T5_T6_T7_T9_mT8_P12ihipStream_tbDpT10_ENKUlT_T0_E_clISt17integral_constantIbLb0EES15_IbLb1EEEEDaS11_S12_EUlS11_E_NS1_11comp_targetILNS1_3genE2ELNS1_11target_archE906ELNS1_3gpuE6ELNS1_3repE0EEENS1_30default_config_static_selectorELNS0_4arch9wavefront6targetE1EEEvT1_,"axG",@progbits,_ZN7rocprim17ROCPRIM_400000_NS6detail17trampoline_kernelINS0_14default_configENS1_25partition_config_selectorILNS1_17partition_subalgoE5ElNS0_10empty_typeEbEEZZNS1_14partition_implILS5_5ELb0ES3_mN6hipcub16HIPCUB_304000_NS21CountingInputIteratorIllEEPS6_NSA_22TransformInputIteratorIb7NonZeroIaEPalEENS0_5tupleIJPlS6_EEENSJ_IJSD_SD_EEES6_SK_JS6_EEE10hipError_tPvRmT3_T4_T5_T6_T7_T9_mT8_P12ihipStream_tbDpT10_ENKUlT_T0_E_clISt17integral_constantIbLb0EES15_IbLb1EEEEDaS11_S12_EUlS11_E_NS1_11comp_targetILNS1_3genE2ELNS1_11target_archE906ELNS1_3gpuE6ELNS1_3repE0EEENS1_30default_config_static_selectorELNS0_4arch9wavefront6targetE1EEEvT1_,comdat
	.protected	_ZN7rocprim17ROCPRIM_400000_NS6detail17trampoline_kernelINS0_14default_configENS1_25partition_config_selectorILNS1_17partition_subalgoE5ElNS0_10empty_typeEbEEZZNS1_14partition_implILS5_5ELb0ES3_mN6hipcub16HIPCUB_304000_NS21CountingInputIteratorIllEEPS6_NSA_22TransformInputIteratorIb7NonZeroIaEPalEENS0_5tupleIJPlS6_EEENSJ_IJSD_SD_EEES6_SK_JS6_EEE10hipError_tPvRmT3_T4_T5_T6_T7_T9_mT8_P12ihipStream_tbDpT10_ENKUlT_T0_E_clISt17integral_constantIbLb0EES15_IbLb1EEEEDaS11_S12_EUlS11_E_NS1_11comp_targetILNS1_3genE2ELNS1_11target_archE906ELNS1_3gpuE6ELNS1_3repE0EEENS1_30default_config_static_selectorELNS0_4arch9wavefront6targetE1EEEvT1_ ; -- Begin function _ZN7rocprim17ROCPRIM_400000_NS6detail17trampoline_kernelINS0_14default_configENS1_25partition_config_selectorILNS1_17partition_subalgoE5ElNS0_10empty_typeEbEEZZNS1_14partition_implILS5_5ELb0ES3_mN6hipcub16HIPCUB_304000_NS21CountingInputIteratorIllEEPS6_NSA_22TransformInputIteratorIb7NonZeroIaEPalEENS0_5tupleIJPlS6_EEENSJ_IJSD_SD_EEES6_SK_JS6_EEE10hipError_tPvRmT3_T4_T5_T6_T7_T9_mT8_P12ihipStream_tbDpT10_ENKUlT_T0_E_clISt17integral_constantIbLb0EES15_IbLb1EEEEDaS11_S12_EUlS11_E_NS1_11comp_targetILNS1_3genE2ELNS1_11target_archE906ELNS1_3gpuE6ELNS1_3repE0EEENS1_30default_config_static_selectorELNS0_4arch9wavefront6targetE1EEEvT1_
	.globl	_ZN7rocprim17ROCPRIM_400000_NS6detail17trampoline_kernelINS0_14default_configENS1_25partition_config_selectorILNS1_17partition_subalgoE5ElNS0_10empty_typeEbEEZZNS1_14partition_implILS5_5ELb0ES3_mN6hipcub16HIPCUB_304000_NS21CountingInputIteratorIllEEPS6_NSA_22TransformInputIteratorIb7NonZeroIaEPalEENS0_5tupleIJPlS6_EEENSJ_IJSD_SD_EEES6_SK_JS6_EEE10hipError_tPvRmT3_T4_T5_T6_T7_T9_mT8_P12ihipStream_tbDpT10_ENKUlT_T0_E_clISt17integral_constantIbLb0EES15_IbLb1EEEEDaS11_S12_EUlS11_E_NS1_11comp_targetILNS1_3genE2ELNS1_11target_archE906ELNS1_3gpuE6ELNS1_3repE0EEENS1_30default_config_static_selectorELNS0_4arch9wavefront6targetE1EEEvT1_
	.p2align	8
	.type	_ZN7rocprim17ROCPRIM_400000_NS6detail17trampoline_kernelINS0_14default_configENS1_25partition_config_selectorILNS1_17partition_subalgoE5ElNS0_10empty_typeEbEEZZNS1_14partition_implILS5_5ELb0ES3_mN6hipcub16HIPCUB_304000_NS21CountingInputIteratorIllEEPS6_NSA_22TransformInputIteratorIb7NonZeroIaEPalEENS0_5tupleIJPlS6_EEENSJ_IJSD_SD_EEES6_SK_JS6_EEE10hipError_tPvRmT3_T4_T5_T6_T7_T9_mT8_P12ihipStream_tbDpT10_ENKUlT_T0_E_clISt17integral_constantIbLb0EES15_IbLb1EEEEDaS11_S12_EUlS11_E_NS1_11comp_targetILNS1_3genE2ELNS1_11target_archE906ELNS1_3gpuE6ELNS1_3repE0EEENS1_30default_config_static_selectorELNS0_4arch9wavefront6targetE1EEEvT1_,@function
_ZN7rocprim17ROCPRIM_400000_NS6detail17trampoline_kernelINS0_14default_configENS1_25partition_config_selectorILNS1_17partition_subalgoE5ElNS0_10empty_typeEbEEZZNS1_14partition_implILS5_5ELb0ES3_mN6hipcub16HIPCUB_304000_NS21CountingInputIteratorIllEEPS6_NSA_22TransformInputIteratorIb7NonZeroIaEPalEENS0_5tupleIJPlS6_EEENSJ_IJSD_SD_EEES6_SK_JS6_EEE10hipError_tPvRmT3_T4_T5_T6_T7_T9_mT8_P12ihipStream_tbDpT10_ENKUlT_T0_E_clISt17integral_constantIbLb0EES15_IbLb1EEEEDaS11_S12_EUlS11_E_NS1_11comp_targetILNS1_3genE2ELNS1_11target_archE906ELNS1_3gpuE6ELNS1_3repE0EEENS1_30default_config_static_selectorELNS0_4arch9wavefront6targetE1EEEvT1_: ; @_ZN7rocprim17ROCPRIM_400000_NS6detail17trampoline_kernelINS0_14default_configENS1_25partition_config_selectorILNS1_17partition_subalgoE5ElNS0_10empty_typeEbEEZZNS1_14partition_implILS5_5ELb0ES3_mN6hipcub16HIPCUB_304000_NS21CountingInputIteratorIllEEPS6_NSA_22TransformInputIteratorIb7NonZeroIaEPalEENS0_5tupleIJPlS6_EEENSJ_IJSD_SD_EEES6_SK_JS6_EEE10hipError_tPvRmT3_T4_T5_T6_T7_T9_mT8_P12ihipStream_tbDpT10_ENKUlT_T0_E_clISt17integral_constantIbLb0EES15_IbLb1EEEEDaS11_S12_EUlS11_E_NS1_11comp_targetILNS1_3genE2ELNS1_11target_archE906ELNS1_3gpuE6ELNS1_3repE0EEENS1_30default_config_static_selectorELNS0_4arch9wavefront6targetE1EEEvT1_
; %bb.0:
	s_load_dwordx2 s[2:3], s[4:5], 0x20
	s_load_dwordx2 s[16:17], s[4:5], 0x30
	;; [unrolled: 1-line block ×3, first 2 shown]
	s_load_dwordx4 s[8:11], s[4:5], 0x48
	s_load_dwordx2 s[20:21], s[4:5], 0x68
	v_cmp_eq_u32_e64 s[0:1], 0, v0
	s_and_saveexec_b64 s[12:13], s[0:1]
	s_cbranch_execz .LBB76_4
; %bb.1:
	s_mov_b64 s[18:19], exec
	v_mbcnt_lo_u32_b32 v1, s18, 0
	v_mbcnt_hi_u32_b32 v1, s19, v1
	v_cmp_eq_u32_e32 vcc, 0, v1
                                        ; implicit-def: $vgpr2
	s_and_saveexec_b64 s[14:15], vcc
	s_cbranch_execz .LBB76_3
; %bb.2:
	s_load_dwordx2 s[22:23], s[4:5], 0x78
	s_bcnt1_i32_b64 s18, s[18:19]
	v_mov_b32_e32 v2, 0
	v_mov_b32_e32 v3, s18
	s_waitcnt lgkmcnt(0)
	global_atomic_add v2, v2, v3, s[22:23] glc
.LBB76_3:
	s_or_b64 exec, exec, s[14:15]
	s_waitcnt vmcnt(0)
	v_readfirstlane_b32 s14, v2
	v_add_u32_e32 v1, s14, v1
	v_mov_b32_e32 v2, 0
	ds_write_b32 v2, v1
.LBB76_4:
	s_or_b64 exec, exec, s[12:13]
	v_mov_b32_e32 v1, 0
	s_load_dwordx4 s[12:15], s[4:5], 0x8
	s_load_dword s18, s[4:5], 0x70
	s_waitcnt lgkmcnt(0)
	s_barrier
	ds_read_b32 v5, v1
	s_waitcnt lgkmcnt(0)
	s_barrier
	global_load_dwordx2 v[1:2], v1, s[10:11]
	s_add_u32 s23, s14, s12
	s_mul_i32 s22, s18, 0x700
	s_addc_u32 s25, s15, s13
	s_add_i32 s18, s18, -1
	s_add_u32 s10, s14, s22
	s_addc_u32 s11, s15, 0
	v_mov_b32_e32 v3, s10
	v_mov_b32_e32 v4, s11
	v_readfirstlane_b32 s24, v5
	v_cmp_le_u64_e32 vcc, s[6:7], v[3:4]
	s_cmp_eq_u32 s24, s18
	s_cselect_b64 s[12:13], -1, 0
	s_and_b64 s[10:11], vcc, s[12:13]
	s_xor_b64 s[18:19], s[10:11], -1
	s_mov_b64 s[4:5], -1
	s_mul_i32 s7, s24, 0x700
	s_and_b64 vcc, exec, s[18:19]
	s_waitcnt vmcnt(0)
	v_readfirstlane_b32 s10, v1
	v_readfirstlane_b32 s11, v2
	s_cbranch_vccz .LBB76_6
; %bb.5:
	s_add_u32 s4, s7, s23
	s_addc_u32 s5, 0, s25
	v_mov_b32_e32 v2, s5
	v_add_co_u32_e32 v1, vcc, s4, v0
	v_addc_co_u32_e32 v2, vcc, 0, v2, vcc
	v_add_co_u32_e32 v3, vcc, 0x100, v1
	v_addc_co_u32_e32 v4, vcc, 0, v2, vcc
	;; [unrolled: 2-line block ×6, first 2 shown]
	v_add_co_u32_e32 v13, vcc, 0x600, v1
	v_lshlrev_b32_e32 v15, 3, v0
	v_addc_co_u32_e32 v14, vcc, 0, v2, vcc
	ds_write2st64_b64 v15, v[1:2], v[3:4] offset1:4
	ds_write2st64_b64 v15, v[5:6], v[7:8] offset0:8 offset1:12
	ds_write2st64_b64 v15, v[9:10], v[11:12] offset0:16 offset1:20
	ds_write_b64 v15, v[13:14] offset:12288
	s_waitcnt lgkmcnt(0)
	s_barrier
	s_mov_b64 s[4:5], 0
.LBB76_6:
	s_andn2_b64 vcc, exec, s[4:5]
	s_cbranch_vccnz .LBB76_8
; %bb.7:
	s_add_u32 s4, s23, s7
	s_addc_u32 s5, s25, 0
	v_mov_b32_e32 v2, s5
	v_add_co_u32_e32 v1, vcc, s4, v0
	v_addc_co_u32_e32 v2, vcc, 0, v2, vcc
	v_or_b32_e32 v3, 0x100, v0
	v_mov_b32_e32 v4, s5
	v_add_co_u32_e32 v3, vcc, s4, v3
	v_addc_co_u32_e32 v4, vcc, 0, v4, vcc
	v_or_b32_e32 v5, 0x200, v0
	v_mov_b32_e32 v6, s5
	v_add_co_u32_e32 v5, vcc, s4, v5
	v_addc_co_u32_e32 v6, vcc, 0, v6, vcc
	v_or_b32_e32 v7, 0x300, v0
	v_mov_b32_e32 v8, s5
	v_add_co_u32_e32 v7, vcc, s4, v7
	v_addc_co_u32_e32 v8, vcc, 0, v8, vcc
	v_or_b32_e32 v9, 0x400, v0
	v_mov_b32_e32 v10, s5
	v_add_co_u32_e32 v9, vcc, s4, v9
	v_addc_co_u32_e32 v10, vcc, 0, v10, vcc
	v_or_b32_e32 v11, 0x500, v0
	v_mov_b32_e32 v12, s5
	v_add_co_u32_e32 v11, vcc, s4, v11
	v_addc_co_u32_e32 v12, vcc, 0, v12, vcc
	v_or_b32_e32 v13, 0x600, v0
	v_mov_b32_e32 v14, s5
	v_add_co_u32_e32 v13, vcc, s4, v13
	v_lshlrev_b32_e32 v15, 3, v0
	v_addc_co_u32_e32 v14, vcc, 0, v14, vcc
	ds_write2st64_b64 v15, v[1:2], v[3:4] offset1:4
	ds_write2st64_b64 v15, v[5:6], v[7:8] offset0:8 offset1:12
	ds_write2st64_b64 v15, v[9:10], v[11:12] offset0:16 offset1:20
	ds_write_b64 v15, v[13:14] offset:12288
	s_waitcnt lgkmcnt(0)
	s_barrier
.LBB76_8:
	v_mul_u32_u24_e32 v1, 7, v0
	v_lshlrev_b32_e32 v13, 3, v1
	ds_read_b64 v[21:22], v13 offset:48
	ds_read2_b64 v[1:4], v13 offset0:4 offset1:5
	ds_read2_b64 v[5:8], v13 offset0:2 offset1:3
	ds_read2_b64 v[9:12], v13 offset1:1
	s_add_u32 s2, s2, s14
	s_addc_u32 s3, s3, s15
	s_add_u32 s2, s2, s7
	s_addc_u32 s3, s3, 0
	s_mov_b64 s[4:5], -1
	s_and_b64 vcc, exec, s[18:19]
	s_waitcnt lgkmcnt(0)
	s_barrier
	s_cbranch_vccz .LBB76_10
; %bb.9:
	global_load_ubyte v14, v0, s[2:3]
	global_load_ubyte v15, v0, s[2:3] offset:256
	global_load_ubyte v16, v0, s[2:3] offset:512
	;; [unrolled: 1-line block ×6, first 2 shown]
	s_mov_b64 s[4:5], 0
	s_waitcnt vmcnt(6)
	v_cmp_ne_u16_e32 vcc, 0, v14
	v_cndmask_b32_e64 v14, 0, 1, vcc
	s_waitcnt vmcnt(5)
	v_cmp_ne_u16_e32 vcc, 0, v15
	v_cndmask_b32_e64 v15, 0, 1, vcc
	;; [unrolled: 3-line block ×7, first 2 shown]
	ds_write_b8 v0, v14
	ds_write_b8 v0, v15 offset:256
	ds_write_b8 v0, v16 offset:512
	;; [unrolled: 1-line block ×6, first 2 shown]
	s_waitcnt lgkmcnt(0)
	s_barrier
.LBB76_10:
	s_andn2_b64 vcc, exec, s[4:5]
	s_cbranch_vccnz .LBB76_26
; %bb.11:
	s_add_i32 s22, s22, s14
	s_sub_i32 s6, s6, s22
	s_addk_i32 s6, 0x700
	v_mov_b32_e32 v14, 0
	v_cmp_gt_u32_e32 vcc, s6, v0
	s_mov_b32 s7, 0
	v_mov_b32_e32 v16, v14
	v_mov_b32_e32 v15, v14
	s_and_saveexec_b64 s[4:5], vcc
	s_cbranch_execz .LBB76_13
; %bb.12:
	global_load_ubyte v14, v0, s[2:3]
	v_mov_b32_e32 v16, s7
	s_waitcnt vmcnt(0)
	v_cmp_ne_u16_e32 vcc, 0, v14
	v_cndmask_b32_e64 v14, 0, 1, vcc
	v_mov_b32_e32 v15, v14
.LBB76_13:
	s_or_b64 exec, exec, s[4:5]
	v_or_b32_e32 v17, 0x100, v0
	v_cmp_gt_u32_e32 vcc, s6, v17
	s_and_saveexec_b64 s[4:5], vcc
	s_cbranch_execz .LBB76_15
; %bb.14:
	global_load_ubyte v17, v0, s[2:3] offset:256
	v_mov_b32_e32 v19, 8
	s_movk_i32 s7, 0xff
	v_lshrrev_b32_e32 v18, 24, v14
	v_lshrrev_b32_sdwa v19, v19, v16 dst_sel:BYTE_1 dst_unused:UNUSED_PAD src0_sel:DWORD src1_sel:DWORD
	v_bfe_u32 v20, v16, 16, 8
	v_lshlrev_b16_e32 v18, 8, v18
	v_and_b32_sdwa v23, v14, s7 dst_sel:DWORD dst_unused:UNUSED_PAD src0_sel:WORD_1 src1_sel:DWORD
	v_or_b32_sdwa v16, v16, v19 dst_sel:DWORD dst_unused:UNUSED_PAD src0_sel:BYTE_0 src1_sel:DWORD
	v_or_b32_sdwa v18, v23, v18 dst_sel:WORD_1 dst_unused:UNUSED_PAD src0_sel:DWORD src1_sel:DWORD
	v_and_b32_e32 v16, 0xffff, v16
	v_lshl_or_b32 v16, v20, 16, v16
	s_waitcnt vmcnt(0)
	v_cmp_ne_u16_e32 vcc, 0, v17
	v_cndmask_b32_e64 v17, 0, 1, vcc
	v_lshlrev_b16_e32 v17, 8, v17
	v_or_b32_sdwa v14, v14, v17 dst_sel:DWORD dst_unused:UNUSED_PAD src0_sel:BYTE_0 src1_sel:DWORD
	v_or_b32_sdwa v14, v14, v18 dst_sel:DWORD dst_unused:UNUSED_PAD src0_sel:WORD_0 src1_sel:DWORD
.LBB76_15:
	s_or_b64 exec, exec, s[4:5]
	v_or_b32_e32 v17, 0x200, v0
	v_cmp_gt_u32_e32 vcc, s6, v17
	s_and_saveexec_b64 s[4:5], vcc
	s_cbranch_execz .LBB76_17
; %bb.16:
	global_load_ubyte v17, v0, s[2:3] offset:512
	v_mov_b32_e32 v18, 8
	v_lshrrev_b32_e32 v20, 24, v14
	v_lshrrev_b32_sdwa v18, v18, v16 dst_sel:BYTE_1 dst_unused:UNUSED_PAD src0_sel:DWORD src1_sel:DWORD
	v_bfe_u32 v19, v16, 16, 8
	s_mov_b32 s7, 0xc0c0104
	v_lshlrev_b16_e32 v20, 8, v20
	v_or_b32_sdwa v16, v16, v18 dst_sel:DWORD dst_unused:UNUSED_PAD src0_sel:BYTE_0 src1_sel:DWORD
	v_and_b32_e32 v16, 0xffff, v16
	v_perm_b32 v14, v14, v14, s7
	v_lshl_or_b32 v16, v19, 16, v16
	s_waitcnt vmcnt(0)
	v_cmp_ne_u16_e32 vcc, 0, v17
	v_cndmask_b32_e64 v17, 0, 1, vcc
	v_or_b32_sdwa v17, v17, v20 dst_sel:WORD_1 dst_unused:UNUSED_PAD src0_sel:DWORD src1_sel:DWORD
	v_or_b32_e32 v14, v14, v17
.LBB76_17:
	s_or_b64 exec, exec, s[4:5]
	v_or_b32_e32 v17, 0x300, v0
	v_cmp_gt_u32_e32 vcc, s6, v17
	s_and_saveexec_b64 s[4:5], vcc
	s_cbranch_execz .LBB76_19
; %bb.18:
	global_load_ubyte v17, v0, s[2:3] offset:768
	v_mov_b32_e32 v18, 8
	s_movk_i32 s7, 0xff
	v_lshrrev_b32_sdwa v18, v18, v16 dst_sel:BYTE_1 dst_unused:UNUSED_PAD src0_sel:DWORD src1_sel:DWORD
	v_bfe_u32 v19, v16, 16, 8
	s_mov_b32 s14, 0xc0c0104
	v_and_b32_sdwa v20, v14, s7 dst_sel:DWORD dst_unused:UNUSED_PAD src0_sel:WORD_1 src1_sel:DWORD
	v_or_b32_sdwa v16, v16, v18 dst_sel:DWORD dst_unused:UNUSED_PAD src0_sel:BYTE_0 src1_sel:DWORD
	v_and_b32_e32 v16, 0xffff, v16
	v_perm_b32 v14, v14, v14, s14
	v_lshl_or_b32 v16, v19, 16, v16
	s_waitcnt vmcnt(0)
	v_cmp_ne_u16_e32 vcc, 0, v17
	v_cndmask_b32_e64 v17, 0, 1, vcc
	v_lshlrev_b16_e32 v17, 8, v17
	v_or_b32_sdwa v17, v20, v17 dst_sel:WORD_1 dst_unused:UNUSED_PAD src0_sel:DWORD src1_sel:DWORD
	v_or_b32_e32 v14, v14, v17
.LBB76_19:
	s_or_b64 exec, exec, s[4:5]
	v_or_b32_e32 v17, 0x400, v0
	v_cmp_gt_u32_e32 vcc, s6, v17
	s_and_saveexec_b64 s[4:5], vcc
	s_cbranch_execz .LBB76_21
; %bb.20:
	global_load_ubyte v17, v0, s[2:3] offset:1024
	v_mov_b32_e32 v18, 8
	v_bfe_u32 v19, v16, 16, 8
	v_lshrrev_b32_sdwa v16, v18, v16 dst_sel:BYTE_1 dst_unused:UNUSED_PAD src0_sel:DWORD src1_sel:DWORD
	s_mov_b32 s7, 0x3020104
	v_perm_b32 v14, v14, v14, s7
	s_waitcnt vmcnt(0)
	v_cmp_ne_u16_e32 vcc, 0, v17
	v_cndmask_b32_e64 v17, 0, 1, vcc
	v_or_b32_e32 v16, v17, v16
	v_and_b32_e32 v16, 0xffff, v16
	v_lshl_or_b32 v16, v19, 16, v16
.LBB76_21:
	s_or_b64 exec, exec, s[4:5]
	v_or_b32_e32 v17, 0x500, v0
	v_cmp_gt_u32_e32 vcc, s6, v17
	s_and_saveexec_b64 s[4:5], vcc
	s_cbranch_execz .LBB76_23
; %bb.22:
	global_load_ubyte v17, v0, s[2:3] offset:1280
	v_bfe_u32 v18, v16, 16, 8
	s_mov_b32 s7, 0x3020104
	v_perm_b32 v14, v14, v14, s7
	s_waitcnt vmcnt(0)
	v_cmp_ne_u16_e32 vcc, 0, v17
	v_cndmask_b32_e64 v17, 0, 1, vcc
	v_lshlrev_b16_e32 v17, 8, v17
	v_or_b32_sdwa v16, v16, v17 dst_sel:DWORD dst_unused:UNUSED_PAD src0_sel:BYTE_0 src1_sel:DWORD
	v_and_b32_e32 v16, 0xffff, v16
	v_lshl_or_b32 v16, v18, 16, v16
.LBB76_23:
	s_or_b64 exec, exec, s[4:5]
	v_or_b32_e32 v17, 0x600, v0
	v_cmp_gt_u32_e32 vcc, s6, v17
	s_and_saveexec_b64 s[4:5], vcc
	s_cbranch_execz .LBB76_25
; %bb.24:
	global_load_ubyte v17, v0, s[2:3] offset:1536
	v_mov_b32_e32 v18, 8
	v_lshrrev_b32_sdwa v18, v18, v16 dst_sel:BYTE_1 dst_unused:UNUSED_PAD src0_sel:DWORD src1_sel:DWORD
	v_or_b32_sdwa v16, v16, v18 dst_sel:DWORD dst_unused:UNUSED_PAD src0_sel:BYTE_0 src1_sel:DWORD
	s_mov_b32 s2, 0x3020104
	v_and_b32_e32 v16, 0xffff, v16
	v_perm_b32 v14, v14, v14, s2
	s_waitcnt vmcnt(0)
	v_cmp_ne_u16_e32 vcc, 0, v17
	v_cndmask_b32_e64 v17, 0, 1, vcc
	v_lshl_or_b32 v16, v17, 16, v16
.LBB76_25:
	s_or_b64 exec, exec, s[4:5]
	ds_write_b8 v0, v15
	v_lshrrev_b32_e32 v15, 8, v14
	ds_write_b8 v0, v15 offset:256
	ds_write_b8_d16_hi v0, v14 offset:512
	v_lshrrev_b32_e32 v14, 24, v14
	ds_write_b8 v0, v14 offset:768
	ds_write_b8 v0, v16 offset:1024
	v_lshrrev_b32_e32 v14, 8, v16
	ds_write_b8 v0, v14 offset:1280
	ds_write_b8_d16_hi v0, v16 offset:1536
	s_waitcnt lgkmcnt(0)
	s_barrier
.LBB76_26:
	s_movk_i32 s2, 0xffcf
	v_mad_i32_i24 v43, v0, s2, v13
	ds_read_u8 v13, v43
	ds_read_u8 v15, v43 offset:1
	ds_read_u8 v16, v43 offset:2
	;; [unrolled: 1-line block ×6, first 2 shown]
	s_waitcnt lgkmcnt(6)
	v_and_b32_e32 v41, 1, v13
	s_waitcnt lgkmcnt(5)
	v_and_b32_e32 v40, 1, v15
	;; [unrolled: 2-line block ×4, first 2 shown]
	v_add3_u32 v13, v40, v41, v39
	s_waitcnt lgkmcnt(2)
	v_and_b32_e32 v37, 1, v18
	v_add_co_u32_e32 v13, vcc, v13, v38
	v_addc_co_u32_e64 v15, s[2:3], 0, 0, vcc
	v_add_co_u32_e32 v13, vcc, v13, v37
	s_waitcnt lgkmcnt(1)
	v_and_b32_e32 v36, 1, v19
	v_addc_co_u32_e32 v15, vcc, 0, v15, vcc
	v_add_co_u32_e32 v13, vcc, v13, v36
	s_waitcnt lgkmcnt(0)
	v_and_b32_e32 v35, 1, v20
	v_addc_co_u32_e32 v15, vcc, 0, v15, vcc
	v_add_co_u32_e32 v23, vcc, v13, v35
	v_mbcnt_lo_u32_b32 v13, -1, 0
	v_mbcnt_hi_u32_b32 v42, -1, v13
	v_and_b32_e32 v44, 15, v42
	s_cmp_lg_u32 s24, 0
	v_mov_b32_e32 v14, 0
	v_addc_co_u32_e32 v24, vcc, 0, v15, vcc
	v_cmp_ne_u32_e64 s[2:3], 0, v44
	s_barrier
	s_cbranch_scc0 .LBB76_82
; %bb.27:
	v_mov_b32_e32 v15, v23
	v_mov_b32_dpp v13, v23 row_shr:1 row_mask:0xf bank_mask:0xf
	v_mov_b32_dpp v18, v14 row_shr:1 row_mask:0xf bank_mask:0xf
	v_mov_b32_e32 v17, v23
	v_mov_b32_e32 v16, v24
	s_and_saveexec_b64 s[4:5], s[2:3]
; %bb.28:
	v_add_co_u32_e32 v17, vcc, v23, v13
	v_addc_co_u32_e32 v14, vcc, 0, v24, vcc
	v_add_co_u32_e32 v13, vcc, 0, v17
	v_addc_co_u32_e32 v14, vcc, v18, v14, vcc
	v_mov_b32_e32 v16, v14
	v_mov_b32_e32 v15, v13
; %bb.29:
	s_or_b64 exec, exec, s[4:5]
	v_mov_b32_dpp v13, v17 row_shr:2 row_mask:0xf bank_mask:0xf
	v_mov_b32_dpp v18, v14 row_shr:2 row_mask:0xf bank_mask:0xf
	v_cmp_lt_u32_e32 vcc, 1, v44
	s_and_saveexec_b64 s[4:5], vcc
; %bb.30:
	v_add_co_u32_e32 v17, vcc, v15, v13
	v_addc_co_u32_e32 v14, vcc, 0, v16, vcc
	v_add_co_u32_e32 v13, vcc, 0, v17
	v_addc_co_u32_e32 v14, vcc, v18, v14, vcc
	v_mov_b32_e32 v16, v14
	v_mov_b32_e32 v15, v13
; %bb.31:
	s_or_b64 exec, exec, s[4:5]
	v_mov_b32_dpp v13, v17 row_shr:4 row_mask:0xf bank_mask:0xf
	v_mov_b32_dpp v18, v14 row_shr:4 row_mask:0xf bank_mask:0xf
	v_cmp_lt_u32_e32 vcc, 3, v44
	s_and_saveexec_b64 s[4:5], vcc
; %bb.32:
	v_add_co_u32_e32 v17, vcc, v15, v13
	v_addc_co_u32_e32 v14, vcc, 0, v16, vcc
	v_add_co_u32_e32 v13, vcc, 0, v17
	v_addc_co_u32_e32 v14, vcc, v18, v14, vcc
	v_mov_b32_e32 v16, v14
	v_mov_b32_e32 v15, v13
; %bb.33:
	s_or_b64 exec, exec, s[4:5]
	v_mov_b32_dpp v13, v17 row_shr:8 row_mask:0xf bank_mask:0xf
	v_mov_b32_dpp v18, v14 row_shr:8 row_mask:0xf bank_mask:0xf
	v_cmp_lt_u32_e32 vcc, 7, v44
	s_and_saveexec_b64 s[4:5], vcc
; %bb.34:
	v_add_co_u32_e32 v17, vcc, v15, v13
	v_addc_co_u32_e32 v14, vcc, 0, v16, vcc
	v_add_co_u32_e32 v13, vcc, 0, v17
	v_addc_co_u32_e32 v14, vcc, v18, v14, vcc
	v_mov_b32_e32 v16, v14
	v_mov_b32_e32 v15, v13
; %bb.35:
	s_or_b64 exec, exec, s[4:5]
	v_and_b32_e32 v19, 16, v42
	v_mov_b32_dpp v13, v17 row_bcast:15 row_mask:0xf bank_mask:0xf
	v_mov_b32_dpp v18, v14 row_bcast:15 row_mask:0xf bank_mask:0xf
	v_cmp_ne_u32_e32 vcc, 0, v19
	s_and_saveexec_b64 s[4:5], vcc
; %bb.36:
	v_add_co_u32_e32 v17, vcc, v15, v13
	v_addc_co_u32_e32 v14, vcc, 0, v16, vcc
	v_add_co_u32_e32 v13, vcc, 0, v17
	v_addc_co_u32_e32 v14, vcc, v18, v14, vcc
	v_mov_b32_e32 v16, v14
	v_mov_b32_e32 v15, v13
; %bb.37:
	s_or_b64 exec, exec, s[4:5]
	v_mov_b32_dpp v13, v17 row_bcast:31 row_mask:0xf bank_mask:0xf
	v_mov_b32_dpp v18, v14 row_bcast:31 row_mask:0xf bank_mask:0xf
	v_cmp_lt_u32_e32 vcc, 31, v42
	s_and_saveexec_b64 s[4:5], vcc
; %bb.38:
	v_add_co_u32_e32 v17, vcc, v15, v13
	v_addc_co_u32_e32 v14, vcc, 0, v16, vcc
	v_add_co_u32_e32 v13, vcc, 0, v17
	v_addc_co_u32_e32 v14, vcc, v18, v14, vcc
	v_mov_b32_e32 v16, v14
	v_mov_b32_e32 v15, v13
; %bb.39:
	s_or_b64 exec, exec, s[4:5]
	v_or_b32_e32 v18, 63, v0
	v_lshrrev_b32_e32 v13, 6, v0
	v_cmp_eq_u32_e32 vcc, v0, v18
	s_and_saveexec_b64 s[4:5], vcc
; %bb.40:
	v_lshlrev_b32_e32 v18, 3, v13
	ds_write_b64 v18, v[15:16]
; %bb.41:
	s_or_b64 exec, exec, s[4:5]
	v_cmp_gt_u32_e32 vcc, 4, v0
	s_waitcnt lgkmcnt(0)
	s_barrier
	s_and_saveexec_b64 s[4:5], vcc
	s_cbranch_execz .LBB76_45
; %bb.42:
	v_lshlrev_b32_e32 v18, 3, v0
	ds_read_b64 v[15:16], v18
	v_and_b32_e32 v19, 3, v42
	v_cmp_ne_u32_e32 vcc, 0, v19
	s_waitcnt lgkmcnt(0)
	v_mov_b32_dpp v26, v15 row_shr:1 row_mask:0xf bank_mask:0xf
	v_mov_b32_dpp v25, v16 row_shr:1 row_mask:0xf bank_mask:0xf
	v_mov_b32_e32 v20, v15
	s_and_saveexec_b64 s[6:7], vcc
; %bb.43:
	v_add_co_u32_e32 v20, vcc, v15, v26
	v_addc_co_u32_e32 v16, vcc, 0, v16, vcc
	v_add_co_u32_e32 v15, vcc, 0, v20
	v_addc_co_u32_e32 v16, vcc, v25, v16, vcc
; %bb.44:
	s_or_b64 exec, exec, s[6:7]
	v_mov_b32_dpp v20, v20 row_shr:2 row_mask:0xf bank_mask:0xf
	v_add_co_u32_e32 v20, vcc, v15, v20
	v_addc_co_u32_e32 v26, vcc, 0, v16, vcc
	v_mov_b32_dpp v25, v16 row_shr:2 row_mask:0xf bank_mask:0xf
	v_add_co_u32_e32 v20, vcc, 0, v20
	v_addc_co_u32_e32 v25, vcc, v26, v25, vcc
	v_cmp_lt_u32_e32 vcc, 1, v19
	v_cndmask_b32_e32 v16, v16, v25, vcc
	v_cndmask_b32_e32 v15, v15, v20, vcc
	ds_write_b64 v18, v[15:16]
.LBB76_45:
	s_or_b64 exec, exec, s[4:5]
	v_cmp_gt_u32_e32 vcc, 64, v0
	v_cmp_lt_u32_e64 s[4:5], 63, v0
	s_waitcnt lgkmcnt(0)
	s_barrier
                                        ; implicit-def: $vgpr25_vgpr26
	s_and_saveexec_b64 s[6:7], s[4:5]
	s_cbranch_execz .LBB76_47
; %bb.46:
	v_lshl_add_u32 v13, v13, 3, -8
	ds_read_b64 v[25:26], v13
	s_waitcnt lgkmcnt(0)
	v_add_co_u32_e64 v17, s[4:5], v17, v25
	v_addc_co_u32_e64 v14, s[4:5], v14, v26, s[4:5]
.LBB76_47:
	s_or_b64 exec, exec, s[6:7]
	v_subrev_co_u32_e64 v13, s[4:5], 1, v42
	v_and_b32_e32 v15, 64, v42
	v_cmp_lt_i32_e64 s[6:7], v13, v15
	v_cndmask_b32_e64 v13, v13, v42, s[6:7]
	v_lshlrev_b32_e32 v13, 2, v13
	ds_bpermute_b32 v34, v13, v17
	ds_bpermute_b32 v33, v13, v14
	s_and_saveexec_b64 s[6:7], vcc
	s_cbranch_execz .LBB76_87
; %bb.48:
	v_mov_b32_e32 v16, 0
	ds_read_b64 v[13:14], v16 offset:24
	s_and_saveexec_b64 s[14:15], s[4:5]
	s_cbranch_execz .LBB76_50
; %bb.49:
	s_add_i32 s22, s24, 64
	s_mov_b32 s23, 0
	s_lshl_b64 s[22:23], s[22:23], 4
	s_add_u32 s22, s20, s22
	s_addc_u32 s23, s21, s23
	v_mov_b32_e32 v17, s22
	v_mov_b32_e32 v15, 1
	;; [unrolled: 1-line block ×3, first 2 shown]
	s_waitcnt lgkmcnt(0)
	;;#ASMSTART
	global_store_dwordx4 v[17:18], v[13:16] off	
s_waitcnt vmcnt(0)
	;;#ASMEND
.LBB76_50:
	s_or_b64 exec, exec, s[14:15]
	v_xad_u32 v27, v42, -1, s24
	v_add_u32_e32 v15, 64, v27
	v_lshlrev_b64 v[17:18], 4, v[15:16]
	v_mov_b32_e32 v15, s21
	v_add_co_u32_e32 v28, vcc, s20, v17
	v_addc_co_u32_e32 v29, vcc, v15, v18, vcc
	;;#ASMSTART
	global_load_dwordx4 v[17:20], v[28:29] off glc	
s_waitcnt vmcnt(0)
	;;#ASMEND
	v_cmp_eq_u16_sdwa s[22:23], v19, v16 src0_sel:BYTE_0 src1_sel:DWORD
	s_and_saveexec_b64 s[14:15], s[22:23]
	s_cbranch_execz .LBB76_54
; %bb.51:
	s_mov_b64 s[22:23], 0
	v_mov_b32_e32 v15, 0
.LBB76_52:                              ; =>This Inner Loop Header: Depth=1
	;;#ASMSTART
	global_load_dwordx4 v[17:20], v[28:29] off glc	
s_waitcnt vmcnt(0)
	;;#ASMEND
	v_cmp_ne_u16_sdwa s[26:27], v19, v15 src0_sel:BYTE_0 src1_sel:DWORD
	s_or_b64 s[22:23], s[26:27], s[22:23]
	s_andn2_b64 exec, exec, s[22:23]
	s_cbranch_execnz .LBB76_52
; %bb.53:
	s_or_b64 exec, exec, s[22:23]
.LBB76_54:
	s_or_b64 exec, exec, s[14:15]
	v_and_b32_e32 v45, 63, v42
	v_mov_b32_e32 v15, 2
	v_lshlrev_b64 v[29:30], v42, -1
	v_cmp_ne_u32_e32 vcc, 63, v45
	v_cmp_eq_u16_sdwa s[14:15], v19, v15 src0_sel:BYTE_0 src1_sel:DWORD
	v_addc_co_u32_e32 v20, vcc, 0, v42, vcc
	v_and_b32_e32 v15, s15, v30
	v_lshlrev_b32_e32 v46, 2, v20
	v_or_b32_e32 v15, 0x80000000, v15
	ds_bpermute_b32 v28, v46, v17
	ds_bpermute_b32 v20, v46, v18
	v_and_b32_e32 v16, s14, v29
	v_ffbl_b32_e32 v15, v15
	v_add_u32_e32 v15, 32, v15
	v_ffbl_b32_e32 v16, v16
	v_min_u32_e32 v15, v16, v15
	v_cmp_lt_u32_e32 vcc, v45, v15
	v_mov_b32_e32 v16, v17
	s_and_saveexec_b64 s[14:15], vcc
	s_cbranch_execz .LBB76_56
; %bb.55:
	s_waitcnt lgkmcnt(1)
	v_add_co_u32_e32 v16, vcc, v17, v28
	v_addc_co_u32_e32 v18, vcc, 0, v18, vcc
	v_add_co_u32_e32 v17, vcc, 0, v16
	s_waitcnt lgkmcnt(0)
	v_addc_co_u32_e32 v18, vcc, v20, v18, vcc
.LBB76_56:
	s_or_b64 exec, exec, s[14:15]
	v_cmp_gt_u32_e32 vcc, 62, v45
	s_waitcnt lgkmcnt(0)
	v_cndmask_b32_e64 v20, 0, 2, vcc
	v_add_lshl_u32 v47, v20, v42, 2
	ds_bpermute_b32 v28, v47, v16
	ds_bpermute_b32 v20, v47, v18
	v_add_u32_e32 v48, 2, v45
	v_cmp_le_u32_e32 vcc, v48, v15
	s_and_saveexec_b64 s[14:15], vcc
	s_cbranch_execz .LBB76_58
; %bb.57:
	s_waitcnt lgkmcnt(1)
	v_add_co_u32_e32 v16, vcc, v17, v28
	v_addc_co_u32_e32 v18, vcc, 0, v18, vcc
	v_add_co_u32_e32 v17, vcc, 0, v16
	s_waitcnt lgkmcnt(0)
	v_addc_co_u32_e32 v18, vcc, v20, v18, vcc
.LBB76_58:
	s_or_b64 exec, exec, s[14:15]
	v_cmp_gt_u32_e32 vcc, 60, v45
	s_waitcnt lgkmcnt(0)
	v_cndmask_b32_e64 v20, 0, 4, vcc
	v_add_lshl_u32 v49, v20, v42, 2
	ds_bpermute_b32 v28, v49, v16
	ds_bpermute_b32 v20, v49, v18
	v_add_u32_e32 v50, 4, v45
	v_cmp_le_u32_e32 vcc, v50, v15
	;; [unrolled: 19-line block ×4, first 2 shown]
	s_and_saveexec_b64 s[14:15], vcc
	s_cbranch_execz .LBB76_64
; %bb.63:
	s_waitcnt lgkmcnt(1)
	v_add_co_u32_e32 v16, vcc, v17, v28
	v_addc_co_u32_e32 v18, vcc, 0, v18, vcc
	v_add_co_u32_e32 v17, vcc, 0, v16
	s_waitcnt lgkmcnt(0)
	v_addc_co_u32_e32 v18, vcc, v20, v18, vcc
.LBB76_64:
	s_or_b64 exec, exec, s[14:15]
	s_waitcnt lgkmcnt(0)
	v_mov_b32_e32 v20, 0x80
	v_lshl_or_b32 v55, v42, 2, v20
	ds_bpermute_b32 v16, v55, v16
	ds_bpermute_b32 v20, v55, v18
	v_add_u32_e32 v56, 32, v45
	v_mov_b32_e32 v28, 0
	v_mov_b32_e32 v57, 2
	s_waitcnt lgkmcnt(1)
	v_add_co_u32_e32 v16, vcc, v17, v16
	v_addc_co_u32_e32 v31, vcc, 0, v18, vcc
	v_add_co_u32_e32 v16, vcc, 0, v16
	s_waitcnt lgkmcnt(0)
	v_addc_co_u32_e32 v20, vcc, v31, v20, vcc
	v_cmp_gt_u32_e32 vcc, v56, v15
	v_cndmask_b32_e32 v18, v20, v18, vcc
	v_cndmask_b32_e32 v17, v16, v17, vcc
	s_branch .LBB76_67
.LBB76_65:                              ;   in Loop: Header=BB76_67 Depth=1
	s_or_b64 exec, exec, s[14:15]
	ds_bpermute_b32 v31, v55, v31
	s_waitcnt lgkmcnt(1)
	ds_bpermute_b32 v32, v55, v18
	v_subrev_u32_e32 v27, 64, v27
	s_mov_b64 s[14:15], 0
	s_waitcnt lgkmcnt(1)
	v_add_co_u32_e32 v31, vcc, v17, v31
	v_addc_co_u32_e32 v58, vcc, 0, v18, vcc
	v_add_co_u32_e32 v31, vcc, 0, v31
	s_waitcnt lgkmcnt(0)
	v_addc_co_u32_e32 v32, vcc, v58, v32, vcc
	v_cmp_gt_u32_e32 vcc, v56, v20
	v_cndmask_b32_e32 v17, v31, v17, vcc
	v_cndmask_b32_e32 v18, v32, v18, vcc
	v_add_co_u32_e32 v17, vcc, v17, v15
	v_addc_co_u32_e32 v18, vcc, v18, v16, vcc
.LBB76_66:                              ;   in Loop: Header=BB76_67 Depth=1
	s_and_b64 vcc, exec, s[14:15]
	s_cbranch_vccnz .LBB76_83
.LBB76_67:                              ; =>This Loop Header: Depth=1
                                        ;     Child Loop BB76_70 Depth 2
	v_mov_b32_e32 v15, v17
	v_cmp_ne_u16_sdwa s[14:15], v19, v57 src0_sel:BYTE_0 src1_sel:DWORD
	v_mov_b32_e32 v16, v18
	s_cmp_lg_u64 s[14:15], exec
	s_mov_b64 s[14:15], -1
                                        ; implicit-def: $vgpr17_vgpr18
                                        ; implicit-def: $vgpr19
	s_cbranch_scc1 .LBB76_66
; %bb.68:                               ;   in Loop: Header=BB76_67 Depth=1
	v_lshlrev_b64 v[17:18], 4, v[27:28]
	v_mov_b32_e32 v19, s21
	v_add_co_u32_e32 v31, vcc, s20, v17
	v_addc_co_u32_e32 v32, vcc, v19, v18, vcc
	;;#ASMSTART
	global_load_dwordx4 v[17:20], v[31:32] off glc	
s_waitcnt vmcnt(0)
	;;#ASMEND
	v_cmp_eq_u16_sdwa s[22:23], v19, v28 src0_sel:BYTE_0 src1_sel:DWORD
	s_and_saveexec_b64 s[14:15], s[22:23]
	s_cbranch_execz .LBB76_72
; %bb.69:                               ;   in Loop: Header=BB76_67 Depth=1
	s_mov_b64 s[22:23], 0
.LBB76_70:                              ;   Parent Loop BB76_67 Depth=1
                                        ; =>  This Inner Loop Header: Depth=2
	;;#ASMSTART
	global_load_dwordx4 v[17:20], v[31:32] off glc	
s_waitcnt vmcnt(0)
	;;#ASMEND
	v_cmp_ne_u16_sdwa s[26:27], v19, v28 src0_sel:BYTE_0 src1_sel:DWORD
	s_or_b64 s[22:23], s[26:27], s[22:23]
	s_andn2_b64 exec, exec, s[22:23]
	s_cbranch_execnz .LBB76_70
; %bb.71:                               ;   in Loop: Header=BB76_67 Depth=1
	s_or_b64 exec, exec, s[22:23]
.LBB76_72:                              ;   in Loop: Header=BB76_67 Depth=1
	s_or_b64 exec, exec, s[14:15]
	v_cmp_eq_u16_sdwa s[14:15], v19, v57 src0_sel:BYTE_0 src1_sel:DWORD
	v_and_b32_e32 v20, s15, v30
	v_or_b32_e32 v20, 0x80000000, v20
	ds_bpermute_b32 v58, v46, v17
	ds_bpermute_b32 v32, v46, v18
	v_and_b32_e32 v31, s14, v29
	v_ffbl_b32_e32 v20, v20
	v_add_u32_e32 v20, 32, v20
	v_ffbl_b32_e32 v31, v31
	v_min_u32_e32 v20, v31, v20
	v_cmp_lt_u32_e32 vcc, v45, v20
	v_mov_b32_e32 v31, v17
	s_and_saveexec_b64 s[14:15], vcc
	s_cbranch_execz .LBB76_74
; %bb.73:                               ;   in Loop: Header=BB76_67 Depth=1
	s_waitcnt lgkmcnt(1)
	v_add_co_u32_e32 v31, vcc, v17, v58
	v_addc_co_u32_e32 v18, vcc, 0, v18, vcc
	v_add_co_u32_e32 v17, vcc, 0, v31
	s_waitcnt lgkmcnt(0)
	v_addc_co_u32_e32 v18, vcc, v32, v18, vcc
.LBB76_74:                              ;   in Loop: Header=BB76_67 Depth=1
	s_or_b64 exec, exec, s[14:15]
	s_waitcnt lgkmcnt(1)
	ds_bpermute_b32 v58, v47, v31
	s_waitcnt lgkmcnt(1)
	ds_bpermute_b32 v32, v47, v18
	v_cmp_le_u32_e32 vcc, v48, v20
	s_and_saveexec_b64 s[14:15], vcc
	s_cbranch_execz .LBB76_76
; %bb.75:                               ;   in Loop: Header=BB76_67 Depth=1
	s_waitcnt lgkmcnt(1)
	v_add_co_u32_e32 v31, vcc, v17, v58
	v_addc_co_u32_e32 v18, vcc, 0, v18, vcc
	v_add_co_u32_e32 v17, vcc, 0, v31
	s_waitcnt lgkmcnt(0)
	v_addc_co_u32_e32 v18, vcc, v32, v18, vcc
.LBB76_76:                              ;   in Loop: Header=BB76_67 Depth=1
	s_or_b64 exec, exec, s[14:15]
	s_waitcnt lgkmcnt(1)
	ds_bpermute_b32 v58, v49, v31
	s_waitcnt lgkmcnt(1)
	ds_bpermute_b32 v32, v49, v18
	v_cmp_le_u32_e32 vcc, v50, v20
	;; [unrolled: 16-line block ×4, first 2 shown]
	s_and_saveexec_b64 s[14:15], vcc
	s_cbranch_execz .LBB76_65
; %bb.81:                               ;   in Loop: Header=BB76_67 Depth=1
	s_waitcnt lgkmcnt(1)
	v_add_co_u32_e32 v31, vcc, v17, v58
	v_addc_co_u32_e32 v18, vcc, 0, v18, vcc
	v_add_co_u32_e32 v17, vcc, 0, v31
	s_waitcnt lgkmcnt(0)
	v_addc_co_u32_e32 v18, vcc, v32, v18, vcc
	s_branch .LBB76_65
.LBB76_82:
                                        ; implicit-def: $vgpr19_vgpr20
                                        ; implicit-def: $vgpr17_vgpr18
                                        ; implicit-def: $vgpr25_vgpr26
                                        ; implicit-def: $vgpr27_vgpr28
                                        ; implicit-def: $vgpr29_vgpr30
                                        ; implicit-def: $vgpr31_vgpr32
                                        ; implicit-def: $vgpr33_vgpr34
                                        ; implicit-def: $vgpr15_vgpr16
	s_cbranch_execnz .LBB76_88
	s_branch .LBB76_109
.LBB76_83:
	s_and_saveexec_b64 s[14:15], s[4:5]
	s_cbranch_execz .LBB76_85
; %bb.84:
	s_add_i32 s22, s24, 64
	s_mov_b32 s23, 0
	s_lshl_b64 s[22:23], s[22:23], 4
	s_add_u32 s22, s20, s22
	s_addc_u32 s23, s21, s23
	v_add_co_u32_e32 v17, vcc, v15, v13
	v_mov_b32_e32 v28, s23
	v_addc_co_u32_e32 v18, vcc, v16, v14, vcc
	v_mov_b32_e32 v19, 2
	v_mov_b32_e32 v20, 0
	;; [unrolled: 1-line block ×3, first 2 shown]
	;;#ASMSTART
	global_store_dwordx4 v[27:28], v[17:20] off	
s_waitcnt vmcnt(0)
	;;#ASMEND
	ds_write_b128 v20, v[13:16] offset:14336
.LBB76_85:
	s_or_b64 exec, exec, s[14:15]
	s_and_b64 exec, exec, s[0:1]
; %bb.86:
	v_mov_b32_e32 v13, 0
	ds_write_b64 v13, v[15:16] offset:24
.LBB76_87:
	s_or_b64 exec, exec, s[6:7]
	v_mov_b32_e32 v16, 0
	s_waitcnt lgkmcnt(0)
	s_barrier
	ds_read_b64 v[13:14], v16 offset:24
	v_cndmask_b32_e64 v15, v34, v25, s[4:5]
	v_cndmask_b32_e64 v17, v33, v26, s[4:5]
	;; [unrolled: 1-line block ×4, first 2 shown]
	s_waitcnt lgkmcnt(0)
	v_add_co_u32_e32 v33, vcc, v13, v15
	v_addc_co_u32_e32 v34, vcc, v14, v17, vcc
	v_add_co_u32_e32 v31, vcc, v33, v41
	v_addc_co_u32_e32 v32, vcc, 0, v34, vcc
	;; [unrolled: 2-line block ×5, first 2 shown]
	s_barrier
	ds_read_b128 v[13:16], v16 offset:14336
	v_add_co_u32_e32 v17, vcc, v25, v37
	v_addc_co_u32_e32 v18, vcc, 0, v26, vcc
	v_add_co_u32_e32 v19, vcc, v17, v36
	v_addc_co_u32_e32 v20, vcc, 0, v18, vcc
	s_branch .LBB76_109
.LBB76_88:
	s_waitcnt lgkmcnt(0)
	v_mov_b32_e32 v14, 0
	v_mov_b32_dpp v16, v23 row_shr:1 row_mask:0xf bank_mask:0xf
	v_mov_b32_e32 v15, v23
	v_mov_b32_dpp v13, v14 row_shr:1 row_mask:0xf bank_mask:0xf
	s_and_saveexec_b64 s[4:5], s[2:3]
; %bb.89:
	v_add_co_u32_e32 v15, vcc, v23, v16
	v_addc_co_u32_e32 v14, vcc, 0, v24, vcc
	v_add_co_u32_e32 v23, vcc, 0, v15
	v_addc_co_u32_e32 v24, vcc, v13, v14, vcc
	v_mov_b32_e32 v14, v24
; %bb.90:
	s_or_b64 exec, exec, s[4:5]
	v_mov_b32_dpp v13, v15 row_shr:2 row_mask:0xf bank_mask:0xf
	v_mov_b32_dpp v16, v14 row_shr:2 row_mask:0xf bank_mask:0xf
	v_cmp_lt_u32_e32 vcc, 1, v44
	s_and_saveexec_b64 s[2:3], vcc
; %bb.91:
	v_add_co_u32_e32 v15, vcc, v23, v13
	v_addc_co_u32_e32 v14, vcc, 0, v24, vcc
	v_add_co_u32_e32 v13, vcc, 0, v15
	v_addc_co_u32_e32 v14, vcc, v16, v14, vcc
	v_mov_b32_e32 v24, v14
	v_mov_b32_e32 v23, v13
; %bb.92:
	s_or_b64 exec, exec, s[2:3]
	v_mov_b32_dpp v13, v15 row_shr:4 row_mask:0xf bank_mask:0xf
	v_mov_b32_dpp v16, v14 row_shr:4 row_mask:0xf bank_mask:0xf
	v_cmp_lt_u32_e32 vcc, 3, v44
	s_and_saveexec_b64 s[2:3], vcc
; %bb.93:
	v_add_co_u32_e32 v15, vcc, v23, v13
	v_addc_co_u32_e32 v14, vcc, 0, v24, vcc
	v_add_co_u32_e32 v13, vcc, 0, v15
	v_addc_co_u32_e32 v14, vcc, v16, v14, vcc
	v_mov_b32_e32 v24, v14
	;; [unrolled: 13-line block ×3, first 2 shown]
	v_mov_b32_e32 v23, v13
; %bb.96:
	s_or_b64 exec, exec, s[2:3]
	v_and_b32_e32 v17, 16, v42
	v_mov_b32_dpp v16, v15 row_bcast:15 row_mask:0xf bank_mask:0xf
	v_mov_b32_dpp v13, v14 row_bcast:15 row_mask:0xf bank_mask:0xf
	v_cmp_ne_u32_e32 vcc, 0, v17
	s_and_saveexec_b64 s[2:3], vcc
; %bb.97:
	v_add_co_u32_e32 v15, vcc, v23, v16
	v_addc_co_u32_e32 v14, vcc, 0, v24, vcc
	v_add_co_u32_e32 v23, vcc, 0, v15
	v_addc_co_u32_e32 v24, vcc, v13, v14, vcc
	v_mov_b32_e32 v14, v24
; %bb.98:
	s_or_b64 exec, exec, s[2:3]
	v_mov_b32_dpp v13, v15 row_bcast:31 row_mask:0xf bank_mask:0xf
	v_add_co_u32_e32 v13, vcc, v23, v13
	v_addc_co_u32_e32 v15, vcc, 0, v24, vcc
	v_mov_b32_dpp v14, v14 row_bcast:31 row_mask:0xf bank_mask:0xf
	v_add_co_u32_e32 v13, vcc, 0, v13
	v_addc_co_u32_e32 v14, vcc, v15, v14, vcc
	v_cmp_lt_u32_e32 vcc, 31, v42
	v_or_b32_e32 v15, 63, v0
	v_cndmask_b32_e32 v14, v24, v14, vcc
	v_cndmask_b32_e32 v13, v23, v13, vcc
	v_lshrrev_b32_e32 v19, 6, v0
	v_cmp_eq_u32_e32 vcc, v0, v15
	s_and_saveexec_b64 s[2:3], vcc
; %bb.99:
	v_lshlrev_b32_e32 v15, 3, v19
	ds_write_b64 v15, v[13:14]
; %bb.100:
	s_or_b64 exec, exec, s[2:3]
	v_cmp_gt_u32_e32 vcc, 4, v0
	s_waitcnt lgkmcnt(0)
	s_barrier
	s_and_saveexec_b64 s[2:3], vcc
	s_cbranch_execz .LBB76_104
; %bb.101:
	v_add_u32_e32 v17, v43, v0
	ds_read_b64 v[15:16], v17
	v_and_b32_e32 v18, 3, v42
	v_cmp_ne_u32_e32 vcc, 0, v18
	s_waitcnt lgkmcnt(0)
	v_mov_b32_dpp v24, v15 row_shr:1 row_mask:0xf bank_mask:0xf
	v_mov_b32_dpp v23, v16 row_shr:1 row_mask:0xf bank_mask:0xf
	v_mov_b32_e32 v20, v15
	s_and_saveexec_b64 s[4:5], vcc
; %bb.102:
	v_add_co_u32_e32 v20, vcc, v15, v24
	v_addc_co_u32_e32 v16, vcc, 0, v16, vcc
	v_add_co_u32_e32 v15, vcc, 0, v20
	v_addc_co_u32_e32 v16, vcc, v23, v16, vcc
; %bb.103:
	s_or_b64 exec, exec, s[4:5]
	v_mov_b32_dpp v20, v20 row_shr:2 row_mask:0xf bank_mask:0xf
	v_add_co_u32_e32 v20, vcc, v15, v20
	v_addc_co_u32_e32 v24, vcc, 0, v16, vcc
	v_mov_b32_dpp v23, v16 row_shr:2 row_mask:0xf bank_mask:0xf
	v_add_co_u32_e32 v20, vcc, 0, v20
	v_addc_co_u32_e32 v23, vcc, v24, v23, vcc
	v_cmp_lt_u32_e32 vcc, 1, v18
	v_cndmask_b32_e32 v16, v16, v23, vcc
	v_cndmask_b32_e32 v15, v15, v20, vcc
	ds_write_b64 v17, v[15:16]
.LBB76_104:
	s_or_b64 exec, exec, s[2:3]
	v_mov_b32_e32 v17, 0
	v_mov_b32_e32 v18, 0
	v_cmp_lt_u32_e32 vcc, 63, v0
	s_waitcnt lgkmcnt(0)
	s_barrier
	s_and_saveexec_b64 s[2:3], vcc
; %bb.105:
	v_lshl_add_u32 v15, v19, 3, -8
	ds_read_b64 v[17:18], v15
; %bb.106:
	s_or_b64 exec, exec, s[2:3]
	s_waitcnt lgkmcnt(0)
	v_add_co_u32_e32 v13, vcc, v17, v13
	v_addc_co_u32_e32 v14, vcc, v18, v14, vcc
	v_subrev_co_u32_e32 v15, vcc, 1, v42
	v_and_b32_e32 v16, 64, v42
	v_cmp_lt_i32_e64 s[2:3], v15, v16
	v_cndmask_b32_e64 v15, v15, v42, s[2:3]
	v_lshlrev_b32_e32 v15, 2, v15
	v_mov_b32_e32 v16, 0
	ds_bpermute_b32 v19, v15, v13
	ds_bpermute_b32 v20, v15, v14
	ds_read_b64 v[13:14], v16 offset:24
	s_and_saveexec_b64 s[2:3], s[0:1]
	s_cbranch_execz .LBB76_108
; %bb.107:
	s_add_u32 s4, s20, 0x400
	s_addc_u32 s5, s21, 0
	v_mov_b32_e32 v24, s5
	v_mov_b32_e32 v15, 2
	;; [unrolled: 1-line block ×3, first 2 shown]
	s_waitcnt lgkmcnt(0)
	;;#ASMSTART
	global_store_dwordx4 v[23:24], v[13:16] off	
s_waitcnt vmcnt(0)
	;;#ASMEND
.LBB76_108:
	s_or_b64 exec, exec, s[2:3]
	s_waitcnt lgkmcnt(2)
	v_cndmask_b32_e32 v15, v19, v17, vcc
	s_waitcnt lgkmcnt(1)
	v_cndmask_b32_e32 v16, v20, v18, vcc
	v_cndmask_b32_e64 v33, v15, 0, s[0:1]
	v_cndmask_b32_e64 v34, v16, 0, s[0:1]
	v_add_co_u32_e32 v31, vcc, v33, v41
	v_addc_co_u32_e32 v32, vcc, 0, v34, vcc
	v_add_co_u32_e32 v29, vcc, v31, v40
	v_addc_co_u32_e32 v30, vcc, 0, v32, vcc
	;; [unrolled: 2-line block ×5, first 2 shown]
	v_add_co_u32_e32 v19, vcc, v17, v36
	v_mov_b32_e32 v15, 0
	v_addc_co_u32_e32 v20, vcc, 0, v18, vcc
	s_waitcnt lgkmcnt(0)
	s_barrier
	v_mov_b32_e32 v16, 0
.LBB76_109:
	s_mov_b64 s[2:3], 0x101
	s_waitcnt lgkmcnt(0)
	v_cmp_gt_u64_e32 vcc, s[2:3], v[13:14]
	s_mov_b64 s[4:5], -1
	v_cmp_eq_u32_e64 s[2:3], 1, v41
	s_cbranch_vccnz .LBB76_113
; %bb.110:
	s_and_b64 vcc, exec, s[4:5]
	s_cbranch_vccnz .LBB76_128
.LBB76_111:
	s_and_b64 s[0:1], s[0:1], s[12:13]
	s_and_saveexec_b64 s[2:3], s[0:1]
	s_cbranch_execnz .LBB76_139
.LBB76_112:
	s_endpgm
.LBB76_113:
	v_add_co_u32_e32 v23, vcc, v15, v13
	v_addc_co_u32_e32 v24, vcc, v16, v14, vcc
	v_cmp_lt_u64_e32 vcc, v[33:34], v[23:24]
	s_or_b64 s[4:5], s[18:19], vcc
	s_and_b64 s[4:5], s[4:5], s[2:3]
	s_and_saveexec_b64 s[2:3], s[4:5]
	s_cbranch_execz .LBB76_115
; %bb.114:
	s_lshl_b64 s[4:5], s[10:11], 3
	s_add_u32 s4, s16, s4
	v_lshlrev_b64 v[42:43], 3, v[33:34]
	s_addc_u32 s5, s17, s5
	v_mov_b32_e32 v34, s5
	v_add_co_u32_e32 v42, vcc, s4, v42
	v_addc_co_u32_e32 v43, vcc, v34, v43, vcc
	global_store_dwordx2 v[42:43], v[9:10], off
.LBB76_115:
	s_or_b64 exec, exec, s[2:3]
	v_cmp_lt_u64_e32 vcc, v[31:32], v[23:24]
	s_or_b64 s[2:3], s[18:19], vcc
	v_cmp_eq_u32_e32 vcc, 1, v40
	s_and_b64 s[4:5], s[2:3], vcc
	s_and_saveexec_b64 s[2:3], s[4:5]
	s_cbranch_execz .LBB76_117
; %bb.116:
	s_lshl_b64 s[4:5], s[10:11], 3
	s_add_u32 s4, s16, s4
	v_lshlrev_b64 v[42:43], 3, v[31:32]
	s_addc_u32 s5, s17, s5
	v_mov_b32_e32 v32, s5
	v_add_co_u32_e32 v42, vcc, s4, v42
	v_addc_co_u32_e32 v43, vcc, v32, v43, vcc
	global_store_dwordx2 v[42:43], v[11:12], off
.LBB76_117:
	s_or_b64 exec, exec, s[2:3]
	v_cmp_lt_u64_e32 vcc, v[29:30], v[23:24]
	s_or_b64 s[2:3], s[18:19], vcc
	v_cmp_eq_u32_e32 vcc, 1, v39
	s_and_b64 s[4:5], s[2:3], vcc
	;; [unrolled: 17-line block ×6, first 2 shown]
	s_and_saveexec_b64 s[2:3], s[4:5]
	s_cbranch_execz .LBB76_127
; %bb.126:
	s_lshl_b64 s[4:5], s[10:11], 3
	s_add_u32 s4, s16, s4
	v_lshlrev_b64 v[23:24], 3, v[19:20]
	s_addc_u32 s5, s17, s5
	v_mov_b32_e32 v18, s5
	v_add_co_u32_e32 v23, vcc, s4, v23
	v_addc_co_u32_e32 v24, vcc, v18, v24, vcc
	global_store_dwordx2 v[23:24], v[21:22], off
.LBB76_127:
	s_or_b64 exec, exec, s[2:3]
	s_branch .LBB76_111
.LBB76_128:
	v_cmp_eq_u32_e32 vcc, 1, v41
	s_and_saveexec_b64 s[2:3], vcc
	s_cbranch_execnz .LBB76_140
; %bb.129:
	s_or_b64 exec, exec, s[2:3]
	v_cmp_eq_u32_e32 vcc, 1, v40
	s_and_saveexec_b64 s[2:3], vcc
	s_cbranch_execnz .LBB76_141
.LBB76_130:
	s_or_b64 exec, exec, s[2:3]
	v_cmp_eq_u32_e32 vcc, 1, v39
	s_and_saveexec_b64 s[2:3], vcc
	s_cbranch_execnz .LBB76_142
.LBB76_131:
	s_or_b64 exec, exec, s[2:3]
	v_cmp_eq_u32_e32 vcc, 1, v38
	s_and_saveexec_b64 s[2:3], vcc
	s_cbranch_execnz .LBB76_143
.LBB76_132:
	s_or_b64 exec, exec, s[2:3]
	v_cmp_eq_u32_e32 vcc, 1, v37
	s_and_saveexec_b64 s[2:3], vcc
	s_cbranch_execnz .LBB76_144
.LBB76_133:
	s_or_b64 exec, exec, s[2:3]
	v_cmp_eq_u32_e32 vcc, 1, v36
	s_and_saveexec_b64 s[2:3], vcc
	s_cbranch_execnz .LBB76_145
.LBB76_134:
	s_or_b64 exec, exec, s[2:3]
	v_cmp_eq_u32_e32 vcc, 1, v35
	s_and_saveexec_b64 s[2:3], vcc
.LBB76_135:
	v_sub_u32_e32 v1, v19, v15
	v_lshlrev_b32_e32 v1, 3, v1
	ds_write_b64 v1, v[21:22]
.LBB76_136:
	s_or_b64 exec, exec, s[2:3]
	v_lshlrev_b64 v[4:5], 3, v[15:16]
	v_mov_b32_e32 v6, s17
	v_add_co_u32_e32 v4, vcc, s16, v4
	v_mov_b32_e32 v1, 0
	v_addc_co_u32_e32 v5, vcc, v6, v5, vcc
	s_lshl_b64 s[2:3], s[10:11], 3
	v_mov_b32_e32 v3, v1
	v_mov_b32_e32 v6, s3
	v_add_co_u32_e32 v4, vcc, s2, v4
	v_mov_b32_e32 v2, v0
	v_addc_co_u32_e32 v5, vcc, v5, v6, vcc
	v_or_b32_e32 v0, 0x100, v0
	s_mov_b64 s[4:5], 0
	s_waitcnt vmcnt(0) lgkmcnt(0)
	s_barrier
.LBB76_137:                             ; =>This Inner Loop Header: Depth=1
	v_lshlrev_b32_e32 v8, 3, v2
	ds_read_b64 v[8:9], v8
	v_lshlrev_b64 v[6:7], 3, v[2:3]
	v_cmp_le_u64_e32 vcc, v[13:14], v[0:1]
	v_mov_b32_e32 v3, v1
	v_add_co_u32_e64 v6, s[2:3], v4, v6
	v_mov_b32_e32 v2, v0
	v_add_u32_e32 v0, 0x100, v0
	v_addc_co_u32_e64 v7, s[2:3], v5, v7, s[2:3]
	s_or_b64 s[4:5], vcc, s[4:5]
	s_waitcnt lgkmcnt(0)
	global_store_dwordx2 v[6:7], v[8:9], off
	s_andn2_b64 exec, exec, s[4:5]
	s_cbranch_execnz .LBB76_137
; %bb.138:
	s_or_b64 exec, exec, s[4:5]
	s_and_b64 s[0:1], s[0:1], s[12:13]
	s_and_saveexec_b64 s[2:3], s[0:1]
	s_cbranch_execz .LBB76_112
.LBB76_139:
	v_add_co_u32_e32 v0, vcc, v15, v13
	v_addc_co_u32_e32 v1, vcc, v16, v14, vcc
	v_mov_b32_e32 v3, s11
	v_add_co_u32_e32 v0, vcc, s10, v0
	v_mov_b32_e32 v2, 0
	v_addc_co_u32_e32 v1, vcc, v1, v3, vcc
	global_store_dwordx2 v2, v[0:1], s[8:9]
	s_endpgm
.LBB76_140:
	v_sub_u32_e32 v18, v33, v15
	v_lshlrev_b32_e32 v18, 3, v18
	ds_write_b64 v18, v[9:10]
	s_or_b64 exec, exec, s[2:3]
	v_cmp_eq_u32_e32 vcc, 1, v40
	s_and_saveexec_b64 s[2:3], vcc
	s_cbranch_execz .LBB76_130
.LBB76_141:
	v_sub_u32_e32 v9, v31, v15
	v_lshlrev_b32_e32 v9, 3, v9
	ds_write_b64 v9, v[11:12]
	s_or_b64 exec, exec, s[2:3]
	v_cmp_eq_u32_e32 vcc, 1, v39
	s_and_saveexec_b64 s[2:3], vcc
	s_cbranch_execz .LBB76_131
.LBB76_142:
	v_sub_u32_e32 v9, v29, v15
	v_lshlrev_b32_e32 v9, 3, v9
	ds_write_b64 v9, v[5:6]
	s_or_b64 exec, exec, s[2:3]
	v_cmp_eq_u32_e32 vcc, 1, v38
	s_and_saveexec_b64 s[2:3], vcc
	s_cbranch_execz .LBB76_132
.LBB76_143:
	v_sub_u32_e32 v5, v27, v15
	v_lshlrev_b32_e32 v5, 3, v5
	ds_write_b64 v5, v[7:8]
	s_or_b64 exec, exec, s[2:3]
	v_cmp_eq_u32_e32 vcc, 1, v37
	s_and_saveexec_b64 s[2:3], vcc
	s_cbranch_execz .LBB76_133
.LBB76_144:
	v_sub_u32_e32 v5, v25, v15
	v_lshlrev_b32_e32 v5, 3, v5
	ds_write_b64 v5, v[1:2]
	s_or_b64 exec, exec, s[2:3]
	v_cmp_eq_u32_e32 vcc, 1, v36
	s_and_saveexec_b64 s[2:3], vcc
	s_cbranch_execz .LBB76_134
.LBB76_145:
	v_sub_u32_e32 v1, v17, v15
	v_lshlrev_b32_e32 v1, 3, v1
	ds_write_b64 v1, v[3:4]
	s_or_b64 exec, exec, s[2:3]
	v_cmp_eq_u32_e32 vcc, 1, v35
	s_and_saveexec_b64 s[2:3], vcc
	s_cbranch_execnz .LBB76_135
	s_branch .LBB76_136
	.section	.rodata,"a",@progbits
	.p2align	6, 0x0
	.amdhsa_kernel _ZN7rocprim17ROCPRIM_400000_NS6detail17trampoline_kernelINS0_14default_configENS1_25partition_config_selectorILNS1_17partition_subalgoE5ElNS0_10empty_typeEbEEZZNS1_14partition_implILS5_5ELb0ES3_mN6hipcub16HIPCUB_304000_NS21CountingInputIteratorIllEEPS6_NSA_22TransformInputIteratorIb7NonZeroIaEPalEENS0_5tupleIJPlS6_EEENSJ_IJSD_SD_EEES6_SK_JS6_EEE10hipError_tPvRmT3_T4_T5_T6_T7_T9_mT8_P12ihipStream_tbDpT10_ENKUlT_T0_E_clISt17integral_constantIbLb0EES15_IbLb1EEEEDaS11_S12_EUlS11_E_NS1_11comp_targetILNS1_3genE2ELNS1_11target_archE906ELNS1_3gpuE6ELNS1_3repE0EEENS1_30default_config_static_selectorELNS0_4arch9wavefront6targetE1EEEvT1_
		.amdhsa_group_segment_fixed_size 14352
		.amdhsa_private_segment_fixed_size 0
		.amdhsa_kernarg_size 136
		.amdhsa_user_sgpr_count 6
		.amdhsa_user_sgpr_private_segment_buffer 1
		.amdhsa_user_sgpr_dispatch_ptr 0
		.amdhsa_user_sgpr_queue_ptr 0
		.amdhsa_user_sgpr_kernarg_segment_ptr 1
		.amdhsa_user_sgpr_dispatch_id 0
		.amdhsa_user_sgpr_flat_scratch_init 0
		.amdhsa_user_sgpr_private_segment_size 0
		.amdhsa_uses_dynamic_stack 0
		.amdhsa_system_sgpr_private_segment_wavefront_offset 0
		.amdhsa_system_sgpr_workgroup_id_x 1
		.amdhsa_system_sgpr_workgroup_id_y 0
		.amdhsa_system_sgpr_workgroup_id_z 0
		.amdhsa_system_sgpr_workgroup_info 0
		.amdhsa_system_vgpr_workitem_id 0
		.amdhsa_next_free_vgpr 59
		.amdhsa_next_free_sgpr 98
		.amdhsa_reserve_vcc 1
		.amdhsa_reserve_flat_scratch 0
		.amdhsa_float_round_mode_32 0
		.amdhsa_float_round_mode_16_64 0
		.amdhsa_float_denorm_mode_32 3
		.amdhsa_float_denorm_mode_16_64 3
		.amdhsa_dx10_clamp 1
		.amdhsa_ieee_mode 1
		.amdhsa_fp16_overflow 0
		.amdhsa_exception_fp_ieee_invalid_op 0
		.amdhsa_exception_fp_denorm_src 0
		.amdhsa_exception_fp_ieee_div_zero 0
		.amdhsa_exception_fp_ieee_overflow 0
		.amdhsa_exception_fp_ieee_underflow 0
		.amdhsa_exception_fp_ieee_inexact 0
		.amdhsa_exception_int_div_zero 0
	.end_amdhsa_kernel
	.section	.text._ZN7rocprim17ROCPRIM_400000_NS6detail17trampoline_kernelINS0_14default_configENS1_25partition_config_selectorILNS1_17partition_subalgoE5ElNS0_10empty_typeEbEEZZNS1_14partition_implILS5_5ELb0ES3_mN6hipcub16HIPCUB_304000_NS21CountingInputIteratorIllEEPS6_NSA_22TransformInputIteratorIb7NonZeroIaEPalEENS0_5tupleIJPlS6_EEENSJ_IJSD_SD_EEES6_SK_JS6_EEE10hipError_tPvRmT3_T4_T5_T6_T7_T9_mT8_P12ihipStream_tbDpT10_ENKUlT_T0_E_clISt17integral_constantIbLb0EES15_IbLb1EEEEDaS11_S12_EUlS11_E_NS1_11comp_targetILNS1_3genE2ELNS1_11target_archE906ELNS1_3gpuE6ELNS1_3repE0EEENS1_30default_config_static_selectorELNS0_4arch9wavefront6targetE1EEEvT1_,"axG",@progbits,_ZN7rocprim17ROCPRIM_400000_NS6detail17trampoline_kernelINS0_14default_configENS1_25partition_config_selectorILNS1_17partition_subalgoE5ElNS0_10empty_typeEbEEZZNS1_14partition_implILS5_5ELb0ES3_mN6hipcub16HIPCUB_304000_NS21CountingInputIteratorIllEEPS6_NSA_22TransformInputIteratorIb7NonZeroIaEPalEENS0_5tupleIJPlS6_EEENSJ_IJSD_SD_EEES6_SK_JS6_EEE10hipError_tPvRmT3_T4_T5_T6_T7_T9_mT8_P12ihipStream_tbDpT10_ENKUlT_T0_E_clISt17integral_constantIbLb0EES15_IbLb1EEEEDaS11_S12_EUlS11_E_NS1_11comp_targetILNS1_3genE2ELNS1_11target_archE906ELNS1_3gpuE6ELNS1_3repE0EEENS1_30default_config_static_selectorELNS0_4arch9wavefront6targetE1EEEvT1_,comdat
.Lfunc_end76:
	.size	_ZN7rocprim17ROCPRIM_400000_NS6detail17trampoline_kernelINS0_14default_configENS1_25partition_config_selectorILNS1_17partition_subalgoE5ElNS0_10empty_typeEbEEZZNS1_14partition_implILS5_5ELb0ES3_mN6hipcub16HIPCUB_304000_NS21CountingInputIteratorIllEEPS6_NSA_22TransformInputIteratorIb7NonZeroIaEPalEENS0_5tupleIJPlS6_EEENSJ_IJSD_SD_EEES6_SK_JS6_EEE10hipError_tPvRmT3_T4_T5_T6_T7_T9_mT8_P12ihipStream_tbDpT10_ENKUlT_T0_E_clISt17integral_constantIbLb0EES15_IbLb1EEEEDaS11_S12_EUlS11_E_NS1_11comp_targetILNS1_3genE2ELNS1_11target_archE906ELNS1_3gpuE6ELNS1_3repE0EEENS1_30default_config_static_selectorELNS0_4arch9wavefront6targetE1EEEvT1_, .Lfunc_end76-_ZN7rocprim17ROCPRIM_400000_NS6detail17trampoline_kernelINS0_14default_configENS1_25partition_config_selectorILNS1_17partition_subalgoE5ElNS0_10empty_typeEbEEZZNS1_14partition_implILS5_5ELb0ES3_mN6hipcub16HIPCUB_304000_NS21CountingInputIteratorIllEEPS6_NSA_22TransformInputIteratorIb7NonZeroIaEPalEENS0_5tupleIJPlS6_EEENSJ_IJSD_SD_EEES6_SK_JS6_EEE10hipError_tPvRmT3_T4_T5_T6_T7_T9_mT8_P12ihipStream_tbDpT10_ENKUlT_T0_E_clISt17integral_constantIbLb0EES15_IbLb1EEEEDaS11_S12_EUlS11_E_NS1_11comp_targetILNS1_3genE2ELNS1_11target_archE906ELNS1_3gpuE6ELNS1_3repE0EEENS1_30default_config_static_selectorELNS0_4arch9wavefront6targetE1EEEvT1_
                                        ; -- End function
	.set _ZN7rocprim17ROCPRIM_400000_NS6detail17trampoline_kernelINS0_14default_configENS1_25partition_config_selectorILNS1_17partition_subalgoE5ElNS0_10empty_typeEbEEZZNS1_14partition_implILS5_5ELb0ES3_mN6hipcub16HIPCUB_304000_NS21CountingInputIteratorIllEEPS6_NSA_22TransformInputIteratorIb7NonZeroIaEPalEENS0_5tupleIJPlS6_EEENSJ_IJSD_SD_EEES6_SK_JS6_EEE10hipError_tPvRmT3_T4_T5_T6_T7_T9_mT8_P12ihipStream_tbDpT10_ENKUlT_T0_E_clISt17integral_constantIbLb0EES15_IbLb1EEEEDaS11_S12_EUlS11_E_NS1_11comp_targetILNS1_3genE2ELNS1_11target_archE906ELNS1_3gpuE6ELNS1_3repE0EEENS1_30default_config_static_selectorELNS0_4arch9wavefront6targetE1EEEvT1_.num_vgpr, 59
	.set _ZN7rocprim17ROCPRIM_400000_NS6detail17trampoline_kernelINS0_14default_configENS1_25partition_config_selectorILNS1_17partition_subalgoE5ElNS0_10empty_typeEbEEZZNS1_14partition_implILS5_5ELb0ES3_mN6hipcub16HIPCUB_304000_NS21CountingInputIteratorIllEEPS6_NSA_22TransformInputIteratorIb7NonZeroIaEPalEENS0_5tupleIJPlS6_EEENSJ_IJSD_SD_EEES6_SK_JS6_EEE10hipError_tPvRmT3_T4_T5_T6_T7_T9_mT8_P12ihipStream_tbDpT10_ENKUlT_T0_E_clISt17integral_constantIbLb0EES15_IbLb1EEEEDaS11_S12_EUlS11_E_NS1_11comp_targetILNS1_3genE2ELNS1_11target_archE906ELNS1_3gpuE6ELNS1_3repE0EEENS1_30default_config_static_selectorELNS0_4arch9wavefront6targetE1EEEvT1_.num_agpr, 0
	.set _ZN7rocprim17ROCPRIM_400000_NS6detail17trampoline_kernelINS0_14default_configENS1_25partition_config_selectorILNS1_17partition_subalgoE5ElNS0_10empty_typeEbEEZZNS1_14partition_implILS5_5ELb0ES3_mN6hipcub16HIPCUB_304000_NS21CountingInputIteratorIllEEPS6_NSA_22TransformInputIteratorIb7NonZeroIaEPalEENS0_5tupleIJPlS6_EEENSJ_IJSD_SD_EEES6_SK_JS6_EEE10hipError_tPvRmT3_T4_T5_T6_T7_T9_mT8_P12ihipStream_tbDpT10_ENKUlT_T0_E_clISt17integral_constantIbLb0EES15_IbLb1EEEEDaS11_S12_EUlS11_E_NS1_11comp_targetILNS1_3genE2ELNS1_11target_archE906ELNS1_3gpuE6ELNS1_3repE0EEENS1_30default_config_static_selectorELNS0_4arch9wavefront6targetE1EEEvT1_.numbered_sgpr, 28
	.set _ZN7rocprim17ROCPRIM_400000_NS6detail17trampoline_kernelINS0_14default_configENS1_25partition_config_selectorILNS1_17partition_subalgoE5ElNS0_10empty_typeEbEEZZNS1_14partition_implILS5_5ELb0ES3_mN6hipcub16HIPCUB_304000_NS21CountingInputIteratorIllEEPS6_NSA_22TransformInputIteratorIb7NonZeroIaEPalEENS0_5tupleIJPlS6_EEENSJ_IJSD_SD_EEES6_SK_JS6_EEE10hipError_tPvRmT3_T4_T5_T6_T7_T9_mT8_P12ihipStream_tbDpT10_ENKUlT_T0_E_clISt17integral_constantIbLb0EES15_IbLb1EEEEDaS11_S12_EUlS11_E_NS1_11comp_targetILNS1_3genE2ELNS1_11target_archE906ELNS1_3gpuE6ELNS1_3repE0EEENS1_30default_config_static_selectorELNS0_4arch9wavefront6targetE1EEEvT1_.num_named_barrier, 0
	.set _ZN7rocprim17ROCPRIM_400000_NS6detail17trampoline_kernelINS0_14default_configENS1_25partition_config_selectorILNS1_17partition_subalgoE5ElNS0_10empty_typeEbEEZZNS1_14partition_implILS5_5ELb0ES3_mN6hipcub16HIPCUB_304000_NS21CountingInputIteratorIllEEPS6_NSA_22TransformInputIteratorIb7NonZeroIaEPalEENS0_5tupleIJPlS6_EEENSJ_IJSD_SD_EEES6_SK_JS6_EEE10hipError_tPvRmT3_T4_T5_T6_T7_T9_mT8_P12ihipStream_tbDpT10_ENKUlT_T0_E_clISt17integral_constantIbLb0EES15_IbLb1EEEEDaS11_S12_EUlS11_E_NS1_11comp_targetILNS1_3genE2ELNS1_11target_archE906ELNS1_3gpuE6ELNS1_3repE0EEENS1_30default_config_static_selectorELNS0_4arch9wavefront6targetE1EEEvT1_.private_seg_size, 0
	.set _ZN7rocprim17ROCPRIM_400000_NS6detail17trampoline_kernelINS0_14default_configENS1_25partition_config_selectorILNS1_17partition_subalgoE5ElNS0_10empty_typeEbEEZZNS1_14partition_implILS5_5ELb0ES3_mN6hipcub16HIPCUB_304000_NS21CountingInputIteratorIllEEPS6_NSA_22TransformInputIteratorIb7NonZeroIaEPalEENS0_5tupleIJPlS6_EEENSJ_IJSD_SD_EEES6_SK_JS6_EEE10hipError_tPvRmT3_T4_T5_T6_T7_T9_mT8_P12ihipStream_tbDpT10_ENKUlT_T0_E_clISt17integral_constantIbLb0EES15_IbLb1EEEEDaS11_S12_EUlS11_E_NS1_11comp_targetILNS1_3genE2ELNS1_11target_archE906ELNS1_3gpuE6ELNS1_3repE0EEENS1_30default_config_static_selectorELNS0_4arch9wavefront6targetE1EEEvT1_.uses_vcc, 1
	.set _ZN7rocprim17ROCPRIM_400000_NS6detail17trampoline_kernelINS0_14default_configENS1_25partition_config_selectorILNS1_17partition_subalgoE5ElNS0_10empty_typeEbEEZZNS1_14partition_implILS5_5ELb0ES3_mN6hipcub16HIPCUB_304000_NS21CountingInputIteratorIllEEPS6_NSA_22TransformInputIteratorIb7NonZeroIaEPalEENS0_5tupleIJPlS6_EEENSJ_IJSD_SD_EEES6_SK_JS6_EEE10hipError_tPvRmT3_T4_T5_T6_T7_T9_mT8_P12ihipStream_tbDpT10_ENKUlT_T0_E_clISt17integral_constantIbLb0EES15_IbLb1EEEEDaS11_S12_EUlS11_E_NS1_11comp_targetILNS1_3genE2ELNS1_11target_archE906ELNS1_3gpuE6ELNS1_3repE0EEENS1_30default_config_static_selectorELNS0_4arch9wavefront6targetE1EEEvT1_.uses_flat_scratch, 0
	.set _ZN7rocprim17ROCPRIM_400000_NS6detail17trampoline_kernelINS0_14default_configENS1_25partition_config_selectorILNS1_17partition_subalgoE5ElNS0_10empty_typeEbEEZZNS1_14partition_implILS5_5ELb0ES3_mN6hipcub16HIPCUB_304000_NS21CountingInputIteratorIllEEPS6_NSA_22TransformInputIteratorIb7NonZeroIaEPalEENS0_5tupleIJPlS6_EEENSJ_IJSD_SD_EEES6_SK_JS6_EEE10hipError_tPvRmT3_T4_T5_T6_T7_T9_mT8_P12ihipStream_tbDpT10_ENKUlT_T0_E_clISt17integral_constantIbLb0EES15_IbLb1EEEEDaS11_S12_EUlS11_E_NS1_11comp_targetILNS1_3genE2ELNS1_11target_archE906ELNS1_3gpuE6ELNS1_3repE0EEENS1_30default_config_static_selectorELNS0_4arch9wavefront6targetE1EEEvT1_.has_dyn_sized_stack, 0
	.set _ZN7rocprim17ROCPRIM_400000_NS6detail17trampoline_kernelINS0_14default_configENS1_25partition_config_selectorILNS1_17partition_subalgoE5ElNS0_10empty_typeEbEEZZNS1_14partition_implILS5_5ELb0ES3_mN6hipcub16HIPCUB_304000_NS21CountingInputIteratorIllEEPS6_NSA_22TransformInputIteratorIb7NonZeroIaEPalEENS0_5tupleIJPlS6_EEENSJ_IJSD_SD_EEES6_SK_JS6_EEE10hipError_tPvRmT3_T4_T5_T6_T7_T9_mT8_P12ihipStream_tbDpT10_ENKUlT_T0_E_clISt17integral_constantIbLb0EES15_IbLb1EEEEDaS11_S12_EUlS11_E_NS1_11comp_targetILNS1_3genE2ELNS1_11target_archE906ELNS1_3gpuE6ELNS1_3repE0EEENS1_30default_config_static_selectorELNS0_4arch9wavefront6targetE1EEEvT1_.has_recursion, 0
	.set _ZN7rocprim17ROCPRIM_400000_NS6detail17trampoline_kernelINS0_14default_configENS1_25partition_config_selectorILNS1_17partition_subalgoE5ElNS0_10empty_typeEbEEZZNS1_14partition_implILS5_5ELb0ES3_mN6hipcub16HIPCUB_304000_NS21CountingInputIteratorIllEEPS6_NSA_22TransformInputIteratorIb7NonZeroIaEPalEENS0_5tupleIJPlS6_EEENSJ_IJSD_SD_EEES6_SK_JS6_EEE10hipError_tPvRmT3_T4_T5_T6_T7_T9_mT8_P12ihipStream_tbDpT10_ENKUlT_T0_E_clISt17integral_constantIbLb0EES15_IbLb1EEEEDaS11_S12_EUlS11_E_NS1_11comp_targetILNS1_3genE2ELNS1_11target_archE906ELNS1_3gpuE6ELNS1_3repE0EEENS1_30default_config_static_selectorELNS0_4arch9wavefront6targetE1EEEvT1_.has_indirect_call, 0
	.section	.AMDGPU.csdata,"",@progbits
; Kernel info:
; codeLenInByte = 6000
; TotalNumSgprs: 32
; NumVgprs: 59
; ScratchSize: 0
; MemoryBound: 0
; FloatMode: 240
; IeeeMode: 1
; LDSByteSize: 14352 bytes/workgroup (compile time only)
; SGPRBlocks: 12
; VGPRBlocks: 14
; NumSGPRsForWavesPerEU: 102
; NumVGPRsForWavesPerEU: 59
; Occupancy: 4
; WaveLimiterHint : 1
; COMPUTE_PGM_RSRC2:SCRATCH_EN: 0
; COMPUTE_PGM_RSRC2:USER_SGPR: 6
; COMPUTE_PGM_RSRC2:TRAP_HANDLER: 0
; COMPUTE_PGM_RSRC2:TGID_X_EN: 1
; COMPUTE_PGM_RSRC2:TGID_Y_EN: 0
; COMPUTE_PGM_RSRC2:TGID_Z_EN: 0
; COMPUTE_PGM_RSRC2:TIDIG_COMP_CNT: 0
	.section	.text._ZN7rocprim17ROCPRIM_400000_NS6detail17trampoline_kernelINS0_14default_configENS1_25partition_config_selectorILNS1_17partition_subalgoE5ElNS0_10empty_typeEbEEZZNS1_14partition_implILS5_5ELb0ES3_mN6hipcub16HIPCUB_304000_NS21CountingInputIteratorIllEEPS6_NSA_22TransformInputIteratorIb7NonZeroIaEPalEENS0_5tupleIJPlS6_EEENSJ_IJSD_SD_EEES6_SK_JS6_EEE10hipError_tPvRmT3_T4_T5_T6_T7_T9_mT8_P12ihipStream_tbDpT10_ENKUlT_T0_E_clISt17integral_constantIbLb0EES15_IbLb1EEEEDaS11_S12_EUlS11_E_NS1_11comp_targetILNS1_3genE10ELNS1_11target_archE1200ELNS1_3gpuE4ELNS1_3repE0EEENS1_30default_config_static_selectorELNS0_4arch9wavefront6targetE1EEEvT1_,"axG",@progbits,_ZN7rocprim17ROCPRIM_400000_NS6detail17trampoline_kernelINS0_14default_configENS1_25partition_config_selectorILNS1_17partition_subalgoE5ElNS0_10empty_typeEbEEZZNS1_14partition_implILS5_5ELb0ES3_mN6hipcub16HIPCUB_304000_NS21CountingInputIteratorIllEEPS6_NSA_22TransformInputIteratorIb7NonZeroIaEPalEENS0_5tupleIJPlS6_EEENSJ_IJSD_SD_EEES6_SK_JS6_EEE10hipError_tPvRmT3_T4_T5_T6_T7_T9_mT8_P12ihipStream_tbDpT10_ENKUlT_T0_E_clISt17integral_constantIbLb0EES15_IbLb1EEEEDaS11_S12_EUlS11_E_NS1_11comp_targetILNS1_3genE10ELNS1_11target_archE1200ELNS1_3gpuE4ELNS1_3repE0EEENS1_30default_config_static_selectorELNS0_4arch9wavefront6targetE1EEEvT1_,comdat
	.protected	_ZN7rocprim17ROCPRIM_400000_NS6detail17trampoline_kernelINS0_14default_configENS1_25partition_config_selectorILNS1_17partition_subalgoE5ElNS0_10empty_typeEbEEZZNS1_14partition_implILS5_5ELb0ES3_mN6hipcub16HIPCUB_304000_NS21CountingInputIteratorIllEEPS6_NSA_22TransformInputIteratorIb7NonZeroIaEPalEENS0_5tupleIJPlS6_EEENSJ_IJSD_SD_EEES6_SK_JS6_EEE10hipError_tPvRmT3_T4_T5_T6_T7_T9_mT8_P12ihipStream_tbDpT10_ENKUlT_T0_E_clISt17integral_constantIbLb0EES15_IbLb1EEEEDaS11_S12_EUlS11_E_NS1_11comp_targetILNS1_3genE10ELNS1_11target_archE1200ELNS1_3gpuE4ELNS1_3repE0EEENS1_30default_config_static_selectorELNS0_4arch9wavefront6targetE1EEEvT1_ ; -- Begin function _ZN7rocprim17ROCPRIM_400000_NS6detail17trampoline_kernelINS0_14default_configENS1_25partition_config_selectorILNS1_17partition_subalgoE5ElNS0_10empty_typeEbEEZZNS1_14partition_implILS5_5ELb0ES3_mN6hipcub16HIPCUB_304000_NS21CountingInputIteratorIllEEPS6_NSA_22TransformInputIteratorIb7NonZeroIaEPalEENS0_5tupleIJPlS6_EEENSJ_IJSD_SD_EEES6_SK_JS6_EEE10hipError_tPvRmT3_T4_T5_T6_T7_T9_mT8_P12ihipStream_tbDpT10_ENKUlT_T0_E_clISt17integral_constantIbLb0EES15_IbLb1EEEEDaS11_S12_EUlS11_E_NS1_11comp_targetILNS1_3genE10ELNS1_11target_archE1200ELNS1_3gpuE4ELNS1_3repE0EEENS1_30default_config_static_selectorELNS0_4arch9wavefront6targetE1EEEvT1_
	.globl	_ZN7rocprim17ROCPRIM_400000_NS6detail17trampoline_kernelINS0_14default_configENS1_25partition_config_selectorILNS1_17partition_subalgoE5ElNS0_10empty_typeEbEEZZNS1_14partition_implILS5_5ELb0ES3_mN6hipcub16HIPCUB_304000_NS21CountingInputIteratorIllEEPS6_NSA_22TransformInputIteratorIb7NonZeroIaEPalEENS0_5tupleIJPlS6_EEENSJ_IJSD_SD_EEES6_SK_JS6_EEE10hipError_tPvRmT3_T4_T5_T6_T7_T9_mT8_P12ihipStream_tbDpT10_ENKUlT_T0_E_clISt17integral_constantIbLb0EES15_IbLb1EEEEDaS11_S12_EUlS11_E_NS1_11comp_targetILNS1_3genE10ELNS1_11target_archE1200ELNS1_3gpuE4ELNS1_3repE0EEENS1_30default_config_static_selectorELNS0_4arch9wavefront6targetE1EEEvT1_
	.p2align	8
	.type	_ZN7rocprim17ROCPRIM_400000_NS6detail17trampoline_kernelINS0_14default_configENS1_25partition_config_selectorILNS1_17partition_subalgoE5ElNS0_10empty_typeEbEEZZNS1_14partition_implILS5_5ELb0ES3_mN6hipcub16HIPCUB_304000_NS21CountingInputIteratorIllEEPS6_NSA_22TransformInputIteratorIb7NonZeroIaEPalEENS0_5tupleIJPlS6_EEENSJ_IJSD_SD_EEES6_SK_JS6_EEE10hipError_tPvRmT3_T4_T5_T6_T7_T9_mT8_P12ihipStream_tbDpT10_ENKUlT_T0_E_clISt17integral_constantIbLb0EES15_IbLb1EEEEDaS11_S12_EUlS11_E_NS1_11comp_targetILNS1_3genE10ELNS1_11target_archE1200ELNS1_3gpuE4ELNS1_3repE0EEENS1_30default_config_static_selectorELNS0_4arch9wavefront6targetE1EEEvT1_,@function
_ZN7rocprim17ROCPRIM_400000_NS6detail17trampoline_kernelINS0_14default_configENS1_25partition_config_selectorILNS1_17partition_subalgoE5ElNS0_10empty_typeEbEEZZNS1_14partition_implILS5_5ELb0ES3_mN6hipcub16HIPCUB_304000_NS21CountingInputIteratorIllEEPS6_NSA_22TransformInputIteratorIb7NonZeroIaEPalEENS0_5tupleIJPlS6_EEENSJ_IJSD_SD_EEES6_SK_JS6_EEE10hipError_tPvRmT3_T4_T5_T6_T7_T9_mT8_P12ihipStream_tbDpT10_ENKUlT_T0_E_clISt17integral_constantIbLb0EES15_IbLb1EEEEDaS11_S12_EUlS11_E_NS1_11comp_targetILNS1_3genE10ELNS1_11target_archE1200ELNS1_3gpuE4ELNS1_3repE0EEENS1_30default_config_static_selectorELNS0_4arch9wavefront6targetE1EEEvT1_: ; @_ZN7rocprim17ROCPRIM_400000_NS6detail17trampoline_kernelINS0_14default_configENS1_25partition_config_selectorILNS1_17partition_subalgoE5ElNS0_10empty_typeEbEEZZNS1_14partition_implILS5_5ELb0ES3_mN6hipcub16HIPCUB_304000_NS21CountingInputIteratorIllEEPS6_NSA_22TransformInputIteratorIb7NonZeroIaEPalEENS0_5tupleIJPlS6_EEENSJ_IJSD_SD_EEES6_SK_JS6_EEE10hipError_tPvRmT3_T4_T5_T6_T7_T9_mT8_P12ihipStream_tbDpT10_ENKUlT_T0_E_clISt17integral_constantIbLb0EES15_IbLb1EEEEDaS11_S12_EUlS11_E_NS1_11comp_targetILNS1_3genE10ELNS1_11target_archE1200ELNS1_3gpuE4ELNS1_3repE0EEENS1_30default_config_static_selectorELNS0_4arch9wavefront6targetE1EEEvT1_
; %bb.0:
	.section	.rodata,"a",@progbits
	.p2align	6, 0x0
	.amdhsa_kernel _ZN7rocprim17ROCPRIM_400000_NS6detail17trampoline_kernelINS0_14default_configENS1_25partition_config_selectorILNS1_17partition_subalgoE5ElNS0_10empty_typeEbEEZZNS1_14partition_implILS5_5ELb0ES3_mN6hipcub16HIPCUB_304000_NS21CountingInputIteratorIllEEPS6_NSA_22TransformInputIteratorIb7NonZeroIaEPalEENS0_5tupleIJPlS6_EEENSJ_IJSD_SD_EEES6_SK_JS6_EEE10hipError_tPvRmT3_T4_T5_T6_T7_T9_mT8_P12ihipStream_tbDpT10_ENKUlT_T0_E_clISt17integral_constantIbLb0EES15_IbLb1EEEEDaS11_S12_EUlS11_E_NS1_11comp_targetILNS1_3genE10ELNS1_11target_archE1200ELNS1_3gpuE4ELNS1_3repE0EEENS1_30default_config_static_selectorELNS0_4arch9wavefront6targetE1EEEvT1_
		.amdhsa_group_segment_fixed_size 0
		.amdhsa_private_segment_fixed_size 0
		.amdhsa_kernarg_size 136
		.amdhsa_user_sgpr_count 6
		.amdhsa_user_sgpr_private_segment_buffer 1
		.amdhsa_user_sgpr_dispatch_ptr 0
		.amdhsa_user_sgpr_queue_ptr 0
		.amdhsa_user_sgpr_kernarg_segment_ptr 1
		.amdhsa_user_sgpr_dispatch_id 0
		.amdhsa_user_sgpr_flat_scratch_init 0
		.amdhsa_user_sgpr_private_segment_size 0
		.amdhsa_uses_dynamic_stack 0
		.amdhsa_system_sgpr_private_segment_wavefront_offset 0
		.amdhsa_system_sgpr_workgroup_id_x 1
		.amdhsa_system_sgpr_workgroup_id_y 0
		.amdhsa_system_sgpr_workgroup_id_z 0
		.amdhsa_system_sgpr_workgroup_info 0
		.amdhsa_system_vgpr_workitem_id 0
		.amdhsa_next_free_vgpr 1
		.amdhsa_next_free_sgpr 0
		.amdhsa_reserve_vcc 0
		.amdhsa_reserve_flat_scratch 0
		.amdhsa_float_round_mode_32 0
		.amdhsa_float_round_mode_16_64 0
		.amdhsa_float_denorm_mode_32 3
		.amdhsa_float_denorm_mode_16_64 3
		.amdhsa_dx10_clamp 1
		.amdhsa_ieee_mode 1
		.amdhsa_fp16_overflow 0
		.amdhsa_exception_fp_ieee_invalid_op 0
		.amdhsa_exception_fp_denorm_src 0
		.amdhsa_exception_fp_ieee_div_zero 0
		.amdhsa_exception_fp_ieee_overflow 0
		.amdhsa_exception_fp_ieee_underflow 0
		.amdhsa_exception_fp_ieee_inexact 0
		.amdhsa_exception_int_div_zero 0
	.end_amdhsa_kernel
	.section	.text._ZN7rocprim17ROCPRIM_400000_NS6detail17trampoline_kernelINS0_14default_configENS1_25partition_config_selectorILNS1_17partition_subalgoE5ElNS0_10empty_typeEbEEZZNS1_14partition_implILS5_5ELb0ES3_mN6hipcub16HIPCUB_304000_NS21CountingInputIteratorIllEEPS6_NSA_22TransformInputIteratorIb7NonZeroIaEPalEENS0_5tupleIJPlS6_EEENSJ_IJSD_SD_EEES6_SK_JS6_EEE10hipError_tPvRmT3_T4_T5_T6_T7_T9_mT8_P12ihipStream_tbDpT10_ENKUlT_T0_E_clISt17integral_constantIbLb0EES15_IbLb1EEEEDaS11_S12_EUlS11_E_NS1_11comp_targetILNS1_3genE10ELNS1_11target_archE1200ELNS1_3gpuE4ELNS1_3repE0EEENS1_30default_config_static_selectorELNS0_4arch9wavefront6targetE1EEEvT1_,"axG",@progbits,_ZN7rocprim17ROCPRIM_400000_NS6detail17trampoline_kernelINS0_14default_configENS1_25partition_config_selectorILNS1_17partition_subalgoE5ElNS0_10empty_typeEbEEZZNS1_14partition_implILS5_5ELb0ES3_mN6hipcub16HIPCUB_304000_NS21CountingInputIteratorIllEEPS6_NSA_22TransformInputIteratorIb7NonZeroIaEPalEENS0_5tupleIJPlS6_EEENSJ_IJSD_SD_EEES6_SK_JS6_EEE10hipError_tPvRmT3_T4_T5_T6_T7_T9_mT8_P12ihipStream_tbDpT10_ENKUlT_T0_E_clISt17integral_constantIbLb0EES15_IbLb1EEEEDaS11_S12_EUlS11_E_NS1_11comp_targetILNS1_3genE10ELNS1_11target_archE1200ELNS1_3gpuE4ELNS1_3repE0EEENS1_30default_config_static_selectorELNS0_4arch9wavefront6targetE1EEEvT1_,comdat
.Lfunc_end77:
	.size	_ZN7rocprim17ROCPRIM_400000_NS6detail17trampoline_kernelINS0_14default_configENS1_25partition_config_selectorILNS1_17partition_subalgoE5ElNS0_10empty_typeEbEEZZNS1_14partition_implILS5_5ELb0ES3_mN6hipcub16HIPCUB_304000_NS21CountingInputIteratorIllEEPS6_NSA_22TransformInputIteratorIb7NonZeroIaEPalEENS0_5tupleIJPlS6_EEENSJ_IJSD_SD_EEES6_SK_JS6_EEE10hipError_tPvRmT3_T4_T5_T6_T7_T9_mT8_P12ihipStream_tbDpT10_ENKUlT_T0_E_clISt17integral_constantIbLb0EES15_IbLb1EEEEDaS11_S12_EUlS11_E_NS1_11comp_targetILNS1_3genE10ELNS1_11target_archE1200ELNS1_3gpuE4ELNS1_3repE0EEENS1_30default_config_static_selectorELNS0_4arch9wavefront6targetE1EEEvT1_, .Lfunc_end77-_ZN7rocprim17ROCPRIM_400000_NS6detail17trampoline_kernelINS0_14default_configENS1_25partition_config_selectorILNS1_17partition_subalgoE5ElNS0_10empty_typeEbEEZZNS1_14partition_implILS5_5ELb0ES3_mN6hipcub16HIPCUB_304000_NS21CountingInputIteratorIllEEPS6_NSA_22TransformInputIteratorIb7NonZeroIaEPalEENS0_5tupleIJPlS6_EEENSJ_IJSD_SD_EEES6_SK_JS6_EEE10hipError_tPvRmT3_T4_T5_T6_T7_T9_mT8_P12ihipStream_tbDpT10_ENKUlT_T0_E_clISt17integral_constantIbLb0EES15_IbLb1EEEEDaS11_S12_EUlS11_E_NS1_11comp_targetILNS1_3genE10ELNS1_11target_archE1200ELNS1_3gpuE4ELNS1_3repE0EEENS1_30default_config_static_selectorELNS0_4arch9wavefront6targetE1EEEvT1_
                                        ; -- End function
	.set _ZN7rocprim17ROCPRIM_400000_NS6detail17trampoline_kernelINS0_14default_configENS1_25partition_config_selectorILNS1_17partition_subalgoE5ElNS0_10empty_typeEbEEZZNS1_14partition_implILS5_5ELb0ES3_mN6hipcub16HIPCUB_304000_NS21CountingInputIteratorIllEEPS6_NSA_22TransformInputIteratorIb7NonZeroIaEPalEENS0_5tupleIJPlS6_EEENSJ_IJSD_SD_EEES6_SK_JS6_EEE10hipError_tPvRmT3_T4_T5_T6_T7_T9_mT8_P12ihipStream_tbDpT10_ENKUlT_T0_E_clISt17integral_constantIbLb0EES15_IbLb1EEEEDaS11_S12_EUlS11_E_NS1_11comp_targetILNS1_3genE10ELNS1_11target_archE1200ELNS1_3gpuE4ELNS1_3repE0EEENS1_30default_config_static_selectorELNS0_4arch9wavefront6targetE1EEEvT1_.num_vgpr, 0
	.set _ZN7rocprim17ROCPRIM_400000_NS6detail17trampoline_kernelINS0_14default_configENS1_25partition_config_selectorILNS1_17partition_subalgoE5ElNS0_10empty_typeEbEEZZNS1_14partition_implILS5_5ELb0ES3_mN6hipcub16HIPCUB_304000_NS21CountingInputIteratorIllEEPS6_NSA_22TransformInputIteratorIb7NonZeroIaEPalEENS0_5tupleIJPlS6_EEENSJ_IJSD_SD_EEES6_SK_JS6_EEE10hipError_tPvRmT3_T4_T5_T6_T7_T9_mT8_P12ihipStream_tbDpT10_ENKUlT_T0_E_clISt17integral_constantIbLb0EES15_IbLb1EEEEDaS11_S12_EUlS11_E_NS1_11comp_targetILNS1_3genE10ELNS1_11target_archE1200ELNS1_3gpuE4ELNS1_3repE0EEENS1_30default_config_static_selectorELNS0_4arch9wavefront6targetE1EEEvT1_.num_agpr, 0
	.set _ZN7rocprim17ROCPRIM_400000_NS6detail17trampoline_kernelINS0_14default_configENS1_25partition_config_selectorILNS1_17partition_subalgoE5ElNS0_10empty_typeEbEEZZNS1_14partition_implILS5_5ELb0ES3_mN6hipcub16HIPCUB_304000_NS21CountingInputIteratorIllEEPS6_NSA_22TransformInputIteratorIb7NonZeroIaEPalEENS0_5tupleIJPlS6_EEENSJ_IJSD_SD_EEES6_SK_JS6_EEE10hipError_tPvRmT3_T4_T5_T6_T7_T9_mT8_P12ihipStream_tbDpT10_ENKUlT_T0_E_clISt17integral_constantIbLb0EES15_IbLb1EEEEDaS11_S12_EUlS11_E_NS1_11comp_targetILNS1_3genE10ELNS1_11target_archE1200ELNS1_3gpuE4ELNS1_3repE0EEENS1_30default_config_static_selectorELNS0_4arch9wavefront6targetE1EEEvT1_.numbered_sgpr, 0
	.set _ZN7rocprim17ROCPRIM_400000_NS6detail17trampoline_kernelINS0_14default_configENS1_25partition_config_selectorILNS1_17partition_subalgoE5ElNS0_10empty_typeEbEEZZNS1_14partition_implILS5_5ELb0ES3_mN6hipcub16HIPCUB_304000_NS21CountingInputIteratorIllEEPS6_NSA_22TransformInputIteratorIb7NonZeroIaEPalEENS0_5tupleIJPlS6_EEENSJ_IJSD_SD_EEES6_SK_JS6_EEE10hipError_tPvRmT3_T4_T5_T6_T7_T9_mT8_P12ihipStream_tbDpT10_ENKUlT_T0_E_clISt17integral_constantIbLb0EES15_IbLb1EEEEDaS11_S12_EUlS11_E_NS1_11comp_targetILNS1_3genE10ELNS1_11target_archE1200ELNS1_3gpuE4ELNS1_3repE0EEENS1_30default_config_static_selectorELNS0_4arch9wavefront6targetE1EEEvT1_.num_named_barrier, 0
	.set _ZN7rocprim17ROCPRIM_400000_NS6detail17trampoline_kernelINS0_14default_configENS1_25partition_config_selectorILNS1_17partition_subalgoE5ElNS0_10empty_typeEbEEZZNS1_14partition_implILS5_5ELb0ES3_mN6hipcub16HIPCUB_304000_NS21CountingInputIteratorIllEEPS6_NSA_22TransformInputIteratorIb7NonZeroIaEPalEENS0_5tupleIJPlS6_EEENSJ_IJSD_SD_EEES6_SK_JS6_EEE10hipError_tPvRmT3_T4_T5_T6_T7_T9_mT8_P12ihipStream_tbDpT10_ENKUlT_T0_E_clISt17integral_constantIbLb0EES15_IbLb1EEEEDaS11_S12_EUlS11_E_NS1_11comp_targetILNS1_3genE10ELNS1_11target_archE1200ELNS1_3gpuE4ELNS1_3repE0EEENS1_30default_config_static_selectorELNS0_4arch9wavefront6targetE1EEEvT1_.private_seg_size, 0
	.set _ZN7rocprim17ROCPRIM_400000_NS6detail17trampoline_kernelINS0_14default_configENS1_25partition_config_selectorILNS1_17partition_subalgoE5ElNS0_10empty_typeEbEEZZNS1_14partition_implILS5_5ELb0ES3_mN6hipcub16HIPCUB_304000_NS21CountingInputIteratorIllEEPS6_NSA_22TransformInputIteratorIb7NonZeroIaEPalEENS0_5tupleIJPlS6_EEENSJ_IJSD_SD_EEES6_SK_JS6_EEE10hipError_tPvRmT3_T4_T5_T6_T7_T9_mT8_P12ihipStream_tbDpT10_ENKUlT_T0_E_clISt17integral_constantIbLb0EES15_IbLb1EEEEDaS11_S12_EUlS11_E_NS1_11comp_targetILNS1_3genE10ELNS1_11target_archE1200ELNS1_3gpuE4ELNS1_3repE0EEENS1_30default_config_static_selectorELNS0_4arch9wavefront6targetE1EEEvT1_.uses_vcc, 0
	.set _ZN7rocprim17ROCPRIM_400000_NS6detail17trampoline_kernelINS0_14default_configENS1_25partition_config_selectorILNS1_17partition_subalgoE5ElNS0_10empty_typeEbEEZZNS1_14partition_implILS5_5ELb0ES3_mN6hipcub16HIPCUB_304000_NS21CountingInputIteratorIllEEPS6_NSA_22TransformInputIteratorIb7NonZeroIaEPalEENS0_5tupleIJPlS6_EEENSJ_IJSD_SD_EEES6_SK_JS6_EEE10hipError_tPvRmT3_T4_T5_T6_T7_T9_mT8_P12ihipStream_tbDpT10_ENKUlT_T0_E_clISt17integral_constantIbLb0EES15_IbLb1EEEEDaS11_S12_EUlS11_E_NS1_11comp_targetILNS1_3genE10ELNS1_11target_archE1200ELNS1_3gpuE4ELNS1_3repE0EEENS1_30default_config_static_selectorELNS0_4arch9wavefront6targetE1EEEvT1_.uses_flat_scratch, 0
	.set _ZN7rocprim17ROCPRIM_400000_NS6detail17trampoline_kernelINS0_14default_configENS1_25partition_config_selectorILNS1_17partition_subalgoE5ElNS0_10empty_typeEbEEZZNS1_14partition_implILS5_5ELb0ES3_mN6hipcub16HIPCUB_304000_NS21CountingInputIteratorIllEEPS6_NSA_22TransformInputIteratorIb7NonZeroIaEPalEENS0_5tupleIJPlS6_EEENSJ_IJSD_SD_EEES6_SK_JS6_EEE10hipError_tPvRmT3_T4_T5_T6_T7_T9_mT8_P12ihipStream_tbDpT10_ENKUlT_T0_E_clISt17integral_constantIbLb0EES15_IbLb1EEEEDaS11_S12_EUlS11_E_NS1_11comp_targetILNS1_3genE10ELNS1_11target_archE1200ELNS1_3gpuE4ELNS1_3repE0EEENS1_30default_config_static_selectorELNS0_4arch9wavefront6targetE1EEEvT1_.has_dyn_sized_stack, 0
	.set _ZN7rocprim17ROCPRIM_400000_NS6detail17trampoline_kernelINS0_14default_configENS1_25partition_config_selectorILNS1_17partition_subalgoE5ElNS0_10empty_typeEbEEZZNS1_14partition_implILS5_5ELb0ES3_mN6hipcub16HIPCUB_304000_NS21CountingInputIteratorIllEEPS6_NSA_22TransformInputIteratorIb7NonZeroIaEPalEENS0_5tupleIJPlS6_EEENSJ_IJSD_SD_EEES6_SK_JS6_EEE10hipError_tPvRmT3_T4_T5_T6_T7_T9_mT8_P12ihipStream_tbDpT10_ENKUlT_T0_E_clISt17integral_constantIbLb0EES15_IbLb1EEEEDaS11_S12_EUlS11_E_NS1_11comp_targetILNS1_3genE10ELNS1_11target_archE1200ELNS1_3gpuE4ELNS1_3repE0EEENS1_30default_config_static_selectorELNS0_4arch9wavefront6targetE1EEEvT1_.has_recursion, 0
	.set _ZN7rocprim17ROCPRIM_400000_NS6detail17trampoline_kernelINS0_14default_configENS1_25partition_config_selectorILNS1_17partition_subalgoE5ElNS0_10empty_typeEbEEZZNS1_14partition_implILS5_5ELb0ES3_mN6hipcub16HIPCUB_304000_NS21CountingInputIteratorIllEEPS6_NSA_22TransformInputIteratorIb7NonZeroIaEPalEENS0_5tupleIJPlS6_EEENSJ_IJSD_SD_EEES6_SK_JS6_EEE10hipError_tPvRmT3_T4_T5_T6_T7_T9_mT8_P12ihipStream_tbDpT10_ENKUlT_T0_E_clISt17integral_constantIbLb0EES15_IbLb1EEEEDaS11_S12_EUlS11_E_NS1_11comp_targetILNS1_3genE10ELNS1_11target_archE1200ELNS1_3gpuE4ELNS1_3repE0EEENS1_30default_config_static_selectorELNS0_4arch9wavefront6targetE1EEEvT1_.has_indirect_call, 0
	.section	.AMDGPU.csdata,"",@progbits
; Kernel info:
; codeLenInByte = 0
; TotalNumSgprs: 4
; NumVgprs: 0
; ScratchSize: 0
; MemoryBound: 0
; FloatMode: 240
; IeeeMode: 1
; LDSByteSize: 0 bytes/workgroup (compile time only)
; SGPRBlocks: 0
; VGPRBlocks: 0
; NumSGPRsForWavesPerEU: 4
; NumVGPRsForWavesPerEU: 1
; Occupancy: 10
; WaveLimiterHint : 0
; COMPUTE_PGM_RSRC2:SCRATCH_EN: 0
; COMPUTE_PGM_RSRC2:USER_SGPR: 6
; COMPUTE_PGM_RSRC2:TRAP_HANDLER: 0
; COMPUTE_PGM_RSRC2:TGID_X_EN: 1
; COMPUTE_PGM_RSRC2:TGID_Y_EN: 0
; COMPUTE_PGM_RSRC2:TGID_Z_EN: 0
; COMPUTE_PGM_RSRC2:TIDIG_COMP_CNT: 0
	.section	.text._ZN7rocprim17ROCPRIM_400000_NS6detail17trampoline_kernelINS0_14default_configENS1_25partition_config_selectorILNS1_17partition_subalgoE5ElNS0_10empty_typeEbEEZZNS1_14partition_implILS5_5ELb0ES3_mN6hipcub16HIPCUB_304000_NS21CountingInputIteratorIllEEPS6_NSA_22TransformInputIteratorIb7NonZeroIaEPalEENS0_5tupleIJPlS6_EEENSJ_IJSD_SD_EEES6_SK_JS6_EEE10hipError_tPvRmT3_T4_T5_T6_T7_T9_mT8_P12ihipStream_tbDpT10_ENKUlT_T0_E_clISt17integral_constantIbLb0EES15_IbLb1EEEEDaS11_S12_EUlS11_E_NS1_11comp_targetILNS1_3genE9ELNS1_11target_archE1100ELNS1_3gpuE3ELNS1_3repE0EEENS1_30default_config_static_selectorELNS0_4arch9wavefront6targetE1EEEvT1_,"axG",@progbits,_ZN7rocprim17ROCPRIM_400000_NS6detail17trampoline_kernelINS0_14default_configENS1_25partition_config_selectorILNS1_17partition_subalgoE5ElNS0_10empty_typeEbEEZZNS1_14partition_implILS5_5ELb0ES3_mN6hipcub16HIPCUB_304000_NS21CountingInputIteratorIllEEPS6_NSA_22TransformInputIteratorIb7NonZeroIaEPalEENS0_5tupleIJPlS6_EEENSJ_IJSD_SD_EEES6_SK_JS6_EEE10hipError_tPvRmT3_T4_T5_T6_T7_T9_mT8_P12ihipStream_tbDpT10_ENKUlT_T0_E_clISt17integral_constantIbLb0EES15_IbLb1EEEEDaS11_S12_EUlS11_E_NS1_11comp_targetILNS1_3genE9ELNS1_11target_archE1100ELNS1_3gpuE3ELNS1_3repE0EEENS1_30default_config_static_selectorELNS0_4arch9wavefront6targetE1EEEvT1_,comdat
	.protected	_ZN7rocprim17ROCPRIM_400000_NS6detail17trampoline_kernelINS0_14default_configENS1_25partition_config_selectorILNS1_17partition_subalgoE5ElNS0_10empty_typeEbEEZZNS1_14partition_implILS5_5ELb0ES3_mN6hipcub16HIPCUB_304000_NS21CountingInputIteratorIllEEPS6_NSA_22TransformInputIteratorIb7NonZeroIaEPalEENS0_5tupleIJPlS6_EEENSJ_IJSD_SD_EEES6_SK_JS6_EEE10hipError_tPvRmT3_T4_T5_T6_T7_T9_mT8_P12ihipStream_tbDpT10_ENKUlT_T0_E_clISt17integral_constantIbLb0EES15_IbLb1EEEEDaS11_S12_EUlS11_E_NS1_11comp_targetILNS1_3genE9ELNS1_11target_archE1100ELNS1_3gpuE3ELNS1_3repE0EEENS1_30default_config_static_selectorELNS0_4arch9wavefront6targetE1EEEvT1_ ; -- Begin function _ZN7rocprim17ROCPRIM_400000_NS6detail17trampoline_kernelINS0_14default_configENS1_25partition_config_selectorILNS1_17partition_subalgoE5ElNS0_10empty_typeEbEEZZNS1_14partition_implILS5_5ELb0ES3_mN6hipcub16HIPCUB_304000_NS21CountingInputIteratorIllEEPS6_NSA_22TransformInputIteratorIb7NonZeroIaEPalEENS0_5tupleIJPlS6_EEENSJ_IJSD_SD_EEES6_SK_JS6_EEE10hipError_tPvRmT3_T4_T5_T6_T7_T9_mT8_P12ihipStream_tbDpT10_ENKUlT_T0_E_clISt17integral_constantIbLb0EES15_IbLb1EEEEDaS11_S12_EUlS11_E_NS1_11comp_targetILNS1_3genE9ELNS1_11target_archE1100ELNS1_3gpuE3ELNS1_3repE0EEENS1_30default_config_static_selectorELNS0_4arch9wavefront6targetE1EEEvT1_
	.globl	_ZN7rocprim17ROCPRIM_400000_NS6detail17trampoline_kernelINS0_14default_configENS1_25partition_config_selectorILNS1_17partition_subalgoE5ElNS0_10empty_typeEbEEZZNS1_14partition_implILS5_5ELb0ES3_mN6hipcub16HIPCUB_304000_NS21CountingInputIteratorIllEEPS6_NSA_22TransformInputIteratorIb7NonZeroIaEPalEENS0_5tupleIJPlS6_EEENSJ_IJSD_SD_EEES6_SK_JS6_EEE10hipError_tPvRmT3_T4_T5_T6_T7_T9_mT8_P12ihipStream_tbDpT10_ENKUlT_T0_E_clISt17integral_constantIbLb0EES15_IbLb1EEEEDaS11_S12_EUlS11_E_NS1_11comp_targetILNS1_3genE9ELNS1_11target_archE1100ELNS1_3gpuE3ELNS1_3repE0EEENS1_30default_config_static_selectorELNS0_4arch9wavefront6targetE1EEEvT1_
	.p2align	8
	.type	_ZN7rocprim17ROCPRIM_400000_NS6detail17trampoline_kernelINS0_14default_configENS1_25partition_config_selectorILNS1_17partition_subalgoE5ElNS0_10empty_typeEbEEZZNS1_14partition_implILS5_5ELb0ES3_mN6hipcub16HIPCUB_304000_NS21CountingInputIteratorIllEEPS6_NSA_22TransformInputIteratorIb7NonZeroIaEPalEENS0_5tupleIJPlS6_EEENSJ_IJSD_SD_EEES6_SK_JS6_EEE10hipError_tPvRmT3_T4_T5_T6_T7_T9_mT8_P12ihipStream_tbDpT10_ENKUlT_T0_E_clISt17integral_constantIbLb0EES15_IbLb1EEEEDaS11_S12_EUlS11_E_NS1_11comp_targetILNS1_3genE9ELNS1_11target_archE1100ELNS1_3gpuE3ELNS1_3repE0EEENS1_30default_config_static_selectorELNS0_4arch9wavefront6targetE1EEEvT1_,@function
_ZN7rocprim17ROCPRIM_400000_NS6detail17trampoline_kernelINS0_14default_configENS1_25partition_config_selectorILNS1_17partition_subalgoE5ElNS0_10empty_typeEbEEZZNS1_14partition_implILS5_5ELb0ES3_mN6hipcub16HIPCUB_304000_NS21CountingInputIteratorIllEEPS6_NSA_22TransformInputIteratorIb7NonZeroIaEPalEENS0_5tupleIJPlS6_EEENSJ_IJSD_SD_EEES6_SK_JS6_EEE10hipError_tPvRmT3_T4_T5_T6_T7_T9_mT8_P12ihipStream_tbDpT10_ENKUlT_T0_E_clISt17integral_constantIbLb0EES15_IbLb1EEEEDaS11_S12_EUlS11_E_NS1_11comp_targetILNS1_3genE9ELNS1_11target_archE1100ELNS1_3gpuE3ELNS1_3repE0EEENS1_30default_config_static_selectorELNS0_4arch9wavefront6targetE1EEEvT1_: ; @_ZN7rocprim17ROCPRIM_400000_NS6detail17trampoline_kernelINS0_14default_configENS1_25partition_config_selectorILNS1_17partition_subalgoE5ElNS0_10empty_typeEbEEZZNS1_14partition_implILS5_5ELb0ES3_mN6hipcub16HIPCUB_304000_NS21CountingInputIteratorIllEEPS6_NSA_22TransformInputIteratorIb7NonZeroIaEPalEENS0_5tupleIJPlS6_EEENSJ_IJSD_SD_EEES6_SK_JS6_EEE10hipError_tPvRmT3_T4_T5_T6_T7_T9_mT8_P12ihipStream_tbDpT10_ENKUlT_T0_E_clISt17integral_constantIbLb0EES15_IbLb1EEEEDaS11_S12_EUlS11_E_NS1_11comp_targetILNS1_3genE9ELNS1_11target_archE1100ELNS1_3gpuE3ELNS1_3repE0EEENS1_30default_config_static_selectorELNS0_4arch9wavefront6targetE1EEEvT1_
; %bb.0:
	.section	.rodata,"a",@progbits
	.p2align	6, 0x0
	.amdhsa_kernel _ZN7rocprim17ROCPRIM_400000_NS6detail17trampoline_kernelINS0_14default_configENS1_25partition_config_selectorILNS1_17partition_subalgoE5ElNS0_10empty_typeEbEEZZNS1_14partition_implILS5_5ELb0ES3_mN6hipcub16HIPCUB_304000_NS21CountingInputIteratorIllEEPS6_NSA_22TransformInputIteratorIb7NonZeroIaEPalEENS0_5tupleIJPlS6_EEENSJ_IJSD_SD_EEES6_SK_JS6_EEE10hipError_tPvRmT3_T4_T5_T6_T7_T9_mT8_P12ihipStream_tbDpT10_ENKUlT_T0_E_clISt17integral_constantIbLb0EES15_IbLb1EEEEDaS11_S12_EUlS11_E_NS1_11comp_targetILNS1_3genE9ELNS1_11target_archE1100ELNS1_3gpuE3ELNS1_3repE0EEENS1_30default_config_static_selectorELNS0_4arch9wavefront6targetE1EEEvT1_
		.amdhsa_group_segment_fixed_size 0
		.amdhsa_private_segment_fixed_size 0
		.amdhsa_kernarg_size 136
		.amdhsa_user_sgpr_count 6
		.amdhsa_user_sgpr_private_segment_buffer 1
		.amdhsa_user_sgpr_dispatch_ptr 0
		.amdhsa_user_sgpr_queue_ptr 0
		.amdhsa_user_sgpr_kernarg_segment_ptr 1
		.amdhsa_user_sgpr_dispatch_id 0
		.amdhsa_user_sgpr_flat_scratch_init 0
		.amdhsa_user_sgpr_private_segment_size 0
		.amdhsa_uses_dynamic_stack 0
		.amdhsa_system_sgpr_private_segment_wavefront_offset 0
		.amdhsa_system_sgpr_workgroup_id_x 1
		.amdhsa_system_sgpr_workgroup_id_y 0
		.amdhsa_system_sgpr_workgroup_id_z 0
		.amdhsa_system_sgpr_workgroup_info 0
		.amdhsa_system_vgpr_workitem_id 0
		.amdhsa_next_free_vgpr 1
		.amdhsa_next_free_sgpr 0
		.amdhsa_reserve_vcc 0
		.amdhsa_reserve_flat_scratch 0
		.amdhsa_float_round_mode_32 0
		.amdhsa_float_round_mode_16_64 0
		.amdhsa_float_denorm_mode_32 3
		.amdhsa_float_denorm_mode_16_64 3
		.amdhsa_dx10_clamp 1
		.amdhsa_ieee_mode 1
		.amdhsa_fp16_overflow 0
		.amdhsa_exception_fp_ieee_invalid_op 0
		.amdhsa_exception_fp_denorm_src 0
		.amdhsa_exception_fp_ieee_div_zero 0
		.amdhsa_exception_fp_ieee_overflow 0
		.amdhsa_exception_fp_ieee_underflow 0
		.amdhsa_exception_fp_ieee_inexact 0
		.amdhsa_exception_int_div_zero 0
	.end_amdhsa_kernel
	.section	.text._ZN7rocprim17ROCPRIM_400000_NS6detail17trampoline_kernelINS0_14default_configENS1_25partition_config_selectorILNS1_17partition_subalgoE5ElNS0_10empty_typeEbEEZZNS1_14partition_implILS5_5ELb0ES3_mN6hipcub16HIPCUB_304000_NS21CountingInputIteratorIllEEPS6_NSA_22TransformInputIteratorIb7NonZeroIaEPalEENS0_5tupleIJPlS6_EEENSJ_IJSD_SD_EEES6_SK_JS6_EEE10hipError_tPvRmT3_T4_T5_T6_T7_T9_mT8_P12ihipStream_tbDpT10_ENKUlT_T0_E_clISt17integral_constantIbLb0EES15_IbLb1EEEEDaS11_S12_EUlS11_E_NS1_11comp_targetILNS1_3genE9ELNS1_11target_archE1100ELNS1_3gpuE3ELNS1_3repE0EEENS1_30default_config_static_selectorELNS0_4arch9wavefront6targetE1EEEvT1_,"axG",@progbits,_ZN7rocprim17ROCPRIM_400000_NS6detail17trampoline_kernelINS0_14default_configENS1_25partition_config_selectorILNS1_17partition_subalgoE5ElNS0_10empty_typeEbEEZZNS1_14partition_implILS5_5ELb0ES3_mN6hipcub16HIPCUB_304000_NS21CountingInputIteratorIllEEPS6_NSA_22TransformInputIteratorIb7NonZeroIaEPalEENS0_5tupleIJPlS6_EEENSJ_IJSD_SD_EEES6_SK_JS6_EEE10hipError_tPvRmT3_T4_T5_T6_T7_T9_mT8_P12ihipStream_tbDpT10_ENKUlT_T0_E_clISt17integral_constantIbLb0EES15_IbLb1EEEEDaS11_S12_EUlS11_E_NS1_11comp_targetILNS1_3genE9ELNS1_11target_archE1100ELNS1_3gpuE3ELNS1_3repE0EEENS1_30default_config_static_selectorELNS0_4arch9wavefront6targetE1EEEvT1_,comdat
.Lfunc_end78:
	.size	_ZN7rocprim17ROCPRIM_400000_NS6detail17trampoline_kernelINS0_14default_configENS1_25partition_config_selectorILNS1_17partition_subalgoE5ElNS0_10empty_typeEbEEZZNS1_14partition_implILS5_5ELb0ES3_mN6hipcub16HIPCUB_304000_NS21CountingInputIteratorIllEEPS6_NSA_22TransformInputIteratorIb7NonZeroIaEPalEENS0_5tupleIJPlS6_EEENSJ_IJSD_SD_EEES6_SK_JS6_EEE10hipError_tPvRmT3_T4_T5_T6_T7_T9_mT8_P12ihipStream_tbDpT10_ENKUlT_T0_E_clISt17integral_constantIbLb0EES15_IbLb1EEEEDaS11_S12_EUlS11_E_NS1_11comp_targetILNS1_3genE9ELNS1_11target_archE1100ELNS1_3gpuE3ELNS1_3repE0EEENS1_30default_config_static_selectorELNS0_4arch9wavefront6targetE1EEEvT1_, .Lfunc_end78-_ZN7rocprim17ROCPRIM_400000_NS6detail17trampoline_kernelINS0_14default_configENS1_25partition_config_selectorILNS1_17partition_subalgoE5ElNS0_10empty_typeEbEEZZNS1_14partition_implILS5_5ELb0ES3_mN6hipcub16HIPCUB_304000_NS21CountingInputIteratorIllEEPS6_NSA_22TransformInputIteratorIb7NonZeroIaEPalEENS0_5tupleIJPlS6_EEENSJ_IJSD_SD_EEES6_SK_JS6_EEE10hipError_tPvRmT3_T4_T5_T6_T7_T9_mT8_P12ihipStream_tbDpT10_ENKUlT_T0_E_clISt17integral_constantIbLb0EES15_IbLb1EEEEDaS11_S12_EUlS11_E_NS1_11comp_targetILNS1_3genE9ELNS1_11target_archE1100ELNS1_3gpuE3ELNS1_3repE0EEENS1_30default_config_static_selectorELNS0_4arch9wavefront6targetE1EEEvT1_
                                        ; -- End function
	.set _ZN7rocprim17ROCPRIM_400000_NS6detail17trampoline_kernelINS0_14default_configENS1_25partition_config_selectorILNS1_17partition_subalgoE5ElNS0_10empty_typeEbEEZZNS1_14partition_implILS5_5ELb0ES3_mN6hipcub16HIPCUB_304000_NS21CountingInputIteratorIllEEPS6_NSA_22TransformInputIteratorIb7NonZeroIaEPalEENS0_5tupleIJPlS6_EEENSJ_IJSD_SD_EEES6_SK_JS6_EEE10hipError_tPvRmT3_T4_T5_T6_T7_T9_mT8_P12ihipStream_tbDpT10_ENKUlT_T0_E_clISt17integral_constantIbLb0EES15_IbLb1EEEEDaS11_S12_EUlS11_E_NS1_11comp_targetILNS1_3genE9ELNS1_11target_archE1100ELNS1_3gpuE3ELNS1_3repE0EEENS1_30default_config_static_selectorELNS0_4arch9wavefront6targetE1EEEvT1_.num_vgpr, 0
	.set _ZN7rocprim17ROCPRIM_400000_NS6detail17trampoline_kernelINS0_14default_configENS1_25partition_config_selectorILNS1_17partition_subalgoE5ElNS0_10empty_typeEbEEZZNS1_14partition_implILS5_5ELb0ES3_mN6hipcub16HIPCUB_304000_NS21CountingInputIteratorIllEEPS6_NSA_22TransformInputIteratorIb7NonZeroIaEPalEENS0_5tupleIJPlS6_EEENSJ_IJSD_SD_EEES6_SK_JS6_EEE10hipError_tPvRmT3_T4_T5_T6_T7_T9_mT8_P12ihipStream_tbDpT10_ENKUlT_T0_E_clISt17integral_constantIbLb0EES15_IbLb1EEEEDaS11_S12_EUlS11_E_NS1_11comp_targetILNS1_3genE9ELNS1_11target_archE1100ELNS1_3gpuE3ELNS1_3repE0EEENS1_30default_config_static_selectorELNS0_4arch9wavefront6targetE1EEEvT1_.num_agpr, 0
	.set _ZN7rocprim17ROCPRIM_400000_NS6detail17trampoline_kernelINS0_14default_configENS1_25partition_config_selectorILNS1_17partition_subalgoE5ElNS0_10empty_typeEbEEZZNS1_14partition_implILS5_5ELb0ES3_mN6hipcub16HIPCUB_304000_NS21CountingInputIteratorIllEEPS6_NSA_22TransformInputIteratorIb7NonZeroIaEPalEENS0_5tupleIJPlS6_EEENSJ_IJSD_SD_EEES6_SK_JS6_EEE10hipError_tPvRmT3_T4_T5_T6_T7_T9_mT8_P12ihipStream_tbDpT10_ENKUlT_T0_E_clISt17integral_constantIbLb0EES15_IbLb1EEEEDaS11_S12_EUlS11_E_NS1_11comp_targetILNS1_3genE9ELNS1_11target_archE1100ELNS1_3gpuE3ELNS1_3repE0EEENS1_30default_config_static_selectorELNS0_4arch9wavefront6targetE1EEEvT1_.numbered_sgpr, 0
	.set _ZN7rocprim17ROCPRIM_400000_NS6detail17trampoline_kernelINS0_14default_configENS1_25partition_config_selectorILNS1_17partition_subalgoE5ElNS0_10empty_typeEbEEZZNS1_14partition_implILS5_5ELb0ES3_mN6hipcub16HIPCUB_304000_NS21CountingInputIteratorIllEEPS6_NSA_22TransformInputIteratorIb7NonZeroIaEPalEENS0_5tupleIJPlS6_EEENSJ_IJSD_SD_EEES6_SK_JS6_EEE10hipError_tPvRmT3_T4_T5_T6_T7_T9_mT8_P12ihipStream_tbDpT10_ENKUlT_T0_E_clISt17integral_constantIbLb0EES15_IbLb1EEEEDaS11_S12_EUlS11_E_NS1_11comp_targetILNS1_3genE9ELNS1_11target_archE1100ELNS1_3gpuE3ELNS1_3repE0EEENS1_30default_config_static_selectorELNS0_4arch9wavefront6targetE1EEEvT1_.num_named_barrier, 0
	.set _ZN7rocprim17ROCPRIM_400000_NS6detail17trampoline_kernelINS0_14default_configENS1_25partition_config_selectorILNS1_17partition_subalgoE5ElNS0_10empty_typeEbEEZZNS1_14partition_implILS5_5ELb0ES3_mN6hipcub16HIPCUB_304000_NS21CountingInputIteratorIllEEPS6_NSA_22TransformInputIteratorIb7NonZeroIaEPalEENS0_5tupleIJPlS6_EEENSJ_IJSD_SD_EEES6_SK_JS6_EEE10hipError_tPvRmT3_T4_T5_T6_T7_T9_mT8_P12ihipStream_tbDpT10_ENKUlT_T0_E_clISt17integral_constantIbLb0EES15_IbLb1EEEEDaS11_S12_EUlS11_E_NS1_11comp_targetILNS1_3genE9ELNS1_11target_archE1100ELNS1_3gpuE3ELNS1_3repE0EEENS1_30default_config_static_selectorELNS0_4arch9wavefront6targetE1EEEvT1_.private_seg_size, 0
	.set _ZN7rocprim17ROCPRIM_400000_NS6detail17trampoline_kernelINS0_14default_configENS1_25partition_config_selectorILNS1_17partition_subalgoE5ElNS0_10empty_typeEbEEZZNS1_14partition_implILS5_5ELb0ES3_mN6hipcub16HIPCUB_304000_NS21CountingInputIteratorIllEEPS6_NSA_22TransformInputIteratorIb7NonZeroIaEPalEENS0_5tupleIJPlS6_EEENSJ_IJSD_SD_EEES6_SK_JS6_EEE10hipError_tPvRmT3_T4_T5_T6_T7_T9_mT8_P12ihipStream_tbDpT10_ENKUlT_T0_E_clISt17integral_constantIbLb0EES15_IbLb1EEEEDaS11_S12_EUlS11_E_NS1_11comp_targetILNS1_3genE9ELNS1_11target_archE1100ELNS1_3gpuE3ELNS1_3repE0EEENS1_30default_config_static_selectorELNS0_4arch9wavefront6targetE1EEEvT1_.uses_vcc, 0
	.set _ZN7rocprim17ROCPRIM_400000_NS6detail17trampoline_kernelINS0_14default_configENS1_25partition_config_selectorILNS1_17partition_subalgoE5ElNS0_10empty_typeEbEEZZNS1_14partition_implILS5_5ELb0ES3_mN6hipcub16HIPCUB_304000_NS21CountingInputIteratorIllEEPS6_NSA_22TransformInputIteratorIb7NonZeroIaEPalEENS0_5tupleIJPlS6_EEENSJ_IJSD_SD_EEES6_SK_JS6_EEE10hipError_tPvRmT3_T4_T5_T6_T7_T9_mT8_P12ihipStream_tbDpT10_ENKUlT_T0_E_clISt17integral_constantIbLb0EES15_IbLb1EEEEDaS11_S12_EUlS11_E_NS1_11comp_targetILNS1_3genE9ELNS1_11target_archE1100ELNS1_3gpuE3ELNS1_3repE0EEENS1_30default_config_static_selectorELNS0_4arch9wavefront6targetE1EEEvT1_.uses_flat_scratch, 0
	.set _ZN7rocprim17ROCPRIM_400000_NS6detail17trampoline_kernelINS0_14default_configENS1_25partition_config_selectorILNS1_17partition_subalgoE5ElNS0_10empty_typeEbEEZZNS1_14partition_implILS5_5ELb0ES3_mN6hipcub16HIPCUB_304000_NS21CountingInputIteratorIllEEPS6_NSA_22TransformInputIteratorIb7NonZeroIaEPalEENS0_5tupleIJPlS6_EEENSJ_IJSD_SD_EEES6_SK_JS6_EEE10hipError_tPvRmT3_T4_T5_T6_T7_T9_mT8_P12ihipStream_tbDpT10_ENKUlT_T0_E_clISt17integral_constantIbLb0EES15_IbLb1EEEEDaS11_S12_EUlS11_E_NS1_11comp_targetILNS1_3genE9ELNS1_11target_archE1100ELNS1_3gpuE3ELNS1_3repE0EEENS1_30default_config_static_selectorELNS0_4arch9wavefront6targetE1EEEvT1_.has_dyn_sized_stack, 0
	.set _ZN7rocprim17ROCPRIM_400000_NS6detail17trampoline_kernelINS0_14default_configENS1_25partition_config_selectorILNS1_17partition_subalgoE5ElNS0_10empty_typeEbEEZZNS1_14partition_implILS5_5ELb0ES3_mN6hipcub16HIPCUB_304000_NS21CountingInputIteratorIllEEPS6_NSA_22TransformInputIteratorIb7NonZeroIaEPalEENS0_5tupleIJPlS6_EEENSJ_IJSD_SD_EEES6_SK_JS6_EEE10hipError_tPvRmT3_T4_T5_T6_T7_T9_mT8_P12ihipStream_tbDpT10_ENKUlT_T0_E_clISt17integral_constantIbLb0EES15_IbLb1EEEEDaS11_S12_EUlS11_E_NS1_11comp_targetILNS1_3genE9ELNS1_11target_archE1100ELNS1_3gpuE3ELNS1_3repE0EEENS1_30default_config_static_selectorELNS0_4arch9wavefront6targetE1EEEvT1_.has_recursion, 0
	.set _ZN7rocprim17ROCPRIM_400000_NS6detail17trampoline_kernelINS0_14default_configENS1_25partition_config_selectorILNS1_17partition_subalgoE5ElNS0_10empty_typeEbEEZZNS1_14partition_implILS5_5ELb0ES3_mN6hipcub16HIPCUB_304000_NS21CountingInputIteratorIllEEPS6_NSA_22TransformInputIteratorIb7NonZeroIaEPalEENS0_5tupleIJPlS6_EEENSJ_IJSD_SD_EEES6_SK_JS6_EEE10hipError_tPvRmT3_T4_T5_T6_T7_T9_mT8_P12ihipStream_tbDpT10_ENKUlT_T0_E_clISt17integral_constantIbLb0EES15_IbLb1EEEEDaS11_S12_EUlS11_E_NS1_11comp_targetILNS1_3genE9ELNS1_11target_archE1100ELNS1_3gpuE3ELNS1_3repE0EEENS1_30default_config_static_selectorELNS0_4arch9wavefront6targetE1EEEvT1_.has_indirect_call, 0
	.section	.AMDGPU.csdata,"",@progbits
; Kernel info:
; codeLenInByte = 0
; TotalNumSgprs: 4
; NumVgprs: 0
; ScratchSize: 0
; MemoryBound: 0
; FloatMode: 240
; IeeeMode: 1
; LDSByteSize: 0 bytes/workgroup (compile time only)
; SGPRBlocks: 0
; VGPRBlocks: 0
; NumSGPRsForWavesPerEU: 4
; NumVGPRsForWavesPerEU: 1
; Occupancy: 10
; WaveLimiterHint : 0
; COMPUTE_PGM_RSRC2:SCRATCH_EN: 0
; COMPUTE_PGM_RSRC2:USER_SGPR: 6
; COMPUTE_PGM_RSRC2:TRAP_HANDLER: 0
; COMPUTE_PGM_RSRC2:TGID_X_EN: 1
; COMPUTE_PGM_RSRC2:TGID_Y_EN: 0
; COMPUTE_PGM_RSRC2:TGID_Z_EN: 0
; COMPUTE_PGM_RSRC2:TIDIG_COMP_CNT: 0
	.section	.text._ZN7rocprim17ROCPRIM_400000_NS6detail17trampoline_kernelINS0_14default_configENS1_25partition_config_selectorILNS1_17partition_subalgoE5ElNS0_10empty_typeEbEEZZNS1_14partition_implILS5_5ELb0ES3_mN6hipcub16HIPCUB_304000_NS21CountingInputIteratorIllEEPS6_NSA_22TransformInputIteratorIb7NonZeroIaEPalEENS0_5tupleIJPlS6_EEENSJ_IJSD_SD_EEES6_SK_JS6_EEE10hipError_tPvRmT3_T4_T5_T6_T7_T9_mT8_P12ihipStream_tbDpT10_ENKUlT_T0_E_clISt17integral_constantIbLb0EES15_IbLb1EEEEDaS11_S12_EUlS11_E_NS1_11comp_targetILNS1_3genE8ELNS1_11target_archE1030ELNS1_3gpuE2ELNS1_3repE0EEENS1_30default_config_static_selectorELNS0_4arch9wavefront6targetE1EEEvT1_,"axG",@progbits,_ZN7rocprim17ROCPRIM_400000_NS6detail17trampoline_kernelINS0_14default_configENS1_25partition_config_selectorILNS1_17partition_subalgoE5ElNS0_10empty_typeEbEEZZNS1_14partition_implILS5_5ELb0ES3_mN6hipcub16HIPCUB_304000_NS21CountingInputIteratorIllEEPS6_NSA_22TransformInputIteratorIb7NonZeroIaEPalEENS0_5tupleIJPlS6_EEENSJ_IJSD_SD_EEES6_SK_JS6_EEE10hipError_tPvRmT3_T4_T5_T6_T7_T9_mT8_P12ihipStream_tbDpT10_ENKUlT_T0_E_clISt17integral_constantIbLb0EES15_IbLb1EEEEDaS11_S12_EUlS11_E_NS1_11comp_targetILNS1_3genE8ELNS1_11target_archE1030ELNS1_3gpuE2ELNS1_3repE0EEENS1_30default_config_static_selectorELNS0_4arch9wavefront6targetE1EEEvT1_,comdat
	.protected	_ZN7rocprim17ROCPRIM_400000_NS6detail17trampoline_kernelINS0_14default_configENS1_25partition_config_selectorILNS1_17partition_subalgoE5ElNS0_10empty_typeEbEEZZNS1_14partition_implILS5_5ELb0ES3_mN6hipcub16HIPCUB_304000_NS21CountingInputIteratorIllEEPS6_NSA_22TransformInputIteratorIb7NonZeroIaEPalEENS0_5tupleIJPlS6_EEENSJ_IJSD_SD_EEES6_SK_JS6_EEE10hipError_tPvRmT3_T4_T5_T6_T7_T9_mT8_P12ihipStream_tbDpT10_ENKUlT_T0_E_clISt17integral_constantIbLb0EES15_IbLb1EEEEDaS11_S12_EUlS11_E_NS1_11comp_targetILNS1_3genE8ELNS1_11target_archE1030ELNS1_3gpuE2ELNS1_3repE0EEENS1_30default_config_static_selectorELNS0_4arch9wavefront6targetE1EEEvT1_ ; -- Begin function _ZN7rocprim17ROCPRIM_400000_NS6detail17trampoline_kernelINS0_14default_configENS1_25partition_config_selectorILNS1_17partition_subalgoE5ElNS0_10empty_typeEbEEZZNS1_14partition_implILS5_5ELb0ES3_mN6hipcub16HIPCUB_304000_NS21CountingInputIteratorIllEEPS6_NSA_22TransformInputIteratorIb7NonZeroIaEPalEENS0_5tupleIJPlS6_EEENSJ_IJSD_SD_EEES6_SK_JS6_EEE10hipError_tPvRmT3_T4_T5_T6_T7_T9_mT8_P12ihipStream_tbDpT10_ENKUlT_T0_E_clISt17integral_constantIbLb0EES15_IbLb1EEEEDaS11_S12_EUlS11_E_NS1_11comp_targetILNS1_3genE8ELNS1_11target_archE1030ELNS1_3gpuE2ELNS1_3repE0EEENS1_30default_config_static_selectorELNS0_4arch9wavefront6targetE1EEEvT1_
	.globl	_ZN7rocprim17ROCPRIM_400000_NS6detail17trampoline_kernelINS0_14default_configENS1_25partition_config_selectorILNS1_17partition_subalgoE5ElNS0_10empty_typeEbEEZZNS1_14partition_implILS5_5ELb0ES3_mN6hipcub16HIPCUB_304000_NS21CountingInputIteratorIllEEPS6_NSA_22TransformInputIteratorIb7NonZeroIaEPalEENS0_5tupleIJPlS6_EEENSJ_IJSD_SD_EEES6_SK_JS6_EEE10hipError_tPvRmT3_T4_T5_T6_T7_T9_mT8_P12ihipStream_tbDpT10_ENKUlT_T0_E_clISt17integral_constantIbLb0EES15_IbLb1EEEEDaS11_S12_EUlS11_E_NS1_11comp_targetILNS1_3genE8ELNS1_11target_archE1030ELNS1_3gpuE2ELNS1_3repE0EEENS1_30default_config_static_selectorELNS0_4arch9wavefront6targetE1EEEvT1_
	.p2align	8
	.type	_ZN7rocprim17ROCPRIM_400000_NS6detail17trampoline_kernelINS0_14default_configENS1_25partition_config_selectorILNS1_17partition_subalgoE5ElNS0_10empty_typeEbEEZZNS1_14partition_implILS5_5ELb0ES3_mN6hipcub16HIPCUB_304000_NS21CountingInputIteratorIllEEPS6_NSA_22TransformInputIteratorIb7NonZeroIaEPalEENS0_5tupleIJPlS6_EEENSJ_IJSD_SD_EEES6_SK_JS6_EEE10hipError_tPvRmT3_T4_T5_T6_T7_T9_mT8_P12ihipStream_tbDpT10_ENKUlT_T0_E_clISt17integral_constantIbLb0EES15_IbLb1EEEEDaS11_S12_EUlS11_E_NS1_11comp_targetILNS1_3genE8ELNS1_11target_archE1030ELNS1_3gpuE2ELNS1_3repE0EEENS1_30default_config_static_selectorELNS0_4arch9wavefront6targetE1EEEvT1_,@function
_ZN7rocprim17ROCPRIM_400000_NS6detail17trampoline_kernelINS0_14default_configENS1_25partition_config_selectorILNS1_17partition_subalgoE5ElNS0_10empty_typeEbEEZZNS1_14partition_implILS5_5ELb0ES3_mN6hipcub16HIPCUB_304000_NS21CountingInputIteratorIllEEPS6_NSA_22TransformInputIteratorIb7NonZeroIaEPalEENS0_5tupleIJPlS6_EEENSJ_IJSD_SD_EEES6_SK_JS6_EEE10hipError_tPvRmT3_T4_T5_T6_T7_T9_mT8_P12ihipStream_tbDpT10_ENKUlT_T0_E_clISt17integral_constantIbLb0EES15_IbLb1EEEEDaS11_S12_EUlS11_E_NS1_11comp_targetILNS1_3genE8ELNS1_11target_archE1030ELNS1_3gpuE2ELNS1_3repE0EEENS1_30default_config_static_selectorELNS0_4arch9wavefront6targetE1EEEvT1_: ; @_ZN7rocprim17ROCPRIM_400000_NS6detail17trampoline_kernelINS0_14default_configENS1_25partition_config_selectorILNS1_17partition_subalgoE5ElNS0_10empty_typeEbEEZZNS1_14partition_implILS5_5ELb0ES3_mN6hipcub16HIPCUB_304000_NS21CountingInputIteratorIllEEPS6_NSA_22TransformInputIteratorIb7NonZeroIaEPalEENS0_5tupleIJPlS6_EEENSJ_IJSD_SD_EEES6_SK_JS6_EEE10hipError_tPvRmT3_T4_T5_T6_T7_T9_mT8_P12ihipStream_tbDpT10_ENKUlT_T0_E_clISt17integral_constantIbLb0EES15_IbLb1EEEEDaS11_S12_EUlS11_E_NS1_11comp_targetILNS1_3genE8ELNS1_11target_archE1030ELNS1_3gpuE2ELNS1_3repE0EEENS1_30default_config_static_selectorELNS0_4arch9wavefront6targetE1EEEvT1_
; %bb.0:
	.section	.rodata,"a",@progbits
	.p2align	6, 0x0
	.amdhsa_kernel _ZN7rocprim17ROCPRIM_400000_NS6detail17trampoline_kernelINS0_14default_configENS1_25partition_config_selectorILNS1_17partition_subalgoE5ElNS0_10empty_typeEbEEZZNS1_14partition_implILS5_5ELb0ES3_mN6hipcub16HIPCUB_304000_NS21CountingInputIteratorIllEEPS6_NSA_22TransformInputIteratorIb7NonZeroIaEPalEENS0_5tupleIJPlS6_EEENSJ_IJSD_SD_EEES6_SK_JS6_EEE10hipError_tPvRmT3_T4_T5_T6_T7_T9_mT8_P12ihipStream_tbDpT10_ENKUlT_T0_E_clISt17integral_constantIbLb0EES15_IbLb1EEEEDaS11_S12_EUlS11_E_NS1_11comp_targetILNS1_3genE8ELNS1_11target_archE1030ELNS1_3gpuE2ELNS1_3repE0EEENS1_30default_config_static_selectorELNS0_4arch9wavefront6targetE1EEEvT1_
		.amdhsa_group_segment_fixed_size 0
		.amdhsa_private_segment_fixed_size 0
		.amdhsa_kernarg_size 136
		.amdhsa_user_sgpr_count 6
		.amdhsa_user_sgpr_private_segment_buffer 1
		.amdhsa_user_sgpr_dispatch_ptr 0
		.amdhsa_user_sgpr_queue_ptr 0
		.amdhsa_user_sgpr_kernarg_segment_ptr 1
		.amdhsa_user_sgpr_dispatch_id 0
		.amdhsa_user_sgpr_flat_scratch_init 0
		.amdhsa_user_sgpr_private_segment_size 0
		.amdhsa_uses_dynamic_stack 0
		.amdhsa_system_sgpr_private_segment_wavefront_offset 0
		.amdhsa_system_sgpr_workgroup_id_x 1
		.amdhsa_system_sgpr_workgroup_id_y 0
		.amdhsa_system_sgpr_workgroup_id_z 0
		.amdhsa_system_sgpr_workgroup_info 0
		.amdhsa_system_vgpr_workitem_id 0
		.amdhsa_next_free_vgpr 1
		.amdhsa_next_free_sgpr 0
		.amdhsa_reserve_vcc 0
		.amdhsa_reserve_flat_scratch 0
		.amdhsa_float_round_mode_32 0
		.amdhsa_float_round_mode_16_64 0
		.amdhsa_float_denorm_mode_32 3
		.amdhsa_float_denorm_mode_16_64 3
		.amdhsa_dx10_clamp 1
		.amdhsa_ieee_mode 1
		.amdhsa_fp16_overflow 0
		.amdhsa_exception_fp_ieee_invalid_op 0
		.amdhsa_exception_fp_denorm_src 0
		.amdhsa_exception_fp_ieee_div_zero 0
		.amdhsa_exception_fp_ieee_overflow 0
		.amdhsa_exception_fp_ieee_underflow 0
		.amdhsa_exception_fp_ieee_inexact 0
		.amdhsa_exception_int_div_zero 0
	.end_amdhsa_kernel
	.section	.text._ZN7rocprim17ROCPRIM_400000_NS6detail17trampoline_kernelINS0_14default_configENS1_25partition_config_selectorILNS1_17partition_subalgoE5ElNS0_10empty_typeEbEEZZNS1_14partition_implILS5_5ELb0ES3_mN6hipcub16HIPCUB_304000_NS21CountingInputIteratorIllEEPS6_NSA_22TransformInputIteratorIb7NonZeroIaEPalEENS0_5tupleIJPlS6_EEENSJ_IJSD_SD_EEES6_SK_JS6_EEE10hipError_tPvRmT3_T4_T5_T6_T7_T9_mT8_P12ihipStream_tbDpT10_ENKUlT_T0_E_clISt17integral_constantIbLb0EES15_IbLb1EEEEDaS11_S12_EUlS11_E_NS1_11comp_targetILNS1_3genE8ELNS1_11target_archE1030ELNS1_3gpuE2ELNS1_3repE0EEENS1_30default_config_static_selectorELNS0_4arch9wavefront6targetE1EEEvT1_,"axG",@progbits,_ZN7rocprim17ROCPRIM_400000_NS6detail17trampoline_kernelINS0_14default_configENS1_25partition_config_selectorILNS1_17partition_subalgoE5ElNS0_10empty_typeEbEEZZNS1_14partition_implILS5_5ELb0ES3_mN6hipcub16HIPCUB_304000_NS21CountingInputIteratorIllEEPS6_NSA_22TransformInputIteratorIb7NonZeroIaEPalEENS0_5tupleIJPlS6_EEENSJ_IJSD_SD_EEES6_SK_JS6_EEE10hipError_tPvRmT3_T4_T5_T6_T7_T9_mT8_P12ihipStream_tbDpT10_ENKUlT_T0_E_clISt17integral_constantIbLb0EES15_IbLb1EEEEDaS11_S12_EUlS11_E_NS1_11comp_targetILNS1_3genE8ELNS1_11target_archE1030ELNS1_3gpuE2ELNS1_3repE0EEENS1_30default_config_static_selectorELNS0_4arch9wavefront6targetE1EEEvT1_,comdat
.Lfunc_end79:
	.size	_ZN7rocprim17ROCPRIM_400000_NS6detail17trampoline_kernelINS0_14default_configENS1_25partition_config_selectorILNS1_17partition_subalgoE5ElNS0_10empty_typeEbEEZZNS1_14partition_implILS5_5ELb0ES3_mN6hipcub16HIPCUB_304000_NS21CountingInputIteratorIllEEPS6_NSA_22TransformInputIteratorIb7NonZeroIaEPalEENS0_5tupleIJPlS6_EEENSJ_IJSD_SD_EEES6_SK_JS6_EEE10hipError_tPvRmT3_T4_T5_T6_T7_T9_mT8_P12ihipStream_tbDpT10_ENKUlT_T0_E_clISt17integral_constantIbLb0EES15_IbLb1EEEEDaS11_S12_EUlS11_E_NS1_11comp_targetILNS1_3genE8ELNS1_11target_archE1030ELNS1_3gpuE2ELNS1_3repE0EEENS1_30default_config_static_selectorELNS0_4arch9wavefront6targetE1EEEvT1_, .Lfunc_end79-_ZN7rocprim17ROCPRIM_400000_NS6detail17trampoline_kernelINS0_14default_configENS1_25partition_config_selectorILNS1_17partition_subalgoE5ElNS0_10empty_typeEbEEZZNS1_14partition_implILS5_5ELb0ES3_mN6hipcub16HIPCUB_304000_NS21CountingInputIteratorIllEEPS6_NSA_22TransformInputIteratorIb7NonZeroIaEPalEENS0_5tupleIJPlS6_EEENSJ_IJSD_SD_EEES6_SK_JS6_EEE10hipError_tPvRmT3_T4_T5_T6_T7_T9_mT8_P12ihipStream_tbDpT10_ENKUlT_T0_E_clISt17integral_constantIbLb0EES15_IbLb1EEEEDaS11_S12_EUlS11_E_NS1_11comp_targetILNS1_3genE8ELNS1_11target_archE1030ELNS1_3gpuE2ELNS1_3repE0EEENS1_30default_config_static_selectorELNS0_4arch9wavefront6targetE1EEEvT1_
                                        ; -- End function
	.set _ZN7rocprim17ROCPRIM_400000_NS6detail17trampoline_kernelINS0_14default_configENS1_25partition_config_selectorILNS1_17partition_subalgoE5ElNS0_10empty_typeEbEEZZNS1_14partition_implILS5_5ELb0ES3_mN6hipcub16HIPCUB_304000_NS21CountingInputIteratorIllEEPS6_NSA_22TransformInputIteratorIb7NonZeroIaEPalEENS0_5tupleIJPlS6_EEENSJ_IJSD_SD_EEES6_SK_JS6_EEE10hipError_tPvRmT3_T4_T5_T6_T7_T9_mT8_P12ihipStream_tbDpT10_ENKUlT_T0_E_clISt17integral_constantIbLb0EES15_IbLb1EEEEDaS11_S12_EUlS11_E_NS1_11comp_targetILNS1_3genE8ELNS1_11target_archE1030ELNS1_3gpuE2ELNS1_3repE0EEENS1_30default_config_static_selectorELNS0_4arch9wavefront6targetE1EEEvT1_.num_vgpr, 0
	.set _ZN7rocprim17ROCPRIM_400000_NS6detail17trampoline_kernelINS0_14default_configENS1_25partition_config_selectorILNS1_17partition_subalgoE5ElNS0_10empty_typeEbEEZZNS1_14partition_implILS5_5ELb0ES3_mN6hipcub16HIPCUB_304000_NS21CountingInputIteratorIllEEPS6_NSA_22TransformInputIteratorIb7NonZeroIaEPalEENS0_5tupleIJPlS6_EEENSJ_IJSD_SD_EEES6_SK_JS6_EEE10hipError_tPvRmT3_T4_T5_T6_T7_T9_mT8_P12ihipStream_tbDpT10_ENKUlT_T0_E_clISt17integral_constantIbLb0EES15_IbLb1EEEEDaS11_S12_EUlS11_E_NS1_11comp_targetILNS1_3genE8ELNS1_11target_archE1030ELNS1_3gpuE2ELNS1_3repE0EEENS1_30default_config_static_selectorELNS0_4arch9wavefront6targetE1EEEvT1_.num_agpr, 0
	.set _ZN7rocprim17ROCPRIM_400000_NS6detail17trampoline_kernelINS0_14default_configENS1_25partition_config_selectorILNS1_17partition_subalgoE5ElNS0_10empty_typeEbEEZZNS1_14partition_implILS5_5ELb0ES3_mN6hipcub16HIPCUB_304000_NS21CountingInputIteratorIllEEPS6_NSA_22TransformInputIteratorIb7NonZeroIaEPalEENS0_5tupleIJPlS6_EEENSJ_IJSD_SD_EEES6_SK_JS6_EEE10hipError_tPvRmT3_T4_T5_T6_T7_T9_mT8_P12ihipStream_tbDpT10_ENKUlT_T0_E_clISt17integral_constantIbLb0EES15_IbLb1EEEEDaS11_S12_EUlS11_E_NS1_11comp_targetILNS1_3genE8ELNS1_11target_archE1030ELNS1_3gpuE2ELNS1_3repE0EEENS1_30default_config_static_selectorELNS0_4arch9wavefront6targetE1EEEvT1_.numbered_sgpr, 0
	.set _ZN7rocprim17ROCPRIM_400000_NS6detail17trampoline_kernelINS0_14default_configENS1_25partition_config_selectorILNS1_17partition_subalgoE5ElNS0_10empty_typeEbEEZZNS1_14partition_implILS5_5ELb0ES3_mN6hipcub16HIPCUB_304000_NS21CountingInputIteratorIllEEPS6_NSA_22TransformInputIteratorIb7NonZeroIaEPalEENS0_5tupleIJPlS6_EEENSJ_IJSD_SD_EEES6_SK_JS6_EEE10hipError_tPvRmT3_T4_T5_T6_T7_T9_mT8_P12ihipStream_tbDpT10_ENKUlT_T0_E_clISt17integral_constantIbLb0EES15_IbLb1EEEEDaS11_S12_EUlS11_E_NS1_11comp_targetILNS1_3genE8ELNS1_11target_archE1030ELNS1_3gpuE2ELNS1_3repE0EEENS1_30default_config_static_selectorELNS0_4arch9wavefront6targetE1EEEvT1_.num_named_barrier, 0
	.set _ZN7rocprim17ROCPRIM_400000_NS6detail17trampoline_kernelINS0_14default_configENS1_25partition_config_selectorILNS1_17partition_subalgoE5ElNS0_10empty_typeEbEEZZNS1_14partition_implILS5_5ELb0ES3_mN6hipcub16HIPCUB_304000_NS21CountingInputIteratorIllEEPS6_NSA_22TransformInputIteratorIb7NonZeroIaEPalEENS0_5tupleIJPlS6_EEENSJ_IJSD_SD_EEES6_SK_JS6_EEE10hipError_tPvRmT3_T4_T5_T6_T7_T9_mT8_P12ihipStream_tbDpT10_ENKUlT_T0_E_clISt17integral_constantIbLb0EES15_IbLb1EEEEDaS11_S12_EUlS11_E_NS1_11comp_targetILNS1_3genE8ELNS1_11target_archE1030ELNS1_3gpuE2ELNS1_3repE0EEENS1_30default_config_static_selectorELNS0_4arch9wavefront6targetE1EEEvT1_.private_seg_size, 0
	.set _ZN7rocprim17ROCPRIM_400000_NS6detail17trampoline_kernelINS0_14default_configENS1_25partition_config_selectorILNS1_17partition_subalgoE5ElNS0_10empty_typeEbEEZZNS1_14partition_implILS5_5ELb0ES3_mN6hipcub16HIPCUB_304000_NS21CountingInputIteratorIllEEPS6_NSA_22TransformInputIteratorIb7NonZeroIaEPalEENS0_5tupleIJPlS6_EEENSJ_IJSD_SD_EEES6_SK_JS6_EEE10hipError_tPvRmT3_T4_T5_T6_T7_T9_mT8_P12ihipStream_tbDpT10_ENKUlT_T0_E_clISt17integral_constantIbLb0EES15_IbLb1EEEEDaS11_S12_EUlS11_E_NS1_11comp_targetILNS1_3genE8ELNS1_11target_archE1030ELNS1_3gpuE2ELNS1_3repE0EEENS1_30default_config_static_selectorELNS0_4arch9wavefront6targetE1EEEvT1_.uses_vcc, 0
	.set _ZN7rocprim17ROCPRIM_400000_NS6detail17trampoline_kernelINS0_14default_configENS1_25partition_config_selectorILNS1_17partition_subalgoE5ElNS0_10empty_typeEbEEZZNS1_14partition_implILS5_5ELb0ES3_mN6hipcub16HIPCUB_304000_NS21CountingInputIteratorIllEEPS6_NSA_22TransformInputIteratorIb7NonZeroIaEPalEENS0_5tupleIJPlS6_EEENSJ_IJSD_SD_EEES6_SK_JS6_EEE10hipError_tPvRmT3_T4_T5_T6_T7_T9_mT8_P12ihipStream_tbDpT10_ENKUlT_T0_E_clISt17integral_constantIbLb0EES15_IbLb1EEEEDaS11_S12_EUlS11_E_NS1_11comp_targetILNS1_3genE8ELNS1_11target_archE1030ELNS1_3gpuE2ELNS1_3repE0EEENS1_30default_config_static_selectorELNS0_4arch9wavefront6targetE1EEEvT1_.uses_flat_scratch, 0
	.set _ZN7rocprim17ROCPRIM_400000_NS6detail17trampoline_kernelINS0_14default_configENS1_25partition_config_selectorILNS1_17partition_subalgoE5ElNS0_10empty_typeEbEEZZNS1_14partition_implILS5_5ELb0ES3_mN6hipcub16HIPCUB_304000_NS21CountingInputIteratorIllEEPS6_NSA_22TransformInputIteratorIb7NonZeroIaEPalEENS0_5tupleIJPlS6_EEENSJ_IJSD_SD_EEES6_SK_JS6_EEE10hipError_tPvRmT3_T4_T5_T6_T7_T9_mT8_P12ihipStream_tbDpT10_ENKUlT_T0_E_clISt17integral_constantIbLb0EES15_IbLb1EEEEDaS11_S12_EUlS11_E_NS1_11comp_targetILNS1_3genE8ELNS1_11target_archE1030ELNS1_3gpuE2ELNS1_3repE0EEENS1_30default_config_static_selectorELNS0_4arch9wavefront6targetE1EEEvT1_.has_dyn_sized_stack, 0
	.set _ZN7rocprim17ROCPRIM_400000_NS6detail17trampoline_kernelINS0_14default_configENS1_25partition_config_selectorILNS1_17partition_subalgoE5ElNS0_10empty_typeEbEEZZNS1_14partition_implILS5_5ELb0ES3_mN6hipcub16HIPCUB_304000_NS21CountingInputIteratorIllEEPS6_NSA_22TransformInputIteratorIb7NonZeroIaEPalEENS0_5tupleIJPlS6_EEENSJ_IJSD_SD_EEES6_SK_JS6_EEE10hipError_tPvRmT3_T4_T5_T6_T7_T9_mT8_P12ihipStream_tbDpT10_ENKUlT_T0_E_clISt17integral_constantIbLb0EES15_IbLb1EEEEDaS11_S12_EUlS11_E_NS1_11comp_targetILNS1_3genE8ELNS1_11target_archE1030ELNS1_3gpuE2ELNS1_3repE0EEENS1_30default_config_static_selectorELNS0_4arch9wavefront6targetE1EEEvT1_.has_recursion, 0
	.set _ZN7rocprim17ROCPRIM_400000_NS6detail17trampoline_kernelINS0_14default_configENS1_25partition_config_selectorILNS1_17partition_subalgoE5ElNS0_10empty_typeEbEEZZNS1_14partition_implILS5_5ELb0ES3_mN6hipcub16HIPCUB_304000_NS21CountingInputIteratorIllEEPS6_NSA_22TransformInputIteratorIb7NonZeroIaEPalEENS0_5tupleIJPlS6_EEENSJ_IJSD_SD_EEES6_SK_JS6_EEE10hipError_tPvRmT3_T4_T5_T6_T7_T9_mT8_P12ihipStream_tbDpT10_ENKUlT_T0_E_clISt17integral_constantIbLb0EES15_IbLb1EEEEDaS11_S12_EUlS11_E_NS1_11comp_targetILNS1_3genE8ELNS1_11target_archE1030ELNS1_3gpuE2ELNS1_3repE0EEENS1_30default_config_static_selectorELNS0_4arch9wavefront6targetE1EEEvT1_.has_indirect_call, 0
	.section	.AMDGPU.csdata,"",@progbits
; Kernel info:
; codeLenInByte = 0
; TotalNumSgprs: 4
; NumVgprs: 0
; ScratchSize: 0
; MemoryBound: 0
; FloatMode: 240
; IeeeMode: 1
; LDSByteSize: 0 bytes/workgroup (compile time only)
; SGPRBlocks: 0
; VGPRBlocks: 0
; NumSGPRsForWavesPerEU: 4
; NumVGPRsForWavesPerEU: 1
; Occupancy: 10
; WaveLimiterHint : 0
; COMPUTE_PGM_RSRC2:SCRATCH_EN: 0
; COMPUTE_PGM_RSRC2:USER_SGPR: 6
; COMPUTE_PGM_RSRC2:TRAP_HANDLER: 0
; COMPUTE_PGM_RSRC2:TGID_X_EN: 1
; COMPUTE_PGM_RSRC2:TGID_Y_EN: 0
; COMPUTE_PGM_RSRC2:TGID_Z_EN: 0
; COMPUTE_PGM_RSRC2:TIDIG_COMP_CNT: 0
	.section	.text._Z13write_indicesIlEvPl10TensorDimsIT_EiS2_,"axG",@progbits,_Z13write_indicesIlEvPl10TensorDimsIT_EiS2_,comdat
	.protected	_Z13write_indicesIlEvPl10TensorDimsIT_EiS2_ ; -- Begin function _Z13write_indicesIlEvPl10TensorDimsIT_EiS2_
	.globl	_Z13write_indicesIlEvPl10TensorDimsIT_EiS2_
	.p2align	8
	.type	_Z13write_indicesIlEvPl10TensorDimsIT_EiS2_,@function
_Z13write_indicesIlEvPl10TensorDimsIT_EiS2_: ; @_Z13write_indicesIlEvPl10TensorDimsIT_EiS2_
; %bb.0:
	s_load_dword s0, s[4:5], 0x34
	s_load_dwordx2 s[8:9], s[4:5], 0x20
	v_mov_b32_e32 v1, 0
	s_waitcnt lgkmcnt(0)
	s_and_b32 s0, s0, 0xffff
	s_mul_i32 s6, s6, s0
	v_add_u32_e32 v0, s6, v0
	v_cmp_gt_i64_e32 vcc, s[8:9], v[0:1]
	s_and_saveexec_b64 s[0:1], vcc
	s_cbranch_execz .LBB80_4
; %bb.1:
	s_load_dwordx2 s[0:1], s[4:5], 0x0
	s_load_dword s16, s[4:5], 0x18
	v_lshlrev_b64 v[0:1], 3, v[0:1]
	s_mov_b64 s[6:7], 1
	s_waitcnt lgkmcnt(0)
	v_mov_b32_e32 v2, s1
	v_add_co_u32_e32 v0, vcc, s0, v0
	v_addc_co_u32_e32 v1, vcc, v2, v1, vcc
	global_load_dwordx2 v[2:3], v[0:1], off
	s_cmp_lt_i32 s16, 3
	s_cbranch_scc0 .LBB80_5
; %bb.2:
	s_cmp_lt_i32 s16, 2
	s_cbranch_scc0 .LBB80_10
.LBB80_3:
	s_cmp_lt_i32 s16, 1
	s_cbranch_scc0 .LBB80_19
.LBB80_4:
	s_endpgm
.LBB80_5:
	s_load_dwordx2 s[6:7], s[4:5], 0x18
	v_mov_b32_e32 v4, 0
	s_waitcnt vmcnt(0) lgkmcnt(0)
	v_or_b32_e32 v5, s7, v3
	v_cmp_ne_u64_e32 vcc, 0, v[4:5]
                                        ; implicit-def: $vgpr4_vgpr5
	s_and_saveexec_b64 s[0:1], vcc
	s_xor_b64 s[10:11], exec, s[0:1]
	s_cbranch_execz .LBB80_7
; %bb.6:
	s_ashr_i32 s0, s7, 31
	s_add_u32 s2, s6, s0
	s_mov_b32 s1, s0
	s_addc_u32 s3, s7, s0
	s_xor_b64 s[12:13], s[2:3], s[0:1]
	v_cvt_f32_u32_e32 v4, s12
	v_cvt_f32_u32_e32 v5, s13
	s_sub_u32 s2, 0, s12
	s_subb_u32 s3, 0, s13
	v_ashrrev_i32_e32 v8, 31, v3
	v_madmk_f32 v4, v5, 0x4f800000, v4
	v_rcp_f32_e32 v4, v4
	v_mul_f32_e32 v4, 0x5f7ffffc, v4
	v_mul_f32_e32 v5, 0x2f800000, v4
	v_trunc_f32_e32 v5, v5
	v_madmk_f32 v4, v5, 0xcf800000, v4
	v_cvt_u32_f32_e32 v5, v5
	v_cvt_u32_f32_e32 v4, v4
	v_readfirstlane_b32 s14, v5
	v_readfirstlane_b32 s0, v4
	s_mul_i32 s1, s2, s14
	s_mul_hi_u32 s17, s2, s0
	s_mul_i32 s15, s3, s0
	s_add_i32 s1, s17, s1
	s_add_i32 s1, s1, s15
	s_mul_i32 s18, s2, s0
	s_mul_i32 s17, s0, s1
	s_mul_hi_u32 s19, s0, s18
	s_mul_hi_u32 s15, s0, s1
	s_add_u32 s17, s19, s17
	s_addc_u32 s15, 0, s15
	s_mul_hi_u32 s20, s14, s18
	s_mul_i32 s18, s14, s18
	s_add_u32 s17, s17, s18
	s_mul_hi_u32 s19, s14, s1
	s_addc_u32 s15, s15, s20
	s_addc_u32 s17, s19, 0
	s_mul_i32 s1, s14, s1
	s_add_u32 s1, s15, s1
	s_addc_u32 s15, 0, s17
	s_add_u32 s17, s0, s1
	s_cselect_b64 s[0:1], -1, 0
	s_cmp_lg_u64 s[0:1], 0
	s_addc_u32 s14, s14, s15
	s_mul_i32 s0, s2, s14
	s_mul_hi_u32 s1, s2, s17
	s_add_i32 s0, s1, s0
	s_mul_i32 s3, s3, s17
	s_add_i32 s0, s0, s3
	s_mul_i32 s2, s2, s17
	s_mul_hi_u32 s3, s14, s2
	s_mul_i32 s15, s14, s2
	s_mul_i32 s19, s17, s0
	s_mul_hi_u32 s2, s17, s2
	s_mul_hi_u32 s18, s17, s0
	s_add_u32 s2, s2, s19
	s_addc_u32 s18, 0, s18
	s_add_u32 s2, s2, s15
	s_mul_hi_u32 s1, s14, s0
	s_addc_u32 s2, s18, s3
	s_addc_u32 s1, s1, 0
	s_mul_i32 s0, s14, s0
	s_add_u32 s0, s2, s0
	s_addc_u32 s2, 0, s1
	s_add_u32 s3, s17, s0
	s_cselect_b64 s[0:1], -1, 0
	s_cmp_lg_u64 s[0:1], 0
	v_add_co_u32_e32 v4, vcc, v2, v8
	s_addc_u32 s2, s14, s2
	v_xor_b32_e32 v9, v4, v8
	v_mad_u64_u32 v[4:5], s[0:1], v9, s2, 0
	v_mul_hi_u32 v7, v9, s3
	v_addc_co_u32_e32 v6, vcc, v3, v8, vcc
	v_xor_b32_e32 v10, v6, v8
	v_add_co_u32_e32 v11, vcc, v7, v4
	v_addc_co_u32_e32 v12, vcc, 0, v5, vcc
	v_mad_u64_u32 v[4:5], s[0:1], v10, s3, 0
	v_mad_u64_u32 v[6:7], s[0:1], v10, s2, 0
	v_add_co_u32_e32 v4, vcc, v11, v4
	v_addc_co_u32_e32 v4, vcc, v12, v5, vcc
	v_addc_co_u32_e32 v5, vcc, 0, v7, vcc
	v_add_co_u32_e32 v4, vcc, v4, v6
	v_addc_co_u32_e32 v5, vcc, 0, v5, vcc
	v_mul_lo_u32 v6, s13, v4
	v_mul_lo_u32 v7, s12, v5
	v_mad_u64_u32 v[4:5], s[0:1], s12, v4, 0
	v_add3_u32 v5, v5, v7, v6
	v_sub_u32_e32 v6, v10, v5
	v_mov_b32_e32 v7, s13
	v_sub_co_u32_e32 v4, vcc, v9, v4
	v_subb_co_u32_e64 v6, s[0:1], v6, v7, vcc
	v_subrev_co_u32_e64 v9, s[0:1], s12, v4
	v_subbrev_co_u32_e64 v11, s[2:3], 0, v6, s[0:1]
	v_cmp_le_u32_e64 s[2:3], s13, v11
	v_cndmask_b32_e64 v12, 0, -1, s[2:3]
	v_cmp_le_u32_e64 s[2:3], s12, v9
	v_subb_co_u32_e64 v6, s[0:1], v6, v7, s[0:1]
	v_cndmask_b32_e64 v13, 0, -1, s[2:3]
	v_cmp_eq_u32_e64 s[2:3], s13, v11
	v_subrev_co_u32_e64 v7, s[0:1], s12, v9
	v_subb_co_u32_e32 v5, vcc, v10, v5, vcc
	v_cndmask_b32_e64 v12, v12, v13, s[2:3]
	v_subbrev_co_u32_e64 v6, s[0:1], 0, v6, s[0:1]
	v_cmp_le_u32_e32 vcc, s13, v5
	v_cmp_ne_u32_e64 s[0:1], 0, v12
	v_cndmask_b32_e64 v10, 0, -1, vcc
	v_cmp_le_u32_e32 vcc, s12, v4
	v_cndmask_b32_e64 v6, v11, v6, s[0:1]
	v_cndmask_b32_e64 v11, 0, -1, vcc
	v_cmp_eq_u32_e32 vcc, s13, v5
	v_cndmask_b32_e32 v10, v10, v11, vcc
	v_cmp_ne_u32_e32 vcc, 0, v10
	v_cndmask_b32_e32 v5, v5, v6, vcc
	v_cndmask_b32_e64 v6, v9, v7, s[0:1]
	v_cndmask_b32_e32 v4, v4, v6, vcc
	v_xor_b32_e32 v4, v4, v8
	v_xor_b32_e32 v5, v5, v8
	v_sub_co_u32_e32 v4, vcc, v4, v8
	v_subb_co_u32_e32 v5, vcc, v5, v8, vcc
.LBB80_7:
	s_andn2_saveexec_b64 s[0:1], s[10:11]
	s_cbranch_execz .LBB80_9
; %bb.8:
	v_cvt_f32_u32_e32 v4, s6
	s_sub_i32 s2, 0, s6
	v_rcp_iflag_f32_e32 v4, v4
	v_mul_f32_e32 v4, 0x4f7ffffe, v4
	v_cvt_u32_f32_e32 v4, v4
	v_mul_lo_u32 v5, s2, v4
	v_mul_hi_u32 v5, v4, v5
	v_add_u32_e32 v4, v4, v5
	v_mul_hi_u32 v4, v2, v4
	v_mul_lo_u32 v4, v4, s6
	v_sub_u32_e32 v4, v2, v4
	v_subrev_u32_e32 v5, s6, v4
	v_cmp_le_u32_e32 vcc, s6, v4
	v_cndmask_b32_e32 v4, v4, v5, vcc
	v_subrev_u32_e32 v5, s6, v4
	v_cmp_le_u32_e32 vcc, s6, v4
	v_cndmask_b32_e32 v4, v4, v5, vcc
	v_mov_b32_e32 v5, 0
.LBB80_9:
	s_or_b64 exec, exec, s[0:1]
	s_lshl_b64 s[0:1], s[8:9], 4
	v_mov_b32_e32 v7, s1
	v_add_co_u32_e32 v6, vcc, s0, v0
	v_addc_co_u32_e32 v7, vcc, v1, v7, vcc
	global_store_dwordx2 v[6:7], v[4:5], off
	s_cmp_lt_i32 s16, 2
	s_cbranch_scc1 .LBB80_3
.LBB80_10:
	s_load_dwordx2 s[10:11], s[4:5], 0x10
	s_waitcnt vmcnt(0)
	v_or_b32_e32 v5, s7, v3
	v_mov_b32_e32 v4, 0
	v_cmp_ne_u64_e32 vcc, 0, v[4:5]
                                        ; implicit-def: $vgpr4_vgpr5
	s_and_saveexec_b64 s[0:1], vcc
	s_xor_b64 s[2:3], exec, s[0:1]
	s_cbranch_execz .LBB80_12
; %bb.11:
	s_ashr_i32 s12, s7, 31
	s_add_u32 s0, s6, s12
	s_mov_b32 s13, s12
	s_addc_u32 s1, s7, s12
	s_xor_b64 s[14:15], s[0:1], s[12:13]
	v_cvt_f32_u32_e32 v4, s14
	v_cvt_f32_u32_e32 v5, s15
	s_sub_u32 s13, 0, s14
	s_subb_u32 s17, 0, s15
	v_ashrrev_i32_e32 v8, 31, v3
	v_madmk_f32 v4, v5, 0x4f800000, v4
	v_rcp_f32_e32 v4, v4
	v_mul_f32_e32 v4, 0x5f7ffffc, v4
	v_mul_f32_e32 v5, 0x2f800000, v4
	v_trunc_f32_e32 v5, v5
	v_madmk_f32 v4, v5, 0xcf800000, v4
	v_cvt_u32_f32_e32 v5, v5
	v_cvt_u32_f32_e32 v4, v4
	v_readfirstlane_b32 s18, v5
	v_readfirstlane_b32 s0, v4
	s_mul_i32 s1, s13, s18
	s_mul_hi_u32 s20, s13, s0
	s_mul_i32 s19, s17, s0
	s_add_i32 s1, s20, s1
	s_add_i32 s1, s1, s19
	s_mul_i32 s21, s13, s0
	s_mul_i32 s20, s0, s1
	s_mul_hi_u32 s22, s0, s21
	s_mul_hi_u32 s19, s0, s1
	s_add_u32 s20, s22, s20
	s_addc_u32 s19, 0, s19
	s_mul_hi_u32 s23, s18, s21
	s_mul_i32 s21, s18, s21
	s_add_u32 s20, s20, s21
	s_mul_hi_u32 s22, s18, s1
	s_addc_u32 s19, s19, s23
	s_addc_u32 s20, s22, 0
	s_mul_i32 s1, s18, s1
	s_add_u32 s1, s19, s1
	s_addc_u32 s19, 0, s20
	s_add_u32 s20, s0, s1
	s_cselect_b64 s[0:1], -1, 0
	s_cmp_lg_u64 s[0:1], 0
	s_addc_u32 s18, s18, s19
	s_mul_i32 s0, s13, s18
	s_mul_hi_u32 s1, s13, s20
	s_add_i32 s0, s1, s0
	s_mul_i32 s17, s17, s20
	s_add_i32 s0, s0, s17
	s_mul_i32 s13, s13, s20
	s_mul_hi_u32 s17, s18, s13
	s_mul_i32 s19, s18, s13
	s_mul_i32 s22, s20, s0
	s_mul_hi_u32 s13, s20, s13
	s_mul_hi_u32 s21, s20, s0
	s_add_u32 s13, s13, s22
	s_addc_u32 s21, 0, s21
	s_add_u32 s13, s13, s19
	s_mul_hi_u32 s1, s18, s0
	s_addc_u32 s13, s21, s17
	s_addc_u32 s1, s1, 0
	s_mul_i32 s0, s18, s0
	s_add_u32 s0, s13, s0
	s_addc_u32 s13, 0, s1
	s_add_u32 s17, s20, s0
	s_cselect_b64 s[0:1], -1, 0
	s_cmp_lg_u64 s[0:1], 0
	v_add_co_u32_e32 v4, vcc, v2, v8
	s_addc_u32 s13, s18, s13
	v_xor_b32_e32 v9, v4, v8
	v_mad_u64_u32 v[4:5], s[0:1], v9, s13, 0
	v_mul_hi_u32 v7, v9, s17
	v_addc_co_u32_e32 v6, vcc, v3, v8, vcc
	v_xor_b32_e32 v10, v6, v8
	v_add_co_u32_e32 v11, vcc, v7, v4
	v_addc_co_u32_e32 v12, vcc, 0, v5, vcc
	v_mad_u64_u32 v[4:5], s[0:1], v10, s17, 0
	v_mad_u64_u32 v[6:7], s[0:1], v10, s13, 0
	v_add_co_u32_e32 v4, vcc, v11, v4
	v_addc_co_u32_e32 v4, vcc, v12, v5, vcc
	v_addc_co_u32_e32 v5, vcc, 0, v7, vcc
	v_add_co_u32_e32 v6, vcc, v4, v6
	v_addc_co_u32_e32 v7, vcc, 0, v5, vcc
	v_mul_lo_u32 v11, s15, v6
	v_mul_lo_u32 v12, s14, v7
	v_mad_u64_u32 v[4:5], s[0:1], s14, v6, 0
	v_add3_u32 v5, v5, v12, v11
	v_sub_u32_e32 v11, v10, v5
	v_mov_b32_e32 v12, s15
	v_sub_co_u32_e32 v4, vcc, v9, v4
	v_subb_co_u32_e64 v9, s[0:1], v11, v12, vcc
	v_subrev_co_u32_e64 v11, s[0:1], s14, v4
	v_subbrev_co_u32_e64 v9, s[0:1], 0, v9, s[0:1]
	v_cmp_le_u32_e64 s[0:1], s15, v9
	v_cndmask_b32_e64 v12, 0, -1, s[0:1]
	v_cmp_le_u32_e64 s[0:1], s14, v11
	v_cndmask_b32_e64 v11, 0, -1, s[0:1]
	v_cmp_eq_u32_e64 s[0:1], s15, v9
	v_cndmask_b32_e64 v9, v12, v11, s[0:1]
	v_add_co_u32_e64 v11, s[0:1], 2, v6
	v_subb_co_u32_e32 v5, vcc, v10, v5, vcc
	v_addc_co_u32_e64 v12, s[0:1], 0, v7, s[0:1]
	v_cmp_le_u32_e32 vcc, s15, v5
	v_add_co_u32_e64 v13, s[0:1], 1, v6
	v_cndmask_b32_e64 v10, 0, -1, vcc
	v_cmp_le_u32_e32 vcc, s14, v4
	v_addc_co_u32_e64 v14, s[0:1], 0, v7, s[0:1]
	v_cndmask_b32_e64 v4, 0, -1, vcc
	v_cmp_eq_u32_e32 vcc, s15, v5
	v_cmp_ne_u32_e64 s[0:1], 0, v9
	v_cndmask_b32_e32 v4, v10, v4, vcc
	v_cndmask_b32_e64 v9, v14, v12, s[0:1]
	v_cmp_ne_u32_e32 vcc, 0, v4
	v_cndmask_b32_e64 v5, v13, v11, s[0:1]
	v_cndmask_b32_e32 v4, v7, v9, vcc
	v_cndmask_b32_e32 v5, v6, v5, vcc
	v_xor_b32_e32 v6, s12, v8
	v_xor_b32_e32 v7, v4, v6
	;; [unrolled: 1-line block ×3, first 2 shown]
	v_sub_co_u32_e32 v4, vcc, v4, v6
	v_subb_co_u32_e32 v5, vcc, v7, v6, vcc
.LBB80_12:
	s_andn2_saveexec_b64 s[0:1], s[2:3]
	s_cbranch_execz .LBB80_14
; %bb.13:
	v_cvt_f32_u32_e32 v4, s6
	s_sub_i32 s2, 0, s6
	v_rcp_iflag_f32_e32 v4, v4
	v_mul_f32_e32 v4, 0x4f7ffffe, v4
	v_cvt_u32_f32_e32 v4, v4
	v_mul_lo_u32 v5, s2, v4
	v_mul_hi_u32 v5, v4, v5
	v_add_u32_e32 v4, v4, v5
	v_mul_hi_u32 v4, v2, v4
	v_mul_lo_u32 v5, v4, s6
	v_add_u32_e32 v6, 1, v4
	v_sub_u32_e32 v5, v2, v5
	v_subrev_u32_e32 v7, s6, v5
	v_cmp_le_u32_e32 vcc, s6, v5
	v_cndmask_b32_e32 v5, v5, v7, vcc
	v_cndmask_b32_e32 v4, v4, v6, vcc
	v_add_u32_e32 v6, 1, v4
	v_cmp_le_u32_e32 vcc, s6, v5
	v_cndmask_b32_e32 v4, v4, v6, vcc
	v_mov_b32_e32 v5, 0
.LBB80_14:
	s_or_b64 exec, exec, s[0:1]
	s_waitcnt lgkmcnt(0)
	v_or_b32_e32 v7, s11, v5
	v_mov_b32_e32 v6, 0
	v_cmp_ne_u64_e32 vcc, 0, v[6:7]
                                        ; implicit-def: $vgpr6_vgpr7
	s_and_saveexec_b64 s[0:1], vcc
	s_xor_b64 s[12:13], exec, s[0:1]
	s_cbranch_execz .LBB80_16
; %bb.15:
	s_ashr_i32 s0, s11, 31
	s_add_u32 s2, s10, s0
	s_mov_b32 s1, s0
	s_addc_u32 s3, s11, s0
	s_xor_b64 s[14:15], s[2:3], s[0:1]
	v_cvt_f32_u32_e32 v6, s14
	v_cvt_f32_u32_e32 v7, s15
	s_sub_u32 s2, 0, s14
	s_subb_u32 s3, 0, s15
	v_ashrrev_i32_e32 v8, 31, v5
	v_madmk_f32 v6, v7, 0x4f800000, v6
	v_rcp_f32_e32 v6, v6
	v_add_co_u32_e32 v4, vcc, v4, v8
	v_xor_b32_e32 v9, v4, v8
	v_mul_f32_e32 v6, 0x5f7ffffc, v6
	v_mul_f32_e32 v7, 0x2f800000, v6
	v_trunc_f32_e32 v7, v7
	v_madmk_f32 v6, v7, 0xcf800000, v6
	v_cvt_u32_f32_e32 v7, v7
	v_cvt_u32_f32_e32 v6, v6
	v_readfirstlane_b32 s17, v7
	v_readfirstlane_b32 s0, v6
	s_mul_i32 s1, s2, s17
	s_mul_hi_u32 s19, s2, s0
	s_mul_i32 s18, s3, s0
	s_add_i32 s1, s19, s1
	s_add_i32 s1, s1, s18
	s_mul_i32 s20, s2, s0
	s_mul_i32 s19, s0, s1
	s_mul_hi_u32 s21, s0, s20
	s_mul_hi_u32 s18, s0, s1
	s_add_u32 s19, s21, s19
	s_addc_u32 s18, 0, s18
	s_mul_hi_u32 s22, s17, s20
	s_mul_i32 s20, s17, s20
	s_add_u32 s19, s19, s20
	s_mul_hi_u32 s21, s17, s1
	s_addc_u32 s18, s18, s22
	s_addc_u32 s19, s21, 0
	s_mul_i32 s1, s17, s1
	s_add_u32 s1, s18, s1
	s_addc_u32 s18, 0, s19
	s_add_u32 s19, s0, s1
	s_cselect_b64 s[0:1], -1, 0
	s_cmp_lg_u64 s[0:1], 0
	s_addc_u32 s17, s17, s18
	s_mul_i32 s0, s2, s17
	s_mul_hi_u32 s1, s2, s19
	s_add_i32 s0, s1, s0
	s_mul_i32 s3, s3, s19
	s_add_i32 s0, s0, s3
	s_mul_i32 s2, s2, s19
	s_mul_hi_u32 s3, s17, s2
	s_mul_i32 s18, s17, s2
	s_mul_i32 s21, s19, s0
	s_mul_hi_u32 s2, s19, s2
	s_mul_hi_u32 s20, s19, s0
	s_add_u32 s2, s2, s21
	s_addc_u32 s20, 0, s20
	s_add_u32 s2, s2, s18
	s_mul_hi_u32 s1, s17, s0
	s_addc_u32 s2, s20, s3
	s_addc_u32 s1, s1, 0
	s_mul_i32 s0, s17, s0
	s_add_u32 s0, s2, s0
	s_addc_u32 s2, 0, s1
	s_add_u32 s3, s19, s0
	s_cselect_b64 s[0:1], -1, 0
	s_cmp_lg_u64 s[0:1], 0
	s_addc_u32 s2, s17, s2
	v_addc_co_u32_e32 v6, vcc, v5, v8, vcc
	v_mad_u64_u32 v[4:5], s[0:1], v9, s2, 0
	v_mul_hi_u32 v7, v9, s3
	v_xor_b32_e32 v10, v6, v8
	v_add_co_u32_e32 v11, vcc, v7, v4
	v_addc_co_u32_e32 v12, vcc, 0, v5, vcc
	v_mad_u64_u32 v[4:5], s[0:1], v10, s3, 0
	v_mad_u64_u32 v[6:7], s[0:1], v10, s2, 0
	v_add_co_u32_e32 v4, vcc, v11, v4
	v_addc_co_u32_e32 v4, vcc, v12, v5, vcc
	v_addc_co_u32_e32 v5, vcc, 0, v7, vcc
	v_add_co_u32_e32 v4, vcc, v4, v6
	v_addc_co_u32_e32 v5, vcc, 0, v5, vcc
	v_mul_lo_u32 v6, s15, v4
	v_mul_lo_u32 v7, s14, v5
	v_mad_u64_u32 v[4:5], s[0:1], s14, v4, 0
	v_add3_u32 v5, v5, v7, v6
	v_sub_u32_e32 v6, v10, v5
	v_mov_b32_e32 v7, s15
	v_sub_co_u32_e32 v4, vcc, v9, v4
	v_subb_co_u32_e64 v6, s[0:1], v6, v7, vcc
	v_subrev_co_u32_e64 v9, s[0:1], s14, v4
	v_subbrev_co_u32_e64 v11, s[2:3], 0, v6, s[0:1]
	v_cmp_le_u32_e64 s[2:3], s15, v11
	v_cndmask_b32_e64 v12, 0, -1, s[2:3]
	v_cmp_le_u32_e64 s[2:3], s14, v9
	v_subb_co_u32_e64 v6, s[0:1], v6, v7, s[0:1]
	v_cndmask_b32_e64 v13, 0, -1, s[2:3]
	v_cmp_eq_u32_e64 s[2:3], s15, v11
	v_subrev_co_u32_e64 v7, s[0:1], s14, v9
	v_subb_co_u32_e32 v5, vcc, v10, v5, vcc
	v_cndmask_b32_e64 v12, v12, v13, s[2:3]
	v_subbrev_co_u32_e64 v6, s[0:1], 0, v6, s[0:1]
	v_cmp_le_u32_e32 vcc, s15, v5
	v_cmp_ne_u32_e64 s[0:1], 0, v12
	v_cndmask_b32_e64 v10, 0, -1, vcc
	v_cmp_le_u32_e32 vcc, s14, v4
	v_cndmask_b32_e64 v6, v11, v6, s[0:1]
	v_cndmask_b32_e64 v11, 0, -1, vcc
	v_cmp_eq_u32_e32 vcc, s15, v5
	v_cndmask_b32_e32 v10, v10, v11, vcc
	v_cmp_ne_u32_e32 vcc, 0, v10
	v_cndmask_b32_e32 v5, v5, v6, vcc
	v_cndmask_b32_e64 v6, v9, v7, s[0:1]
	v_cndmask_b32_e32 v4, v4, v6, vcc
	v_xor_b32_e32 v4, v4, v8
	v_xor_b32_e32 v5, v5, v8
	v_sub_co_u32_e32 v6, vcc, v4, v8
	v_subb_co_u32_e32 v7, vcc, v5, v8, vcc
                                        ; implicit-def: $vgpr4_vgpr5
.LBB80_16:
	s_andn2_saveexec_b64 s[0:1], s[12:13]
	s_cbranch_execz .LBB80_18
; %bb.17:
	v_cvt_f32_u32_e32 v5, s10
	s_sub_i32 s2, 0, s10
	v_mov_b32_e32 v7, 0
	v_rcp_iflag_f32_e32 v5, v5
	v_mul_f32_e32 v5, 0x4f7ffffe, v5
	v_cvt_u32_f32_e32 v5, v5
	v_mul_lo_u32 v6, s2, v5
	v_mul_hi_u32 v6, v5, v6
	v_add_u32_e32 v5, v5, v6
	v_mul_hi_u32 v5, v4, v5
	v_mul_lo_u32 v5, v5, s10
	v_sub_u32_e32 v4, v4, v5
	v_subrev_u32_e32 v5, s10, v4
	v_cmp_le_u32_e32 vcc, s10, v4
	v_cndmask_b32_e32 v4, v4, v5, vcc
	v_subrev_u32_e32 v5, s10, v4
	v_cmp_le_u32_e32 vcc, s10, v4
	v_cndmask_b32_e32 v6, v4, v5, vcc
.LBB80_18:
	s_or_b64 exec, exec, s[0:1]
	s_lshl_b64 s[0:1], s[8:9], 3
	v_mov_b32_e32 v5, s1
	v_add_co_u32_e32 v4, vcc, s0, v0
	s_mul_i32 s0, s10, s7
	s_mul_hi_u32 s1, s10, s6
	s_add_i32 s0, s1, s0
	s_mul_i32 s1, s11, s6
	v_addc_co_u32_e32 v5, vcc, v1, v5, vcc
	s_add_i32 s7, s0, s1
	s_mul_i32 s6, s10, s6
	global_store_dwordx2 v[4:5], v[6:7], off
	s_cmp_lt_i32 s16, 1
	s_cbranch_scc1 .LBB80_4
.LBB80_19:
	s_load_dwordx2 s[4:5], s[4:5], 0x8
	s_waitcnt vmcnt(0)
	v_or_b32_e32 v5, s7, v3
	v_mov_b32_e32 v4, 0
	v_cmp_ne_u64_e32 vcc, 0, v[4:5]
                                        ; implicit-def: $vgpr4_vgpr5
	s_and_saveexec_b64 s[0:1], vcc
	s_xor_b64 s[2:3], exec, s[0:1]
	s_cbranch_execz .LBB80_21
; %bb.20:
	s_ashr_i32 s8, s7, 31
	s_add_u32 s0, s6, s8
	s_mov_b32 s9, s8
	s_addc_u32 s1, s7, s8
	s_xor_b64 s[10:11], s[0:1], s[8:9]
	v_cvt_f32_u32_e32 v4, s10
	v_cvt_f32_u32_e32 v5, s11
	s_sub_u32 s7, 0, s10
	s_subb_u32 s9, 0, s11
	v_ashrrev_i32_e32 v6, 31, v3
	v_madmk_f32 v4, v5, 0x4f800000, v4
	v_rcp_f32_e32 v4, v4
	v_add_co_u32_e32 v2, vcc, v2, v6
	v_xor_b32_e32 v7, v2, v6
	v_mul_f32_e32 v4, 0x5f7ffffc, v4
	v_mul_f32_e32 v5, 0x2f800000, v4
	v_trunc_f32_e32 v5, v5
	v_madmk_f32 v4, v5, 0xcf800000, v4
	v_cvt_u32_f32_e32 v5, v5
	v_cvt_u32_f32_e32 v4, v4
	v_readfirstlane_b32 s12, v5
	v_readfirstlane_b32 s0, v4
	s_mul_i32 s1, s7, s12
	s_mul_hi_u32 s14, s7, s0
	s_mul_i32 s13, s9, s0
	s_add_i32 s1, s14, s1
	s_add_i32 s1, s1, s13
	s_mul_i32 s15, s7, s0
	s_mul_i32 s14, s0, s1
	s_mul_hi_u32 s16, s0, s15
	s_mul_hi_u32 s13, s0, s1
	s_add_u32 s14, s16, s14
	s_addc_u32 s13, 0, s13
	s_mul_hi_u32 s17, s12, s15
	s_mul_i32 s15, s12, s15
	s_add_u32 s14, s14, s15
	s_mul_hi_u32 s16, s12, s1
	s_addc_u32 s13, s13, s17
	s_addc_u32 s14, s16, 0
	s_mul_i32 s1, s12, s1
	s_add_u32 s1, s13, s1
	s_addc_u32 s13, 0, s14
	s_add_u32 s14, s0, s1
	s_cselect_b64 s[0:1], -1, 0
	s_cmp_lg_u64 s[0:1], 0
	s_addc_u32 s12, s12, s13
	s_mul_i32 s0, s7, s12
	s_mul_hi_u32 s1, s7, s14
	s_add_i32 s0, s1, s0
	s_mul_i32 s9, s9, s14
	s_add_i32 s0, s0, s9
	s_mul_i32 s7, s7, s14
	s_mul_hi_u32 s9, s12, s7
	s_mul_i32 s13, s12, s7
	s_mul_i32 s16, s14, s0
	s_mul_hi_u32 s7, s14, s7
	s_mul_hi_u32 s15, s14, s0
	s_add_u32 s7, s7, s16
	s_addc_u32 s15, 0, s15
	s_add_u32 s7, s7, s13
	s_mul_hi_u32 s1, s12, s0
	s_addc_u32 s7, s15, s9
	s_addc_u32 s1, s1, 0
	s_mul_i32 s0, s12, s0
	s_add_u32 s0, s7, s0
	s_addc_u32 s7, 0, s1
	s_add_u32 s9, s14, s0
	s_cselect_b64 s[0:1], -1, 0
	s_cmp_lg_u64 s[0:1], 0
	s_addc_u32 s7, s12, s7
	v_addc_co_u32_e32 v4, vcc, v3, v6, vcc
	v_mad_u64_u32 v[2:3], s[0:1], v7, s7, 0
	v_mul_hi_u32 v5, v7, s9
	v_xor_b32_e32 v8, v4, v6
	v_add_co_u32_e32 v9, vcc, v5, v2
	v_addc_co_u32_e32 v10, vcc, 0, v3, vcc
	v_mad_u64_u32 v[2:3], s[0:1], v8, s9, 0
	v_mad_u64_u32 v[4:5], s[0:1], v8, s7, 0
	v_add_co_u32_e32 v2, vcc, v9, v2
	v_addc_co_u32_e32 v2, vcc, v10, v3, vcc
	v_addc_co_u32_e32 v3, vcc, 0, v5, vcc
	v_add_co_u32_e32 v4, vcc, v2, v4
	v_addc_co_u32_e32 v5, vcc, 0, v3, vcc
	v_mul_lo_u32 v9, s11, v4
	v_mul_lo_u32 v10, s10, v5
	v_mad_u64_u32 v[2:3], s[0:1], s10, v4, 0
	v_add3_u32 v3, v3, v10, v9
	v_sub_u32_e32 v9, v8, v3
	v_mov_b32_e32 v10, s11
	v_sub_co_u32_e32 v2, vcc, v7, v2
	v_subb_co_u32_e64 v7, s[0:1], v9, v10, vcc
	v_subrev_co_u32_e64 v9, s[0:1], s10, v2
	v_subbrev_co_u32_e64 v7, s[0:1], 0, v7, s[0:1]
	v_cmp_le_u32_e64 s[0:1], s11, v7
	v_cndmask_b32_e64 v10, 0, -1, s[0:1]
	v_cmp_le_u32_e64 s[0:1], s10, v9
	v_cndmask_b32_e64 v9, 0, -1, s[0:1]
	v_cmp_eq_u32_e64 s[0:1], s11, v7
	v_cndmask_b32_e64 v7, v10, v9, s[0:1]
	v_add_co_u32_e64 v9, s[0:1], 2, v4
	v_subb_co_u32_e32 v3, vcc, v8, v3, vcc
	v_addc_co_u32_e64 v10, s[0:1], 0, v5, s[0:1]
	v_cmp_le_u32_e32 vcc, s11, v3
	v_add_co_u32_e64 v11, s[0:1], 1, v4
	v_cndmask_b32_e64 v8, 0, -1, vcc
	v_cmp_le_u32_e32 vcc, s10, v2
	v_addc_co_u32_e64 v12, s[0:1], 0, v5, s[0:1]
	v_cndmask_b32_e64 v2, 0, -1, vcc
	v_cmp_eq_u32_e32 vcc, s11, v3
	v_cmp_ne_u32_e64 s[0:1], 0, v7
	v_cndmask_b32_e32 v2, v8, v2, vcc
	v_cndmask_b32_e64 v7, v12, v10, s[0:1]
	v_cmp_ne_u32_e32 vcc, 0, v2
	v_cndmask_b32_e64 v3, v11, v9, s[0:1]
	v_cndmask_b32_e32 v2, v5, v7, vcc
	v_cndmask_b32_e32 v3, v4, v3, vcc
	v_xor_b32_e32 v5, s8, v6
	v_xor_b32_e32 v3, v3, v5
	;; [unrolled: 1-line block ×3, first 2 shown]
	v_sub_co_u32_e32 v4, vcc, v3, v5
	v_subb_co_u32_e32 v5, vcc, v2, v5, vcc
                                        ; implicit-def: $vgpr2_vgpr3
.LBB80_21:
	s_andn2_saveexec_b64 s[0:1], s[2:3]
	s_cbranch_execz .LBB80_23
; %bb.22:
	v_cvt_f32_u32_e32 v3, s6
	s_sub_i32 s2, 0, s6
	v_rcp_iflag_f32_e32 v3, v3
	v_mul_f32_e32 v3, 0x4f7ffffe, v3
	v_cvt_u32_f32_e32 v3, v3
	v_mul_lo_u32 v4, s2, v3
	v_mul_hi_u32 v4, v3, v4
	v_add_u32_e32 v3, v3, v4
	v_mul_hi_u32 v3, v2, v3
	v_mul_lo_u32 v4, v3, s6
	v_add_u32_e32 v5, 1, v3
	v_sub_u32_e32 v2, v2, v4
	v_subrev_u32_e32 v4, s6, v2
	v_cmp_le_u32_e32 vcc, s6, v2
	v_cndmask_b32_e32 v2, v2, v4, vcc
	v_cndmask_b32_e32 v3, v3, v5, vcc
	v_add_u32_e32 v4, 1, v3
	v_cmp_le_u32_e32 vcc, s6, v2
	v_cndmask_b32_e32 v4, v3, v4, vcc
	v_mov_b32_e32 v5, 0
.LBB80_23:
	s_or_b64 exec, exec, s[0:1]
	s_waitcnt lgkmcnt(0)
	v_or_b32_e32 v3, s5, v5
	v_mov_b32_e32 v2, 0
	v_cmp_ne_u64_e32 vcc, 0, v[2:3]
                                        ; implicit-def: $vgpr2_vgpr3
	s_and_saveexec_b64 s[0:1], vcc
	s_xor_b64 s[6:7], exec, s[0:1]
	s_cbranch_execz .LBB80_25
; %bb.24:
	s_ashr_i32 s0, s5, 31
	s_add_u32 s2, s4, s0
	s_mov_b32 s1, s0
	s_addc_u32 s3, s5, s0
	s_xor_b64 s[8:9], s[2:3], s[0:1]
	v_cvt_f32_u32_e32 v2, s8
	v_cvt_f32_u32_e32 v3, s9
	s_sub_u32 s2, 0, s8
	s_subb_u32 s3, 0, s9
	v_ashrrev_i32_e32 v6, 31, v5
	v_madmk_f32 v2, v3, 0x4f800000, v2
	v_rcp_f32_e32 v2, v2
	v_mul_f32_e32 v2, 0x5f7ffffc, v2
	v_mul_f32_e32 v3, 0x2f800000, v2
	v_trunc_f32_e32 v3, v3
	v_madmk_f32 v2, v3, 0xcf800000, v2
	v_cvt_u32_f32_e32 v3, v3
	v_cvt_u32_f32_e32 v2, v2
	v_readfirstlane_b32 s5, v3
	v_readfirstlane_b32 s0, v2
	s_mul_i32 s1, s2, s5
	s_mul_hi_u32 s11, s2, s0
	s_mul_i32 s10, s3, s0
	s_add_i32 s1, s11, s1
	s_add_i32 s1, s1, s10
	s_mul_i32 s12, s2, s0
	s_mul_i32 s11, s0, s1
	s_mul_hi_u32 s13, s0, s12
	s_mul_hi_u32 s10, s0, s1
	s_add_u32 s11, s13, s11
	s_addc_u32 s10, 0, s10
	s_mul_hi_u32 s14, s5, s12
	s_mul_i32 s12, s5, s12
	s_add_u32 s11, s11, s12
	s_mul_hi_u32 s13, s5, s1
	s_addc_u32 s10, s10, s14
	s_addc_u32 s11, s13, 0
	s_mul_i32 s1, s5, s1
	s_add_u32 s1, s10, s1
	s_addc_u32 s10, 0, s11
	s_add_u32 s11, s0, s1
	s_cselect_b64 s[0:1], -1, 0
	s_cmp_lg_u64 s[0:1], 0
	s_addc_u32 s5, s5, s10
	s_mul_i32 s0, s2, s5
	s_mul_hi_u32 s1, s2, s11
	s_add_i32 s0, s1, s0
	s_mul_i32 s3, s3, s11
	s_add_i32 s0, s0, s3
	s_mul_i32 s2, s2, s11
	s_mul_hi_u32 s3, s5, s2
	s_mul_i32 s10, s5, s2
	s_mul_i32 s13, s11, s0
	s_mul_hi_u32 s2, s11, s2
	s_mul_hi_u32 s12, s11, s0
	s_add_u32 s2, s2, s13
	s_addc_u32 s12, 0, s12
	s_add_u32 s2, s2, s10
	s_mul_hi_u32 s1, s5, s0
	s_addc_u32 s2, s12, s3
	s_addc_u32 s1, s1, 0
	s_mul_i32 s0, s5, s0
	s_add_u32 s0, s2, s0
	s_addc_u32 s2, 0, s1
	s_add_u32 s3, s11, s0
	s_cselect_b64 s[0:1], -1, 0
	s_cmp_lg_u64 s[0:1], 0
	v_add_co_u32_e32 v2, vcc, v4, v6
	s_addc_u32 s2, s5, s2
	v_xor_b32_e32 v7, v2, v6
	v_addc_co_u32_e32 v4, vcc, v5, v6, vcc
	v_mad_u64_u32 v[2:3], s[0:1], v7, s2, 0
	v_mul_hi_u32 v5, v7, s3
	v_xor_b32_e32 v8, v4, v6
	v_add_co_u32_e32 v9, vcc, v5, v2
	v_addc_co_u32_e32 v10, vcc, 0, v3, vcc
	v_mad_u64_u32 v[2:3], s[0:1], v8, s3, 0
	v_mad_u64_u32 v[4:5], s[0:1], v8, s2, 0
	v_add_co_u32_e32 v2, vcc, v9, v2
	v_addc_co_u32_e32 v2, vcc, v10, v3, vcc
	v_addc_co_u32_e32 v3, vcc, 0, v5, vcc
	v_add_co_u32_e32 v2, vcc, v2, v4
	v_addc_co_u32_e32 v3, vcc, 0, v3, vcc
	v_mul_lo_u32 v4, s9, v2
	v_mul_lo_u32 v5, s8, v3
	v_mad_u64_u32 v[2:3], s[0:1], s8, v2, 0
	v_add3_u32 v3, v3, v5, v4
	v_sub_u32_e32 v4, v8, v3
	v_mov_b32_e32 v5, s9
	v_sub_co_u32_e32 v2, vcc, v7, v2
	v_subb_co_u32_e64 v4, s[0:1], v4, v5, vcc
	v_subrev_co_u32_e64 v7, s[0:1], s8, v2
	v_subbrev_co_u32_e64 v9, s[2:3], 0, v4, s[0:1]
	v_cmp_le_u32_e64 s[2:3], s9, v9
	v_cndmask_b32_e64 v10, 0, -1, s[2:3]
	v_cmp_le_u32_e64 s[2:3], s8, v7
	v_subb_co_u32_e64 v4, s[0:1], v4, v5, s[0:1]
	v_cndmask_b32_e64 v11, 0, -1, s[2:3]
	v_cmp_eq_u32_e64 s[2:3], s9, v9
	v_subrev_co_u32_e64 v5, s[0:1], s8, v7
	v_subb_co_u32_e32 v3, vcc, v8, v3, vcc
	v_cndmask_b32_e64 v10, v10, v11, s[2:3]
	v_subbrev_co_u32_e64 v4, s[0:1], 0, v4, s[0:1]
	v_cmp_le_u32_e32 vcc, s9, v3
	v_cmp_ne_u32_e64 s[0:1], 0, v10
	v_cndmask_b32_e64 v8, 0, -1, vcc
	v_cmp_le_u32_e32 vcc, s8, v2
	v_cndmask_b32_e64 v4, v9, v4, s[0:1]
	v_cndmask_b32_e64 v9, 0, -1, vcc
	v_cmp_eq_u32_e32 vcc, s9, v3
	v_cndmask_b32_e32 v8, v8, v9, vcc
	v_cmp_ne_u32_e32 vcc, 0, v8
	v_cndmask_b32_e32 v3, v3, v4, vcc
	v_cndmask_b32_e64 v4, v7, v5, s[0:1]
	v_cndmask_b32_e32 v2, v2, v4, vcc
	v_xor_b32_e32 v2, v2, v6
	v_xor_b32_e32 v3, v3, v6
	v_sub_co_u32_e32 v2, vcc, v2, v6
	v_subb_co_u32_e32 v3, vcc, v3, v6, vcc
                                        ; implicit-def: $vgpr4_vgpr5
.LBB80_25:
	s_andn2_saveexec_b64 s[0:1], s[6:7]
	s_cbranch_execz .LBB80_27
; %bb.26:
	v_cvt_f32_u32_e32 v2, s4
	s_sub_i32 s2, 0, s4
	v_rcp_iflag_f32_e32 v2, v2
	v_mul_f32_e32 v2, 0x4f7ffffe, v2
	v_cvt_u32_f32_e32 v2, v2
	v_mul_lo_u32 v3, s2, v2
	v_mul_hi_u32 v3, v2, v3
	v_add_u32_e32 v2, v2, v3
	v_mul_hi_u32 v2, v4, v2
	v_mul_lo_u32 v2, v2, s4
	v_sub_u32_e32 v2, v4, v2
	v_subrev_u32_e32 v3, s4, v2
	v_cmp_le_u32_e32 vcc, s4, v2
	v_cndmask_b32_e32 v2, v2, v3, vcc
	v_subrev_u32_e32 v3, s4, v2
	v_cmp_le_u32_e32 vcc, s4, v2
	v_cndmask_b32_e32 v2, v2, v3, vcc
	v_mov_b32_e32 v3, 0
.LBB80_27:
	s_or_b64 exec, exec, s[0:1]
	global_store_dwordx2 v[0:1], v[2:3], off
	s_endpgm
	.section	.rodata,"a",@progbits
	.p2align	6, 0x0
	.amdhsa_kernel _Z13write_indicesIlEvPl10TensorDimsIT_EiS2_
		.amdhsa_group_segment_fixed_size 0
		.amdhsa_private_segment_fixed_size 0
		.amdhsa_kernarg_size 296
		.amdhsa_user_sgpr_count 6
		.amdhsa_user_sgpr_private_segment_buffer 1
		.amdhsa_user_sgpr_dispatch_ptr 0
		.amdhsa_user_sgpr_queue_ptr 0
		.amdhsa_user_sgpr_kernarg_segment_ptr 1
		.amdhsa_user_sgpr_dispatch_id 0
		.amdhsa_user_sgpr_flat_scratch_init 0
		.amdhsa_user_sgpr_private_segment_size 0
		.amdhsa_uses_dynamic_stack 0
		.amdhsa_system_sgpr_private_segment_wavefront_offset 0
		.amdhsa_system_sgpr_workgroup_id_x 1
		.amdhsa_system_sgpr_workgroup_id_y 0
		.amdhsa_system_sgpr_workgroup_id_z 0
		.amdhsa_system_sgpr_workgroup_info 0
		.amdhsa_system_vgpr_workitem_id 0
		.amdhsa_next_free_vgpr 15
		.amdhsa_next_free_sgpr 24
		.amdhsa_reserve_vcc 1
		.amdhsa_reserve_flat_scratch 0
		.amdhsa_float_round_mode_32 0
		.amdhsa_float_round_mode_16_64 0
		.amdhsa_float_denorm_mode_32 3
		.amdhsa_float_denorm_mode_16_64 3
		.amdhsa_dx10_clamp 1
		.amdhsa_ieee_mode 1
		.amdhsa_fp16_overflow 0
		.amdhsa_exception_fp_ieee_invalid_op 0
		.amdhsa_exception_fp_denorm_src 0
		.amdhsa_exception_fp_ieee_div_zero 0
		.amdhsa_exception_fp_ieee_overflow 0
		.amdhsa_exception_fp_ieee_underflow 0
		.amdhsa_exception_fp_ieee_inexact 0
		.amdhsa_exception_int_div_zero 0
	.end_amdhsa_kernel
	.section	.text._Z13write_indicesIlEvPl10TensorDimsIT_EiS2_,"axG",@progbits,_Z13write_indicesIlEvPl10TensorDimsIT_EiS2_,comdat
.Lfunc_end80:
	.size	_Z13write_indicesIlEvPl10TensorDimsIT_EiS2_, .Lfunc_end80-_Z13write_indicesIlEvPl10TensorDimsIT_EiS2_
                                        ; -- End function
	.set _Z13write_indicesIlEvPl10TensorDimsIT_EiS2_.num_vgpr, 15
	.set _Z13write_indicesIlEvPl10TensorDimsIT_EiS2_.num_agpr, 0
	.set _Z13write_indicesIlEvPl10TensorDimsIT_EiS2_.numbered_sgpr, 24
	.set _Z13write_indicesIlEvPl10TensorDimsIT_EiS2_.num_named_barrier, 0
	.set _Z13write_indicesIlEvPl10TensorDimsIT_EiS2_.private_seg_size, 0
	.set _Z13write_indicesIlEvPl10TensorDimsIT_EiS2_.uses_vcc, 1
	.set _Z13write_indicesIlEvPl10TensorDimsIT_EiS2_.uses_flat_scratch, 0
	.set _Z13write_indicesIlEvPl10TensorDimsIT_EiS2_.has_dyn_sized_stack, 0
	.set _Z13write_indicesIlEvPl10TensorDimsIT_EiS2_.has_recursion, 0
	.set _Z13write_indicesIlEvPl10TensorDimsIT_EiS2_.has_indirect_call, 0
	.section	.AMDGPU.csdata,"",@progbits
; Kernel info:
; codeLenInByte = 3956
; TotalNumSgprs: 28
; NumVgprs: 15
; ScratchSize: 0
; MemoryBound: 0
; FloatMode: 240
; IeeeMode: 1
; LDSByteSize: 0 bytes/workgroup (compile time only)
; SGPRBlocks: 3
; VGPRBlocks: 3
; NumSGPRsForWavesPerEU: 28
; NumVGPRsForWavesPerEU: 15
; Occupancy: 10
; WaveLimiterHint : 0
; COMPUTE_PGM_RSRC2:SCRATCH_EN: 0
; COMPUTE_PGM_RSRC2:USER_SGPR: 6
; COMPUTE_PGM_RSRC2:TRAP_HANDLER: 0
; COMPUTE_PGM_RSRC2:TGID_X_EN: 1
; COMPUTE_PGM_RSRC2:TGID_Y_EN: 0
; COMPUTE_PGM_RSRC2:TGID_Z_EN: 0
; COMPUTE_PGM_RSRC2:TIDIG_COMP_CNT: 0
	.section	.text._ZN7rocprim17ROCPRIM_400000_NS6detail17trampoline_kernelINS0_14default_configENS1_22reduce_config_selectorIlEEZNS1_11reduce_implILb1ES3_PlS7_lN6hipcub16HIPCUB_304000_NS6detail34convert_binary_result_type_wrapperINS9_3SumENS9_22TransformInputIteratorIb7NonZeroIsEPslEElEEEE10hipError_tPvRmT1_T2_T3_mT4_P12ihipStream_tbEUlT_E0_NS1_11comp_targetILNS1_3genE0ELNS1_11target_archE4294967295ELNS1_3gpuE0ELNS1_3repE0EEENS1_30default_config_static_selectorELNS0_4arch9wavefront6targetE1EEEvSM_,"axG",@progbits,_ZN7rocprim17ROCPRIM_400000_NS6detail17trampoline_kernelINS0_14default_configENS1_22reduce_config_selectorIlEEZNS1_11reduce_implILb1ES3_PlS7_lN6hipcub16HIPCUB_304000_NS6detail34convert_binary_result_type_wrapperINS9_3SumENS9_22TransformInputIteratorIb7NonZeroIsEPslEElEEEE10hipError_tPvRmT1_T2_T3_mT4_P12ihipStream_tbEUlT_E0_NS1_11comp_targetILNS1_3genE0ELNS1_11target_archE4294967295ELNS1_3gpuE0ELNS1_3repE0EEENS1_30default_config_static_selectorELNS0_4arch9wavefront6targetE1EEEvSM_,comdat
	.protected	_ZN7rocprim17ROCPRIM_400000_NS6detail17trampoline_kernelINS0_14default_configENS1_22reduce_config_selectorIlEEZNS1_11reduce_implILb1ES3_PlS7_lN6hipcub16HIPCUB_304000_NS6detail34convert_binary_result_type_wrapperINS9_3SumENS9_22TransformInputIteratorIb7NonZeroIsEPslEElEEEE10hipError_tPvRmT1_T2_T3_mT4_P12ihipStream_tbEUlT_E0_NS1_11comp_targetILNS1_3genE0ELNS1_11target_archE4294967295ELNS1_3gpuE0ELNS1_3repE0EEENS1_30default_config_static_selectorELNS0_4arch9wavefront6targetE1EEEvSM_ ; -- Begin function _ZN7rocprim17ROCPRIM_400000_NS6detail17trampoline_kernelINS0_14default_configENS1_22reduce_config_selectorIlEEZNS1_11reduce_implILb1ES3_PlS7_lN6hipcub16HIPCUB_304000_NS6detail34convert_binary_result_type_wrapperINS9_3SumENS9_22TransformInputIteratorIb7NonZeroIsEPslEElEEEE10hipError_tPvRmT1_T2_T3_mT4_P12ihipStream_tbEUlT_E0_NS1_11comp_targetILNS1_3genE0ELNS1_11target_archE4294967295ELNS1_3gpuE0ELNS1_3repE0EEENS1_30default_config_static_selectorELNS0_4arch9wavefront6targetE1EEEvSM_
	.globl	_ZN7rocprim17ROCPRIM_400000_NS6detail17trampoline_kernelINS0_14default_configENS1_22reduce_config_selectorIlEEZNS1_11reduce_implILb1ES3_PlS7_lN6hipcub16HIPCUB_304000_NS6detail34convert_binary_result_type_wrapperINS9_3SumENS9_22TransformInputIteratorIb7NonZeroIsEPslEElEEEE10hipError_tPvRmT1_T2_T3_mT4_P12ihipStream_tbEUlT_E0_NS1_11comp_targetILNS1_3genE0ELNS1_11target_archE4294967295ELNS1_3gpuE0ELNS1_3repE0EEENS1_30default_config_static_selectorELNS0_4arch9wavefront6targetE1EEEvSM_
	.p2align	8
	.type	_ZN7rocprim17ROCPRIM_400000_NS6detail17trampoline_kernelINS0_14default_configENS1_22reduce_config_selectorIlEEZNS1_11reduce_implILb1ES3_PlS7_lN6hipcub16HIPCUB_304000_NS6detail34convert_binary_result_type_wrapperINS9_3SumENS9_22TransformInputIteratorIb7NonZeroIsEPslEElEEEE10hipError_tPvRmT1_T2_T3_mT4_P12ihipStream_tbEUlT_E0_NS1_11comp_targetILNS1_3genE0ELNS1_11target_archE4294967295ELNS1_3gpuE0ELNS1_3repE0EEENS1_30default_config_static_selectorELNS0_4arch9wavefront6targetE1EEEvSM_,@function
_ZN7rocprim17ROCPRIM_400000_NS6detail17trampoline_kernelINS0_14default_configENS1_22reduce_config_selectorIlEEZNS1_11reduce_implILb1ES3_PlS7_lN6hipcub16HIPCUB_304000_NS6detail34convert_binary_result_type_wrapperINS9_3SumENS9_22TransformInputIteratorIb7NonZeroIsEPslEElEEEE10hipError_tPvRmT1_T2_T3_mT4_P12ihipStream_tbEUlT_E0_NS1_11comp_targetILNS1_3genE0ELNS1_11target_archE4294967295ELNS1_3gpuE0ELNS1_3repE0EEENS1_30default_config_static_selectorELNS0_4arch9wavefront6targetE1EEEvSM_: ; @_ZN7rocprim17ROCPRIM_400000_NS6detail17trampoline_kernelINS0_14default_configENS1_22reduce_config_selectorIlEEZNS1_11reduce_implILb1ES3_PlS7_lN6hipcub16HIPCUB_304000_NS6detail34convert_binary_result_type_wrapperINS9_3SumENS9_22TransformInputIteratorIb7NonZeroIsEPslEElEEEE10hipError_tPvRmT1_T2_T3_mT4_P12ihipStream_tbEUlT_E0_NS1_11comp_targetILNS1_3genE0ELNS1_11target_archE4294967295ELNS1_3gpuE0ELNS1_3repE0EEENS1_30default_config_static_selectorELNS0_4arch9wavefront6targetE1EEEvSM_
; %bb.0:
	.section	.rodata,"a",@progbits
	.p2align	6, 0x0
	.amdhsa_kernel _ZN7rocprim17ROCPRIM_400000_NS6detail17trampoline_kernelINS0_14default_configENS1_22reduce_config_selectorIlEEZNS1_11reduce_implILb1ES3_PlS7_lN6hipcub16HIPCUB_304000_NS6detail34convert_binary_result_type_wrapperINS9_3SumENS9_22TransformInputIteratorIb7NonZeroIsEPslEElEEEE10hipError_tPvRmT1_T2_T3_mT4_P12ihipStream_tbEUlT_E0_NS1_11comp_targetILNS1_3genE0ELNS1_11target_archE4294967295ELNS1_3gpuE0ELNS1_3repE0EEENS1_30default_config_static_selectorELNS0_4arch9wavefront6targetE1EEEvSM_
		.amdhsa_group_segment_fixed_size 0
		.amdhsa_private_segment_fixed_size 0
		.amdhsa_kernarg_size 64
		.amdhsa_user_sgpr_count 6
		.amdhsa_user_sgpr_private_segment_buffer 1
		.amdhsa_user_sgpr_dispatch_ptr 0
		.amdhsa_user_sgpr_queue_ptr 0
		.amdhsa_user_sgpr_kernarg_segment_ptr 1
		.amdhsa_user_sgpr_dispatch_id 0
		.amdhsa_user_sgpr_flat_scratch_init 0
		.amdhsa_user_sgpr_private_segment_size 0
		.amdhsa_uses_dynamic_stack 0
		.amdhsa_system_sgpr_private_segment_wavefront_offset 0
		.amdhsa_system_sgpr_workgroup_id_x 1
		.amdhsa_system_sgpr_workgroup_id_y 0
		.amdhsa_system_sgpr_workgroup_id_z 0
		.amdhsa_system_sgpr_workgroup_info 0
		.amdhsa_system_vgpr_workitem_id 0
		.amdhsa_next_free_vgpr 1
		.amdhsa_next_free_sgpr 0
		.amdhsa_reserve_vcc 0
		.amdhsa_reserve_flat_scratch 0
		.amdhsa_float_round_mode_32 0
		.amdhsa_float_round_mode_16_64 0
		.amdhsa_float_denorm_mode_32 3
		.amdhsa_float_denorm_mode_16_64 3
		.amdhsa_dx10_clamp 1
		.amdhsa_ieee_mode 1
		.amdhsa_fp16_overflow 0
		.amdhsa_exception_fp_ieee_invalid_op 0
		.amdhsa_exception_fp_denorm_src 0
		.amdhsa_exception_fp_ieee_div_zero 0
		.amdhsa_exception_fp_ieee_overflow 0
		.amdhsa_exception_fp_ieee_underflow 0
		.amdhsa_exception_fp_ieee_inexact 0
		.amdhsa_exception_int_div_zero 0
	.end_amdhsa_kernel
	.section	.text._ZN7rocprim17ROCPRIM_400000_NS6detail17trampoline_kernelINS0_14default_configENS1_22reduce_config_selectorIlEEZNS1_11reduce_implILb1ES3_PlS7_lN6hipcub16HIPCUB_304000_NS6detail34convert_binary_result_type_wrapperINS9_3SumENS9_22TransformInputIteratorIb7NonZeroIsEPslEElEEEE10hipError_tPvRmT1_T2_T3_mT4_P12ihipStream_tbEUlT_E0_NS1_11comp_targetILNS1_3genE0ELNS1_11target_archE4294967295ELNS1_3gpuE0ELNS1_3repE0EEENS1_30default_config_static_selectorELNS0_4arch9wavefront6targetE1EEEvSM_,"axG",@progbits,_ZN7rocprim17ROCPRIM_400000_NS6detail17trampoline_kernelINS0_14default_configENS1_22reduce_config_selectorIlEEZNS1_11reduce_implILb1ES3_PlS7_lN6hipcub16HIPCUB_304000_NS6detail34convert_binary_result_type_wrapperINS9_3SumENS9_22TransformInputIteratorIb7NonZeroIsEPslEElEEEE10hipError_tPvRmT1_T2_T3_mT4_P12ihipStream_tbEUlT_E0_NS1_11comp_targetILNS1_3genE0ELNS1_11target_archE4294967295ELNS1_3gpuE0ELNS1_3repE0EEENS1_30default_config_static_selectorELNS0_4arch9wavefront6targetE1EEEvSM_,comdat
.Lfunc_end81:
	.size	_ZN7rocprim17ROCPRIM_400000_NS6detail17trampoline_kernelINS0_14default_configENS1_22reduce_config_selectorIlEEZNS1_11reduce_implILb1ES3_PlS7_lN6hipcub16HIPCUB_304000_NS6detail34convert_binary_result_type_wrapperINS9_3SumENS9_22TransformInputIteratorIb7NonZeroIsEPslEElEEEE10hipError_tPvRmT1_T2_T3_mT4_P12ihipStream_tbEUlT_E0_NS1_11comp_targetILNS1_3genE0ELNS1_11target_archE4294967295ELNS1_3gpuE0ELNS1_3repE0EEENS1_30default_config_static_selectorELNS0_4arch9wavefront6targetE1EEEvSM_, .Lfunc_end81-_ZN7rocprim17ROCPRIM_400000_NS6detail17trampoline_kernelINS0_14default_configENS1_22reduce_config_selectorIlEEZNS1_11reduce_implILb1ES3_PlS7_lN6hipcub16HIPCUB_304000_NS6detail34convert_binary_result_type_wrapperINS9_3SumENS9_22TransformInputIteratorIb7NonZeroIsEPslEElEEEE10hipError_tPvRmT1_T2_T3_mT4_P12ihipStream_tbEUlT_E0_NS1_11comp_targetILNS1_3genE0ELNS1_11target_archE4294967295ELNS1_3gpuE0ELNS1_3repE0EEENS1_30default_config_static_selectorELNS0_4arch9wavefront6targetE1EEEvSM_
                                        ; -- End function
	.set _ZN7rocprim17ROCPRIM_400000_NS6detail17trampoline_kernelINS0_14default_configENS1_22reduce_config_selectorIlEEZNS1_11reduce_implILb1ES3_PlS7_lN6hipcub16HIPCUB_304000_NS6detail34convert_binary_result_type_wrapperINS9_3SumENS9_22TransformInputIteratorIb7NonZeroIsEPslEElEEEE10hipError_tPvRmT1_T2_T3_mT4_P12ihipStream_tbEUlT_E0_NS1_11comp_targetILNS1_3genE0ELNS1_11target_archE4294967295ELNS1_3gpuE0ELNS1_3repE0EEENS1_30default_config_static_selectorELNS0_4arch9wavefront6targetE1EEEvSM_.num_vgpr, 0
	.set _ZN7rocprim17ROCPRIM_400000_NS6detail17trampoline_kernelINS0_14default_configENS1_22reduce_config_selectorIlEEZNS1_11reduce_implILb1ES3_PlS7_lN6hipcub16HIPCUB_304000_NS6detail34convert_binary_result_type_wrapperINS9_3SumENS9_22TransformInputIteratorIb7NonZeroIsEPslEElEEEE10hipError_tPvRmT1_T2_T3_mT4_P12ihipStream_tbEUlT_E0_NS1_11comp_targetILNS1_3genE0ELNS1_11target_archE4294967295ELNS1_3gpuE0ELNS1_3repE0EEENS1_30default_config_static_selectorELNS0_4arch9wavefront6targetE1EEEvSM_.num_agpr, 0
	.set _ZN7rocprim17ROCPRIM_400000_NS6detail17trampoline_kernelINS0_14default_configENS1_22reduce_config_selectorIlEEZNS1_11reduce_implILb1ES3_PlS7_lN6hipcub16HIPCUB_304000_NS6detail34convert_binary_result_type_wrapperINS9_3SumENS9_22TransformInputIteratorIb7NonZeroIsEPslEElEEEE10hipError_tPvRmT1_T2_T3_mT4_P12ihipStream_tbEUlT_E0_NS1_11comp_targetILNS1_3genE0ELNS1_11target_archE4294967295ELNS1_3gpuE0ELNS1_3repE0EEENS1_30default_config_static_selectorELNS0_4arch9wavefront6targetE1EEEvSM_.numbered_sgpr, 0
	.set _ZN7rocprim17ROCPRIM_400000_NS6detail17trampoline_kernelINS0_14default_configENS1_22reduce_config_selectorIlEEZNS1_11reduce_implILb1ES3_PlS7_lN6hipcub16HIPCUB_304000_NS6detail34convert_binary_result_type_wrapperINS9_3SumENS9_22TransformInputIteratorIb7NonZeroIsEPslEElEEEE10hipError_tPvRmT1_T2_T3_mT4_P12ihipStream_tbEUlT_E0_NS1_11comp_targetILNS1_3genE0ELNS1_11target_archE4294967295ELNS1_3gpuE0ELNS1_3repE0EEENS1_30default_config_static_selectorELNS0_4arch9wavefront6targetE1EEEvSM_.num_named_barrier, 0
	.set _ZN7rocprim17ROCPRIM_400000_NS6detail17trampoline_kernelINS0_14default_configENS1_22reduce_config_selectorIlEEZNS1_11reduce_implILb1ES3_PlS7_lN6hipcub16HIPCUB_304000_NS6detail34convert_binary_result_type_wrapperINS9_3SumENS9_22TransformInputIteratorIb7NonZeroIsEPslEElEEEE10hipError_tPvRmT1_T2_T3_mT4_P12ihipStream_tbEUlT_E0_NS1_11comp_targetILNS1_3genE0ELNS1_11target_archE4294967295ELNS1_3gpuE0ELNS1_3repE0EEENS1_30default_config_static_selectorELNS0_4arch9wavefront6targetE1EEEvSM_.private_seg_size, 0
	.set _ZN7rocprim17ROCPRIM_400000_NS6detail17trampoline_kernelINS0_14default_configENS1_22reduce_config_selectorIlEEZNS1_11reduce_implILb1ES3_PlS7_lN6hipcub16HIPCUB_304000_NS6detail34convert_binary_result_type_wrapperINS9_3SumENS9_22TransformInputIteratorIb7NonZeroIsEPslEElEEEE10hipError_tPvRmT1_T2_T3_mT4_P12ihipStream_tbEUlT_E0_NS1_11comp_targetILNS1_3genE0ELNS1_11target_archE4294967295ELNS1_3gpuE0ELNS1_3repE0EEENS1_30default_config_static_selectorELNS0_4arch9wavefront6targetE1EEEvSM_.uses_vcc, 0
	.set _ZN7rocprim17ROCPRIM_400000_NS6detail17trampoline_kernelINS0_14default_configENS1_22reduce_config_selectorIlEEZNS1_11reduce_implILb1ES3_PlS7_lN6hipcub16HIPCUB_304000_NS6detail34convert_binary_result_type_wrapperINS9_3SumENS9_22TransformInputIteratorIb7NonZeroIsEPslEElEEEE10hipError_tPvRmT1_T2_T3_mT4_P12ihipStream_tbEUlT_E0_NS1_11comp_targetILNS1_3genE0ELNS1_11target_archE4294967295ELNS1_3gpuE0ELNS1_3repE0EEENS1_30default_config_static_selectorELNS0_4arch9wavefront6targetE1EEEvSM_.uses_flat_scratch, 0
	.set _ZN7rocprim17ROCPRIM_400000_NS6detail17trampoline_kernelINS0_14default_configENS1_22reduce_config_selectorIlEEZNS1_11reduce_implILb1ES3_PlS7_lN6hipcub16HIPCUB_304000_NS6detail34convert_binary_result_type_wrapperINS9_3SumENS9_22TransformInputIteratorIb7NonZeroIsEPslEElEEEE10hipError_tPvRmT1_T2_T3_mT4_P12ihipStream_tbEUlT_E0_NS1_11comp_targetILNS1_3genE0ELNS1_11target_archE4294967295ELNS1_3gpuE0ELNS1_3repE0EEENS1_30default_config_static_selectorELNS0_4arch9wavefront6targetE1EEEvSM_.has_dyn_sized_stack, 0
	.set _ZN7rocprim17ROCPRIM_400000_NS6detail17trampoline_kernelINS0_14default_configENS1_22reduce_config_selectorIlEEZNS1_11reduce_implILb1ES3_PlS7_lN6hipcub16HIPCUB_304000_NS6detail34convert_binary_result_type_wrapperINS9_3SumENS9_22TransformInputIteratorIb7NonZeroIsEPslEElEEEE10hipError_tPvRmT1_T2_T3_mT4_P12ihipStream_tbEUlT_E0_NS1_11comp_targetILNS1_3genE0ELNS1_11target_archE4294967295ELNS1_3gpuE0ELNS1_3repE0EEENS1_30default_config_static_selectorELNS0_4arch9wavefront6targetE1EEEvSM_.has_recursion, 0
	.set _ZN7rocprim17ROCPRIM_400000_NS6detail17trampoline_kernelINS0_14default_configENS1_22reduce_config_selectorIlEEZNS1_11reduce_implILb1ES3_PlS7_lN6hipcub16HIPCUB_304000_NS6detail34convert_binary_result_type_wrapperINS9_3SumENS9_22TransformInputIteratorIb7NonZeroIsEPslEElEEEE10hipError_tPvRmT1_T2_T3_mT4_P12ihipStream_tbEUlT_E0_NS1_11comp_targetILNS1_3genE0ELNS1_11target_archE4294967295ELNS1_3gpuE0ELNS1_3repE0EEENS1_30default_config_static_selectorELNS0_4arch9wavefront6targetE1EEEvSM_.has_indirect_call, 0
	.section	.AMDGPU.csdata,"",@progbits
; Kernel info:
; codeLenInByte = 0
; TotalNumSgprs: 4
; NumVgprs: 0
; ScratchSize: 0
; MemoryBound: 0
; FloatMode: 240
; IeeeMode: 1
; LDSByteSize: 0 bytes/workgroup (compile time only)
; SGPRBlocks: 0
; VGPRBlocks: 0
; NumSGPRsForWavesPerEU: 4
; NumVGPRsForWavesPerEU: 1
; Occupancy: 10
; WaveLimiterHint : 0
; COMPUTE_PGM_RSRC2:SCRATCH_EN: 0
; COMPUTE_PGM_RSRC2:USER_SGPR: 6
; COMPUTE_PGM_RSRC2:TRAP_HANDLER: 0
; COMPUTE_PGM_RSRC2:TGID_X_EN: 1
; COMPUTE_PGM_RSRC2:TGID_Y_EN: 0
; COMPUTE_PGM_RSRC2:TGID_Z_EN: 0
; COMPUTE_PGM_RSRC2:TIDIG_COMP_CNT: 0
	.section	.text._ZN7rocprim17ROCPRIM_400000_NS6detail17trampoline_kernelINS0_14default_configENS1_22reduce_config_selectorIlEEZNS1_11reduce_implILb1ES3_PlS7_lN6hipcub16HIPCUB_304000_NS6detail34convert_binary_result_type_wrapperINS9_3SumENS9_22TransformInputIteratorIb7NonZeroIsEPslEElEEEE10hipError_tPvRmT1_T2_T3_mT4_P12ihipStream_tbEUlT_E0_NS1_11comp_targetILNS1_3genE5ELNS1_11target_archE942ELNS1_3gpuE9ELNS1_3repE0EEENS1_30default_config_static_selectorELNS0_4arch9wavefront6targetE1EEEvSM_,"axG",@progbits,_ZN7rocprim17ROCPRIM_400000_NS6detail17trampoline_kernelINS0_14default_configENS1_22reduce_config_selectorIlEEZNS1_11reduce_implILb1ES3_PlS7_lN6hipcub16HIPCUB_304000_NS6detail34convert_binary_result_type_wrapperINS9_3SumENS9_22TransformInputIteratorIb7NonZeroIsEPslEElEEEE10hipError_tPvRmT1_T2_T3_mT4_P12ihipStream_tbEUlT_E0_NS1_11comp_targetILNS1_3genE5ELNS1_11target_archE942ELNS1_3gpuE9ELNS1_3repE0EEENS1_30default_config_static_selectorELNS0_4arch9wavefront6targetE1EEEvSM_,comdat
	.protected	_ZN7rocprim17ROCPRIM_400000_NS6detail17trampoline_kernelINS0_14default_configENS1_22reduce_config_selectorIlEEZNS1_11reduce_implILb1ES3_PlS7_lN6hipcub16HIPCUB_304000_NS6detail34convert_binary_result_type_wrapperINS9_3SumENS9_22TransformInputIteratorIb7NonZeroIsEPslEElEEEE10hipError_tPvRmT1_T2_T3_mT4_P12ihipStream_tbEUlT_E0_NS1_11comp_targetILNS1_3genE5ELNS1_11target_archE942ELNS1_3gpuE9ELNS1_3repE0EEENS1_30default_config_static_selectorELNS0_4arch9wavefront6targetE1EEEvSM_ ; -- Begin function _ZN7rocprim17ROCPRIM_400000_NS6detail17trampoline_kernelINS0_14default_configENS1_22reduce_config_selectorIlEEZNS1_11reduce_implILb1ES3_PlS7_lN6hipcub16HIPCUB_304000_NS6detail34convert_binary_result_type_wrapperINS9_3SumENS9_22TransformInputIteratorIb7NonZeroIsEPslEElEEEE10hipError_tPvRmT1_T2_T3_mT4_P12ihipStream_tbEUlT_E0_NS1_11comp_targetILNS1_3genE5ELNS1_11target_archE942ELNS1_3gpuE9ELNS1_3repE0EEENS1_30default_config_static_selectorELNS0_4arch9wavefront6targetE1EEEvSM_
	.globl	_ZN7rocprim17ROCPRIM_400000_NS6detail17trampoline_kernelINS0_14default_configENS1_22reduce_config_selectorIlEEZNS1_11reduce_implILb1ES3_PlS7_lN6hipcub16HIPCUB_304000_NS6detail34convert_binary_result_type_wrapperINS9_3SumENS9_22TransformInputIteratorIb7NonZeroIsEPslEElEEEE10hipError_tPvRmT1_T2_T3_mT4_P12ihipStream_tbEUlT_E0_NS1_11comp_targetILNS1_3genE5ELNS1_11target_archE942ELNS1_3gpuE9ELNS1_3repE0EEENS1_30default_config_static_selectorELNS0_4arch9wavefront6targetE1EEEvSM_
	.p2align	8
	.type	_ZN7rocprim17ROCPRIM_400000_NS6detail17trampoline_kernelINS0_14default_configENS1_22reduce_config_selectorIlEEZNS1_11reduce_implILb1ES3_PlS7_lN6hipcub16HIPCUB_304000_NS6detail34convert_binary_result_type_wrapperINS9_3SumENS9_22TransformInputIteratorIb7NonZeroIsEPslEElEEEE10hipError_tPvRmT1_T2_T3_mT4_P12ihipStream_tbEUlT_E0_NS1_11comp_targetILNS1_3genE5ELNS1_11target_archE942ELNS1_3gpuE9ELNS1_3repE0EEENS1_30default_config_static_selectorELNS0_4arch9wavefront6targetE1EEEvSM_,@function
_ZN7rocprim17ROCPRIM_400000_NS6detail17trampoline_kernelINS0_14default_configENS1_22reduce_config_selectorIlEEZNS1_11reduce_implILb1ES3_PlS7_lN6hipcub16HIPCUB_304000_NS6detail34convert_binary_result_type_wrapperINS9_3SumENS9_22TransformInputIteratorIb7NonZeroIsEPslEElEEEE10hipError_tPvRmT1_T2_T3_mT4_P12ihipStream_tbEUlT_E0_NS1_11comp_targetILNS1_3genE5ELNS1_11target_archE942ELNS1_3gpuE9ELNS1_3repE0EEENS1_30default_config_static_selectorELNS0_4arch9wavefront6targetE1EEEvSM_: ; @_ZN7rocprim17ROCPRIM_400000_NS6detail17trampoline_kernelINS0_14default_configENS1_22reduce_config_selectorIlEEZNS1_11reduce_implILb1ES3_PlS7_lN6hipcub16HIPCUB_304000_NS6detail34convert_binary_result_type_wrapperINS9_3SumENS9_22TransformInputIteratorIb7NonZeroIsEPslEElEEEE10hipError_tPvRmT1_T2_T3_mT4_P12ihipStream_tbEUlT_E0_NS1_11comp_targetILNS1_3genE5ELNS1_11target_archE942ELNS1_3gpuE9ELNS1_3repE0EEENS1_30default_config_static_selectorELNS0_4arch9wavefront6targetE1EEEvSM_
; %bb.0:
	.section	.rodata,"a",@progbits
	.p2align	6, 0x0
	.amdhsa_kernel _ZN7rocprim17ROCPRIM_400000_NS6detail17trampoline_kernelINS0_14default_configENS1_22reduce_config_selectorIlEEZNS1_11reduce_implILb1ES3_PlS7_lN6hipcub16HIPCUB_304000_NS6detail34convert_binary_result_type_wrapperINS9_3SumENS9_22TransformInputIteratorIb7NonZeroIsEPslEElEEEE10hipError_tPvRmT1_T2_T3_mT4_P12ihipStream_tbEUlT_E0_NS1_11comp_targetILNS1_3genE5ELNS1_11target_archE942ELNS1_3gpuE9ELNS1_3repE0EEENS1_30default_config_static_selectorELNS0_4arch9wavefront6targetE1EEEvSM_
		.amdhsa_group_segment_fixed_size 0
		.amdhsa_private_segment_fixed_size 0
		.amdhsa_kernarg_size 64
		.amdhsa_user_sgpr_count 6
		.amdhsa_user_sgpr_private_segment_buffer 1
		.amdhsa_user_sgpr_dispatch_ptr 0
		.amdhsa_user_sgpr_queue_ptr 0
		.amdhsa_user_sgpr_kernarg_segment_ptr 1
		.amdhsa_user_sgpr_dispatch_id 0
		.amdhsa_user_sgpr_flat_scratch_init 0
		.amdhsa_user_sgpr_private_segment_size 0
		.amdhsa_uses_dynamic_stack 0
		.amdhsa_system_sgpr_private_segment_wavefront_offset 0
		.amdhsa_system_sgpr_workgroup_id_x 1
		.amdhsa_system_sgpr_workgroup_id_y 0
		.amdhsa_system_sgpr_workgroup_id_z 0
		.amdhsa_system_sgpr_workgroup_info 0
		.amdhsa_system_vgpr_workitem_id 0
		.amdhsa_next_free_vgpr 1
		.amdhsa_next_free_sgpr 0
		.amdhsa_reserve_vcc 0
		.amdhsa_reserve_flat_scratch 0
		.amdhsa_float_round_mode_32 0
		.amdhsa_float_round_mode_16_64 0
		.amdhsa_float_denorm_mode_32 3
		.amdhsa_float_denorm_mode_16_64 3
		.amdhsa_dx10_clamp 1
		.amdhsa_ieee_mode 1
		.amdhsa_fp16_overflow 0
		.amdhsa_exception_fp_ieee_invalid_op 0
		.amdhsa_exception_fp_denorm_src 0
		.amdhsa_exception_fp_ieee_div_zero 0
		.amdhsa_exception_fp_ieee_overflow 0
		.amdhsa_exception_fp_ieee_underflow 0
		.amdhsa_exception_fp_ieee_inexact 0
		.amdhsa_exception_int_div_zero 0
	.end_amdhsa_kernel
	.section	.text._ZN7rocprim17ROCPRIM_400000_NS6detail17trampoline_kernelINS0_14default_configENS1_22reduce_config_selectorIlEEZNS1_11reduce_implILb1ES3_PlS7_lN6hipcub16HIPCUB_304000_NS6detail34convert_binary_result_type_wrapperINS9_3SumENS9_22TransformInputIteratorIb7NonZeroIsEPslEElEEEE10hipError_tPvRmT1_T2_T3_mT4_P12ihipStream_tbEUlT_E0_NS1_11comp_targetILNS1_3genE5ELNS1_11target_archE942ELNS1_3gpuE9ELNS1_3repE0EEENS1_30default_config_static_selectorELNS0_4arch9wavefront6targetE1EEEvSM_,"axG",@progbits,_ZN7rocprim17ROCPRIM_400000_NS6detail17trampoline_kernelINS0_14default_configENS1_22reduce_config_selectorIlEEZNS1_11reduce_implILb1ES3_PlS7_lN6hipcub16HIPCUB_304000_NS6detail34convert_binary_result_type_wrapperINS9_3SumENS9_22TransformInputIteratorIb7NonZeroIsEPslEElEEEE10hipError_tPvRmT1_T2_T3_mT4_P12ihipStream_tbEUlT_E0_NS1_11comp_targetILNS1_3genE5ELNS1_11target_archE942ELNS1_3gpuE9ELNS1_3repE0EEENS1_30default_config_static_selectorELNS0_4arch9wavefront6targetE1EEEvSM_,comdat
.Lfunc_end82:
	.size	_ZN7rocprim17ROCPRIM_400000_NS6detail17trampoline_kernelINS0_14default_configENS1_22reduce_config_selectorIlEEZNS1_11reduce_implILb1ES3_PlS7_lN6hipcub16HIPCUB_304000_NS6detail34convert_binary_result_type_wrapperINS9_3SumENS9_22TransformInputIteratorIb7NonZeroIsEPslEElEEEE10hipError_tPvRmT1_T2_T3_mT4_P12ihipStream_tbEUlT_E0_NS1_11comp_targetILNS1_3genE5ELNS1_11target_archE942ELNS1_3gpuE9ELNS1_3repE0EEENS1_30default_config_static_selectorELNS0_4arch9wavefront6targetE1EEEvSM_, .Lfunc_end82-_ZN7rocprim17ROCPRIM_400000_NS6detail17trampoline_kernelINS0_14default_configENS1_22reduce_config_selectorIlEEZNS1_11reduce_implILb1ES3_PlS7_lN6hipcub16HIPCUB_304000_NS6detail34convert_binary_result_type_wrapperINS9_3SumENS9_22TransformInputIteratorIb7NonZeroIsEPslEElEEEE10hipError_tPvRmT1_T2_T3_mT4_P12ihipStream_tbEUlT_E0_NS1_11comp_targetILNS1_3genE5ELNS1_11target_archE942ELNS1_3gpuE9ELNS1_3repE0EEENS1_30default_config_static_selectorELNS0_4arch9wavefront6targetE1EEEvSM_
                                        ; -- End function
	.set _ZN7rocprim17ROCPRIM_400000_NS6detail17trampoline_kernelINS0_14default_configENS1_22reduce_config_selectorIlEEZNS1_11reduce_implILb1ES3_PlS7_lN6hipcub16HIPCUB_304000_NS6detail34convert_binary_result_type_wrapperINS9_3SumENS9_22TransformInputIteratorIb7NonZeroIsEPslEElEEEE10hipError_tPvRmT1_T2_T3_mT4_P12ihipStream_tbEUlT_E0_NS1_11comp_targetILNS1_3genE5ELNS1_11target_archE942ELNS1_3gpuE9ELNS1_3repE0EEENS1_30default_config_static_selectorELNS0_4arch9wavefront6targetE1EEEvSM_.num_vgpr, 0
	.set _ZN7rocprim17ROCPRIM_400000_NS6detail17trampoline_kernelINS0_14default_configENS1_22reduce_config_selectorIlEEZNS1_11reduce_implILb1ES3_PlS7_lN6hipcub16HIPCUB_304000_NS6detail34convert_binary_result_type_wrapperINS9_3SumENS9_22TransformInputIteratorIb7NonZeroIsEPslEElEEEE10hipError_tPvRmT1_T2_T3_mT4_P12ihipStream_tbEUlT_E0_NS1_11comp_targetILNS1_3genE5ELNS1_11target_archE942ELNS1_3gpuE9ELNS1_3repE0EEENS1_30default_config_static_selectorELNS0_4arch9wavefront6targetE1EEEvSM_.num_agpr, 0
	.set _ZN7rocprim17ROCPRIM_400000_NS6detail17trampoline_kernelINS0_14default_configENS1_22reduce_config_selectorIlEEZNS1_11reduce_implILb1ES3_PlS7_lN6hipcub16HIPCUB_304000_NS6detail34convert_binary_result_type_wrapperINS9_3SumENS9_22TransformInputIteratorIb7NonZeroIsEPslEElEEEE10hipError_tPvRmT1_T2_T3_mT4_P12ihipStream_tbEUlT_E0_NS1_11comp_targetILNS1_3genE5ELNS1_11target_archE942ELNS1_3gpuE9ELNS1_3repE0EEENS1_30default_config_static_selectorELNS0_4arch9wavefront6targetE1EEEvSM_.numbered_sgpr, 0
	.set _ZN7rocprim17ROCPRIM_400000_NS6detail17trampoline_kernelINS0_14default_configENS1_22reduce_config_selectorIlEEZNS1_11reduce_implILb1ES3_PlS7_lN6hipcub16HIPCUB_304000_NS6detail34convert_binary_result_type_wrapperINS9_3SumENS9_22TransformInputIteratorIb7NonZeroIsEPslEElEEEE10hipError_tPvRmT1_T2_T3_mT4_P12ihipStream_tbEUlT_E0_NS1_11comp_targetILNS1_3genE5ELNS1_11target_archE942ELNS1_3gpuE9ELNS1_3repE0EEENS1_30default_config_static_selectorELNS0_4arch9wavefront6targetE1EEEvSM_.num_named_barrier, 0
	.set _ZN7rocprim17ROCPRIM_400000_NS6detail17trampoline_kernelINS0_14default_configENS1_22reduce_config_selectorIlEEZNS1_11reduce_implILb1ES3_PlS7_lN6hipcub16HIPCUB_304000_NS6detail34convert_binary_result_type_wrapperINS9_3SumENS9_22TransformInputIteratorIb7NonZeroIsEPslEElEEEE10hipError_tPvRmT1_T2_T3_mT4_P12ihipStream_tbEUlT_E0_NS1_11comp_targetILNS1_3genE5ELNS1_11target_archE942ELNS1_3gpuE9ELNS1_3repE0EEENS1_30default_config_static_selectorELNS0_4arch9wavefront6targetE1EEEvSM_.private_seg_size, 0
	.set _ZN7rocprim17ROCPRIM_400000_NS6detail17trampoline_kernelINS0_14default_configENS1_22reduce_config_selectorIlEEZNS1_11reduce_implILb1ES3_PlS7_lN6hipcub16HIPCUB_304000_NS6detail34convert_binary_result_type_wrapperINS9_3SumENS9_22TransformInputIteratorIb7NonZeroIsEPslEElEEEE10hipError_tPvRmT1_T2_T3_mT4_P12ihipStream_tbEUlT_E0_NS1_11comp_targetILNS1_3genE5ELNS1_11target_archE942ELNS1_3gpuE9ELNS1_3repE0EEENS1_30default_config_static_selectorELNS0_4arch9wavefront6targetE1EEEvSM_.uses_vcc, 0
	.set _ZN7rocprim17ROCPRIM_400000_NS6detail17trampoline_kernelINS0_14default_configENS1_22reduce_config_selectorIlEEZNS1_11reduce_implILb1ES3_PlS7_lN6hipcub16HIPCUB_304000_NS6detail34convert_binary_result_type_wrapperINS9_3SumENS9_22TransformInputIteratorIb7NonZeroIsEPslEElEEEE10hipError_tPvRmT1_T2_T3_mT4_P12ihipStream_tbEUlT_E0_NS1_11comp_targetILNS1_3genE5ELNS1_11target_archE942ELNS1_3gpuE9ELNS1_3repE0EEENS1_30default_config_static_selectorELNS0_4arch9wavefront6targetE1EEEvSM_.uses_flat_scratch, 0
	.set _ZN7rocprim17ROCPRIM_400000_NS6detail17trampoline_kernelINS0_14default_configENS1_22reduce_config_selectorIlEEZNS1_11reduce_implILb1ES3_PlS7_lN6hipcub16HIPCUB_304000_NS6detail34convert_binary_result_type_wrapperINS9_3SumENS9_22TransformInputIteratorIb7NonZeroIsEPslEElEEEE10hipError_tPvRmT1_T2_T3_mT4_P12ihipStream_tbEUlT_E0_NS1_11comp_targetILNS1_3genE5ELNS1_11target_archE942ELNS1_3gpuE9ELNS1_3repE0EEENS1_30default_config_static_selectorELNS0_4arch9wavefront6targetE1EEEvSM_.has_dyn_sized_stack, 0
	.set _ZN7rocprim17ROCPRIM_400000_NS6detail17trampoline_kernelINS0_14default_configENS1_22reduce_config_selectorIlEEZNS1_11reduce_implILb1ES3_PlS7_lN6hipcub16HIPCUB_304000_NS6detail34convert_binary_result_type_wrapperINS9_3SumENS9_22TransformInputIteratorIb7NonZeroIsEPslEElEEEE10hipError_tPvRmT1_T2_T3_mT4_P12ihipStream_tbEUlT_E0_NS1_11comp_targetILNS1_3genE5ELNS1_11target_archE942ELNS1_3gpuE9ELNS1_3repE0EEENS1_30default_config_static_selectorELNS0_4arch9wavefront6targetE1EEEvSM_.has_recursion, 0
	.set _ZN7rocprim17ROCPRIM_400000_NS6detail17trampoline_kernelINS0_14default_configENS1_22reduce_config_selectorIlEEZNS1_11reduce_implILb1ES3_PlS7_lN6hipcub16HIPCUB_304000_NS6detail34convert_binary_result_type_wrapperINS9_3SumENS9_22TransformInputIteratorIb7NonZeroIsEPslEElEEEE10hipError_tPvRmT1_T2_T3_mT4_P12ihipStream_tbEUlT_E0_NS1_11comp_targetILNS1_3genE5ELNS1_11target_archE942ELNS1_3gpuE9ELNS1_3repE0EEENS1_30default_config_static_selectorELNS0_4arch9wavefront6targetE1EEEvSM_.has_indirect_call, 0
	.section	.AMDGPU.csdata,"",@progbits
; Kernel info:
; codeLenInByte = 0
; TotalNumSgprs: 4
; NumVgprs: 0
; ScratchSize: 0
; MemoryBound: 0
; FloatMode: 240
; IeeeMode: 1
; LDSByteSize: 0 bytes/workgroup (compile time only)
; SGPRBlocks: 0
; VGPRBlocks: 0
; NumSGPRsForWavesPerEU: 4
; NumVGPRsForWavesPerEU: 1
; Occupancy: 10
; WaveLimiterHint : 0
; COMPUTE_PGM_RSRC2:SCRATCH_EN: 0
; COMPUTE_PGM_RSRC2:USER_SGPR: 6
; COMPUTE_PGM_RSRC2:TRAP_HANDLER: 0
; COMPUTE_PGM_RSRC2:TGID_X_EN: 1
; COMPUTE_PGM_RSRC2:TGID_Y_EN: 0
; COMPUTE_PGM_RSRC2:TGID_Z_EN: 0
; COMPUTE_PGM_RSRC2:TIDIG_COMP_CNT: 0
	.section	.text._ZN7rocprim17ROCPRIM_400000_NS6detail17trampoline_kernelINS0_14default_configENS1_22reduce_config_selectorIlEEZNS1_11reduce_implILb1ES3_PlS7_lN6hipcub16HIPCUB_304000_NS6detail34convert_binary_result_type_wrapperINS9_3SumENS9_22TransformInputIteratorIb7NonZeroIsEPslEElEEEE10hipError_tPvRmT1_T2_T3_mT4_P12ihipStream_tbEUlT_E0_NS1_11comp_targetILNS1_3genE4ELNS1_11target_archE910ELNS1_3gpuE8ELNS1_3repE0EEENS1_30default_config_static_selectorELNS0_4arch9wavefront6targetE1EEEvSM_,"axG",@progbits,_ZN7rocprim17ROCPRIM_400000_NS6detail17trampoline_kernelINS0_14default_configENS1_22reduce_config_selectorIlEEZNS1_11reduce_implILb1ES3_PlS7_lN6hipcub16HIPCUB_304000_NS6detail34convert_binary_result_type_wrapperINS9_3SumENS9_22TransformInputIteratorIb7NonZeroIsEPslEElEEEE10hipError_tPvRmT1_T2_T3_mT4_P12ihipStream_tbEUlT_E0_NS1_11comp_targetILNS1_3genE4ELNS1_11target_archE910ELNS1_3gpuE8ELNS1_3repE0EEENS1_30default_config_static_selectorELNS0_4arch9wavefront6targetE1EEEvSM_,comdat
	.protected	_ZN7rocprim17ROCPRIM_400000_NS6detail17trampoline_kernelINS0_14default_configENS1_22reduce_config_selectorIlEEZNS1_11reduce_implILb1ES3_PlS7_lN6hipcub16HIPCUB_304000_NS6detail34convert_binary_result_type_wrapperINS9_3SumENS9_22TransformInputIteratorIb7NonZeroIsEPslEElEEEE10hipError_tPvRmT1_T2_T3_mT4_P12ihipStream_tbEUlT_E0_NS1_11comp_targetILNS1_3genE4ELNS1_11target_archE910ELNS1_3gpuE8ELNS1_3repE0EEENS1_30default_config_static_selectorELNS0_4arch9wavefront6targetE1EEEvSM_ ; -- Begin function _ZN7rocprim17ROCPRIM_400000_NS6detail17trampoline_kernelINS0_14default_configENS1_22reduce_config_selectorIlEEZNS1_11reduce_implILb1ES3_PlS7_lN6hipcub16HIPCUB_304000_NS6detail34convert_binary_result_type_wrapperINS9_3SumENS9_22TransformInputIteratorIb7NonZeroIsEPslEElEEEE10hipError_tPvRmT1_T2_T3_mT4_P12ihipStream_tbEUlT_E0_NS1_11comp_targetILNS1_3genE4ELNS1_11target_archE910ELNS1_3gpuE8ELNS1_3repE0EEENS1_30default_config_static_selectorELNS0_4arch9wavefront6targetE1EEEvSM_
	.globl	_ZN7rocprim17ROCPRIM_400000_NS6detail17trampoline_kernelINS0_14default_configENS1_22reduce_config_selectorIlEEZNS1_11reduce_implILb1ES3_PlS7_lN6hipcub16HIPCUB_304000_NS6detail34convert_binary_result_type_wrapperINS9_3SumENS9_22TransformInputIteratorIb7NonZeroIsEPslEElEEEE10hipError_tPvRmT1_T2_T3_mT4_P12ihipStream_tbEUlT_E0_NS1_11comp_targetILNS1_3genE4ELNS1_11target_archE910ELNS1_3gpuE8ELNS1_3repE0EEENS1_30default_config_static_selectorELNS0_4arch9wavefront6targetE1EEEvSM_
	.p2align	8
	.type	_ZN7rocprim17ROCPRIM_400000_NS6detail17trampoline_kernelINS0_14default_configENS1_22reduce_config_selectorIlEEZNS1_11reduce_implILb1ES3_PlS7_lN6hipcub16HIPCUB_304000_NS6detail34convert_binary_result_type_wrapperINS9_3SumENS9_22TransformInputIteratorIb7NonZeroIsEPslEElEEEE10hipError_tPvRmT1_T2_T3_mT4_P12ihipStream_tbEUlT_E0_NS1_11comp_targetILNS1_3genE4ELNS1_11target_archE910ELNS1_3gpuE8ELNS1_3repE0EEENS1_30default_config_static_selectorELNS0_4arch9wavefront6targetE1EEEvSM_,@function
_ZN7rocprim17ROCPRIM_400000_NS6detail17trampoline_kernelINS0_14default_configENS1_22reduce_config_selectorIlEEZNS1_11reduce_implILb1ES3_PlS7_lN6hipcub16HIPCUB_304000_NS6detail34convert_binary_result_type_wrapperINS9_3SumENS9_22TransformInputIteratorIb7NonZeroIsEPslEElEEEE10hipError_tPvRmT1_T2_T3_mT4_P12ihipStream_tbEUlT_E0_NS1_11comp_targetILNS1_3genE4ELNS1_11target_archE910ELNS1_3gpuE8ELNS1_3repE0EEENS1_30default_config_static_selectorELNS0_4arch9wavefront6targetE1EEEvSM_: ; @_ZN7rocprim17ROCPRIM_400000_NS6detail17trampoline_kernelINS0_14default_configENS1_22reduce_config_selectorIlEEZNS1_11reduce_implILb1ES3_PlS7_lN6hipcub16HIPCUB_304000_NS6detail34convert_binary_result_type_wrapperINS9_3SumENS9_22TransformInputIteratorIb7NonZeroIsEPslEElEEEE10hipError_tPvRmT1_T2_T3_mT4_P12ihipStream_tbEUlT_E0_NS1_11comp_targetILNS1_3genE4ELNS1_11target_archE910ELNS1_3gpuE8ELNS1_3repE0EEENS1_30default_config_static_selectorELNS0_4arch9wavefront6targetE1EEEvSM_
; %bb.0:
	.section	.rodata,"a",@progbits
	.p2align	6, 0x0
	.amdhsa_kernel _ZN7rocprim17ROCPRIM_400000_NS6detail17trampoline_kernelINS0_14default_configENS1_22reduce_config_selectorIlEEZNS1_11reduce_implILb1ES3_PlS7_lN6hipcub16HIPCUB_304000_NS6detail34convert_binary_result_type_wrapperINS9_3SumENS9_22TransformInputIteratorIb7NonZeroIsEPslEElEEEE10hipError_tPvRmT1_T2_T3_mT4_P12ihipStream_tbEUlT_E0_NS1_11comp_targetILNS1_3genE4ELNS1_11target_archE910ELNS1_3gpuE8ELNS1_3repE0EEENS1_30default_config_static_selectorELNS0_4arch9wavefront6targetE1EEEvSM_
		.amdhsa_group_segment_fixed_size 0
		.amdhsa_private_segment_fixed_size 0
		.amdhsa_kernarg_size 64
		.amdhsa_user_sgpr_count 6
		.amdhsa_user_sgpr_private_segment_buffer 1
		.amdhsa_user_sgpr_dispatch_ptr 0
		.amdhsa_user_sgpr_queue_ptr 0
		.amdhsa_user_sgpr_kernarg_segment_ptr 1
		.amdhsa_user_sgpr_dispatch_id 0
		.amdhsa_user_sgpr_flat_scratch_init 0
		.amdhsa_user_sgpr_private_segment_size 0
		.amdhsa_uses_dynamic_stack 0
		.amdhsa_system_sgpr_private_segment_wavefront_offset 0
		.amdhsa_system_sgpr_workgroup_id_x 1
		.amdhsa_system_sgpr_workgroup_id_y 0
		.amdhsa_system_sgpr_workgroup_id_z 0
		.amdhsa_system_sgpr_workgroup_info 0
		.amdhsa_system_vgpr_workitem_id 0
		.amdhsa_next_free_vgpr 1
		.amdhsa_next_free_sgpr 0
		.amdhsa_reserve_vcc 0
		.amdhsa_reserve_flat_scratch 0
		.amdhsa_float_round_mode_32 0
		.amdhsa_float_round_mode_16_64 0
		.amdhsa_float_denorm_mode_32 3
		.amdhsa_float_denorm_mode_16_64 3
		.amdhsa_dx10_clamp 1
		.amdhsa_ieee_mode 1
		.amdhsa_fp16_overflow 0
		.amdhsa_exception_fp_ieee_invalid_op 0
		.amdhsa_exception_fp_denorm_src 0
		.amdhsa_exception_fp_ieee_div_zero 0
		.amdhsa_exception_fp_ieee_overflow 0
		.amdhsa_exception_fp_ieee_underflow 0
		.amdhsa_exception_fp_ieee_inexact 0
		.amdhsa_exception_int_div_zero 0
	.end_amdhsa_kernel
	.section	.text._ZN7rocprim17ROCPRIM_400000_NS6detail17trampoline_kernelINS0_14default_configENS1_22reduce_config_selectorIlEEZNS1_11reduce_implILb1ES3_PlS7_lN6hipcub16HIPCUB_304000_NS6detail34convert_binary_result_type_wrapperINS9_3SumENS9_22TransformInputIteratorIb7NonZeroIsEPslEElEEEE10hipError_tPvRmT1_T2_T3_mT4_P12ihipStream_tbEUlT_E0_NS1_11comp_targetILNS1_3genE4ELNS1_11target_archE910ELNS1_3gpuE8ELNS1_3repE0EEENS1_30default_config_static_selectorELNS0_4arch9wavefront6targetE1EEEvSM_,"axG",@progbits,_ZN7rocprim17ROCPRIM_400000_NS6detail17trampoline_kernelINS0_14default_configENS1_22reduce_config_selectorIlEEZNS1_11reduce_implILb1ES3_PlS7_lN6hipcub16HIPCUB_304000_NS6detail34convert_binary_result_type_wrapperINS9_3SumENS9_22TransformInputIteratorIb7NonZeroIsEPslEElEEEE10hipError_tPvRmT1_T2_T3_mT4_P12ihipStream_tbEUlT_E0_NS1_11comp_targetILNS1_3genE4ELNS1_11target_archE910ELNS1_3gpuE8ELNS1_3repE0EEENS1_30default_config_static_selectorELNS0_4arch9wavefront6targetE1EEEvSM_,comdat
.Lfunc_end83:
	.size	_ZN7rocprim17ROCPRIM_400000_NS6detail17trampoline_kernelINS0_14default_configENS1_22reduce_config_selectorIlEEZNS1_11reduce_implILb1ES3_PlS7_lN6hipcub16HIPCUB_304000_NS6detail34convert_binary_result_type_wrapperINS9_3SumENS9_22TransformInputIteratorIb7NonZeroIsEPslEElEEEE10hipError_tPvRmT1_T2_T3_mT4_P12ihipStream_tbEUlT_E0_NS1_11comp_targetILNS1_3genE4ELNS1_11target_archE910ELNS1_3gpuE8ELNS1_3repE0EEENS1_30default_config_static_selectorELNS0_4arch9wavefront6targetE1EEEvSM_, .Lfunc_end83-_ZN7rocprim17ROCPRIM_400000_NS6detail17trampoline_kernelINS0_14default_configENS1_22reduce_config_selectorIlEEZNS1_11reduce_implILb1ES3_PlS7_lN6hipcub16HIPCUB_304000_NS6detail34convert_binary_result_type_wrapperINS9_3SumENS9_22TransformInputIteratorIb7NonZeroIsEPslEElEEEE10hipError_tPvRmT1_T2_T3_mT4_P12ihipStream_tbEUlT_E0_NS1_11comp_targetILNS1_3genE4ELNS1_11target_archE910ELNS1_3gpuE8ELNS1_3repE0EEENS1_30default_config_static_selectorELNS0_4arch9wavefront6targetE1EEEvSM_
                                        ; -- End function
	.set _ZN7rocprim17ROCPRIM_400000_NS6detail17trampoline_kernelINS0_14default_configENS1_22reduce_config_selectorIlEEZNS1_11reduce_implILb1ES3_PlS7_lN6hipcub16HIPCUB_304000_NS6detail34convert_binary_result_type_wrapperINS9_3SumENS9_22TransformInputIteratorIb7NonZeroIsEPslEElEEEE10hipError_tPvRmT1_T2_T3_mT4_P12ihipStream_tbEUlT_E0_NS1_11comp_targetILNS1_3genE4ELNS1_11target_archE910ELNS1_3gpuE8ELNS1_3repE0EEENS1_30default_config_static_selectorELNS0_4arch9wavefront6targetE1EEEvSM_.num_vgpr, 0
	.set _ZN7rocprim17ROCPRIM_400000_NS6detail17trampoline_kernelINS0_14default_configENS1_22reduce_config_selectorIlEEZNS1_11reduce_implILb1ES3_PlS7_lN6hipcub16HIPCUB_304000_NS6detail34convert_binary_result_type_wrapperINS9_3SumENS9_22TransformInputIteratorIb7NonZeroIsEPslEElEEEE10hipError_tPvRmT1_T2_T3_mT4_P12ihipStream_tbEUlT_E0_NS1_11comp_targetILNS1_3genE4ELNS1_11target_archE910ELNS1_3gpuE8ELNS1_3repE0EEENS1_30default_config_static_selectorELNS0_4arch9wavefront6targetE1EEEvSM_.num_agpr, 0
	.set _ZN7rocprim17ROCPRIM_400000_NS6detail17trampoline_kernelINS0_14default_configENS1_22reduce_config_selectorIlEEZNS1_11reduce_implILb1ES3_PlS7_lN6hipcub16HIPCUB_304000_NS6detail34convert_binary_result_type_wrapperINS9_3SumENS9_22TransformInputIteratorIb7NonZeroIsEPslEElEEEE10hipError_tPvRmT1_T2_T3_mT4_P12ihipStream_tbEUlT_E0_NS1_11comp_targetILNS1_3genE4ELNS1_11target_archE910ELNS1_3gpuE8ELNS1_3repE0EEENS1_30default_config_static_selectorELNS0_4arch9wavefront6targetE1EEEvSM_.numbered_sgpr, 0
	.set _ZN7rocprim17ROCPRIM_400000_NS6detail17trampoline_kernelINS0_14default_configENS1_22reduce_config_selectorIlEEZNS1_11reduce_implILb1ES3_PlS7_lN6hipcub16HIPCUB_304000_NS6detail34convert_binary_result_type_wrapperINS9_3SumENS9_22TransformInputIteratorIb7NonZeroIsEPslEElEEEE10hipError_tPvRmT1_T2_T3_mT4_P12ihipStream_tbEUlT_E0_NS1_11comp_targetILNS1_3genE4ELNS1_11target_archE910ELNS1_3gpuE8ELNS1_3repE0EEENS1_30default_config_static_selectorELNS0_4arch9wavefront6targetE1EEEvSM_.num_named_barrier, 0
	.set _ZN7rocprim17ROCPRIM_400000_NS6detail17trampoline_kernelINS0_14default_configENS1_22reduce_config_selectorIlEEZNS1_11reduce_implILb1ES3_PlS7_lN6hipcub16HIPCUB_304000_NS6detail34convert_binary_result_type_wrapperINS9_3SumENS9_22TransformInputIteratorIb7NonZeroIsEPslEElEEEE10hipError_tPvRmT1_T2_T3_mT4_P12ihipStream_tbEUlT_E0_NS1_11comp_targetILNS1_3genE4ELNS1_11target_archE910ELNS1_3gpuE8ELNS1_3repE0EEENS1_30default_config_static_selectorELNS0_4arch9wavefront6targetE1EEEvSM_.private_seg_size, 0
	.set _ZN7rocprim17ROCPRIM_400000_NS6detail17trampoline_kernelINS0_14default_configENS1_22reduce_config_selectorIlEEZNS1_11reduce_implILb1ES3_PlS7_lN6hipcub16HIPCUB_304000_NS6detail34convert_binary_result_type_wrapperINS9_3SumENS9_22TransformInputIteratorIb7NonZeroIsEPslEElEEEE10hipError_tPvRmT1_T2_T3_mT4_P12ihipStream_tbEUlT_E0_NS1_11comp_targetILNS1_3genE4ELNS1_11target_archE910ELNS1_3gpuE8ELNS1_3repE0EEENS1_30default_config_static_selectorELNS0_4arch9wavefront6targetE1EEEvSM_.uses_vcc, 0
	.set _ZN7rocprim17ROCPRIM_400000_NS6detail17trampoline_kernelINS0_14default_configENS1_22reduce_config_selectorIlEEZNS1_11reduce_implILb1ES3_PlS7_lN6hipcub16HIPCUB_304000_NS6detail34convert_binary_result_type_wrapperINS9_3SumENS9_22TransformInputIteratorIb7NonZeroIsEPslEElEEEE10hipError_tPvRmT1_T2_T3_mT4_P12ihipStream_tbEUlT_E0_NS1_11comp_targetILNS1_3genE4ELNS1_11target_archE910ELNS1_3gpuE8ELNS1_3repE0EEENS1_30default_config_static_selectorELNS0_4arch9wavefront6targetE1EEEvSM_.uses_flat_scratch, 0
	.set _ZN7rocprim17ROCPRIM_400000_NS6detail17trampoline_kernelINS0_14default_configENS1_22reduce_config_selectorIlEEZNS1_11reduce_implILb1ES3_PlS7_lN6hipcub16HIPCUB_304000_NS6detail34convert_binary_result_type_wrapperINS9_3SumENS9_22TransformInputIteratorIb7NonZeroIsEPslEElEEEE10hipError_tPvRmT1_T2_T3_mT4_P12ihipStream_tbEUlT_E0_NS1_11comp_targetILNS1_3genE4ELNS1_11target_archE910ELNS1_3gpuE8ELNS1_3repE0EEENS1_30default_config_static_selectorELNS0_4arch9wavefront6targetE1EEEvSM_.has_dyn_sized_stack, 0
	.set _ZN7rocprim17ROCPRIM_400000_NS6detail17trampoline_kernelINS0_14default_configENS1_22reduce_config_selectorIlEEZNS1_11reduce_implILb1ES3_PlS7_lN6hipcub16HIPCUB_304000_NS6detail34convert_binary_result_type_wrapperINS9_3SumENS9_22TransformInputIteratorIb7NonZeroIsEPslEElEEEE10hipError_tPvRmT1_T2_T3_mT4_P12ihipStream_tbEUlT_E0_NS1_11comp_targetILNS1_3genE4ELNS1_11target_archE910ELNS1_3gpuE8ELNS1_3repE0EEENS1_30default_config_static_selectorELNS0_4arch9wavefront6targetE1EEEvSM_.has_recursion, 0
	.set _ZN7rocprim17ROCPRIM_400000_NS6detail17trampoline_kernelINS0_14default_configENS1_22reduce_config_selectorIlEEZNS1_11reduce_implILb1ES3_PlS7_lN6hipcub16HIPCUB_304000_NS6detail34convert_binary_result_type_wrapperINS9_3SumENS9_22TransformInputIteratorIb7NonZeroIsEPslEElEEEE10hipError_tPvRmT1_T2_T3_mT4_P12ihipStream_tbEUlT_E0_NS1_11comp_targetILNS1_3genE4ELNS1_11target_archE910ELNS1_3gpuE8ELNS1_3repE0EEENS1_30default_config_static_selectorELNS0_4arch9wavefront6targetE1EEEvSM_.has_indirect_call, 0
	.section	.AMDGPU.csdata,"",@progbits
; Kernel info:
; codeLenInByte = 0
; TotalNumSgprs: 4
; NumVgprs: 0
; ScratchSize: 0
; MemoryBound: 0
; FloatMode: 240
; IeeeMode: 1
; LDSByteSize: 0 bytes/workgroup (compile time only)
; SGPRBlocks: 0
; VGPRBlocks: 0
; NumSGPRsForWavesPerEU: 4
; NumVGPRsForWavesPerEU: 1
; Occupancy: 10
; WaveLimiterHint : 0
; COMPUTE_PGM_RSRC2:SCRATCH_EN: 0
; COMPUTE_PGM_RSRC2:USER_SGPR: 6
; COMPUTE_PGM_RSRC2:TRAP_HANDLER: 0
; COMPUTE_PGM_RSRC2:TGID_X_EN: 1
; COMPUTE_PGM_RSRC2:TGID_Y_EN: 0
; COMPUTE_PGM_RSRC2:TGID_Z_EN: 0
; COMPUTE_PGM_RSRC2:TIDIG_COMP_CNT: 0
	.section	.text._ZN7rocprim17ROCPRIM_400000_NS6detail17trampoline_kernelINS0_14default_configENS1_22reduce_config_selectorIlEEZNS1_11reduce_implILb1ES3_PlS7_lN6hipcub16HIPCUB_304000_NS6detail34convert_binary_result_type_wrapperINS9_3SumENS9_22TransformInputIteratorIb7NonZeroIsEPslEElEEEE10hipError_tPvRmT1_T2_T3_mT4_P12ihipStream_tbEUlT_E0_NS1_11comp_targetILNS1_3genE3ELNS1_11target_archE908ELNS1_3gpuE7ELNS1_3repE0EEENS1_30default_config_static_selectorELNS0_4arch9wavefront6targetE1EEEvSM_,"axG",@progbits,_ZN7rocprim17ROCPRIM_400000_NS6detail17trampoline_kernelINS0_14default_configENS1_22reduce_config_selectorIlEEZNS1_11reduce_implILb1ES3_PlS7_lN6hipcub16HIPCUB_304000_NS6detail34convert_binary_result_type_wrapperINS9_3SumENS9_22TransformInputIteratorIb7NonZeroIsEPslEElEEEE10hipError_tPvRmT1_T2_T3_mT4_P12ihipStream_tbEUlT_E0_NS1_11comp_targetILNS1_3genE3ELNS1_11target_archE908ELNS1_3gpuE7ELNS1_3repE0EEENS1_30default_config_static_selectorELNS0_4arch9wavefront6targetE1EEEvSM_,comdat
	.protected	_ZN7rocprim17ROCPRIM_400000_NS6detail17trampoline_kernelINS0_14default_configENS1_22reduce_config_selectorIlEEZNS1_11reduce_implILb1ES3_PlS7_lN6hipcub16HIPCUB_304000_NS6detail34convert_binary_result_type_wrapperINS9_3SumENS9_22TransformInputIteratorIb7NonZeroIsEPslEElEEEE10hipError_tPvRmT1_T2_T3_mT4_P12ihipStream_tbEUlT_E0_NS1_11comp_targetILNS1_3genE3ELNS1_11target_archE908ELNS1_3gpuE7ELNS1_3repE0EEENS1_30default_config_static_selectorELNS0_4arch9wavefront6targetE1EEEvSM_ ; -- Begin function _ZN7rocprim17ROCPRIM_400000_NS6detail17trampoline_kernelINS0_14default_configENS1_22reduce_config_selectorIlEEZNS1_11reduce_implILb1ES3_PlS7_lN6hipcub16HIPCUB_304000_NS6detail34convert_binary_result_type_wrapperINS9_3SumENS9_22TransformInputIteratorIb7NonZeroIsEPslEElEEEE10hipError_tPvRmT1_T2_T3_mT4_P12ihipStream_tbEUlT_E0_NS1_11comp_targetILNS1_3genE3ELNS1_11target_archE908ELNS1_3gpuE7ELNS1_3repE0EEENS1_30default_config_static_selectorELNS0_4arch9wavefront6targetE1EEEvSM_
	.globl	_ZN7rocprim17ROCPRIM_400000_NS6detail17trampoline_kernelINS0_14default_configENS1_22reduce_config_selectorIlEEZNS1_11reduce_implILb1ES3_PlS7_lN6hipcub16HIPCUB_304000_NS6detail34convert_binary_result_type_wrapperINS9_3SumENS9_22TransformInputIteratorIb7NonZeroIsEPslEElEEEE10hipError_tPvRmT1_T2_T3_mT4_P12ihipStream_tbEUlT_E0_NS1_11comp_targetILNS1_3genE3ELNS1_11target_archE908ELNS1_3gpuE7ELNS1_3repE0EEENS1_30default_config_static_selectorELNS0_4arch9wavefront6targetE1EEEvSM_
	.p2align	8
	.type	_ZN7rocprim17ROCPRIM_400000_NS6detail17trampoline_kernelINS0_14default_configENS1_22reduce_config_selectorIlEEZNS1_11reduce_implILb1ES3_PlS7_lN6hipcub16HIPCUB_304000_NS6detail34convert_binary_result_type_wrapperINS9_3SumENS9_22TransformInputIteratorIb7NonZeroIsEPslEElEEEE10hipError_tPvRmT1_T2_T3_mT4_P12ihipStream_tbEUlT_E0_NS1_11comp_targetILNS1_3genE3ELNS1_11target_archE908ELNS1_3gpuE7ELNS1_3repE0EEENS1_30default_config_static_selectorELNS0_4arch9wavefront6targetE1EEEvSM_,@function
_ZN7rocprim17ROCPRIM_400000_NS6detail17trampoline_kernelINS0_14default_configENS1_22reduce_config_selectorIlEEZNS1_11reduce_implILb1ES3_PlS7_lN6hipcub16HIPCUB_304000_NS6detail34convert_binary_result_type_wrapperINS9_3SumENS9_22TransformInputIteratorIb7NonZeroIsEPslEElEEEE10hipError_tPvRmT1_T2_T3_mT4_P12ihipStream_tbEUlT_E0_NS1_11comp_targetILNS1_3genE3ELNS1_11target_archE908ELNS1_3gpuE7ELNS1_3repE0EEENS1_30default_config_static_selectorELNS0_4arch9wavefront6targetE1EEEvSM_: ; @_ZN7rocprim17ROCPRIM_400000_NS6detail17trampoline_kernelINS0_14default_configENS1_22reduce_config_selectorIlEEZNS1_11reduce_implILb1ES3_PlS7_lN6hipcub16HIPCUB_304000_NS6detail34convert_binary_result_type_wrapperINS9_3SumENS9_22TransformInputIteratorIb7NonZeroIsEPslEElEEEE10hipError_tPvRmT1_T2_T3_mT4_P12ihipStream_tbEUlT_E0_NS1_11comp_targetILNS1_3genE3ELNS1_11target_archE908ELNS1_3gpuE7ELNS1_3repE0EEENS1_30default_config_static_selectorELNS0_4arch9wavefront6targetE1EEEvSM_
; %bb.0:
	.section	.rodata,"a",@progbits
	.p2align	6, 0x0
	.amdhsa_kernel _ZN7rocprim17ROCPRIM_400000_NS6detail17trampoline_kernelINS0_14default_configENS1_22reduce_config_selectorIlEEZNS1_11reduce_implILb1ES3_PlS7_lN6hipcub16HIPCUB_304000_NS6detail34convert_binary_result_type_wrapperINS9_3SumENS9_22TransformInputIteratorIb7NonZeroIsEPslEElEEEE10hipError_tPvRmT1_T2_T3_mT4_P12ihipStream_tbEUlT_E0_NS1_11comp_targetILNS1_3genE3ELNS1_11target_archE908ELNS1_3gpuE7ELNS1_3repE0EEENS1_30default_config_static_selectorELNS0_4arch9wavefront6targetE1EEEvSM_
		.amdhsa_group_segment_fixed_size 0
		.amdhsa_private_segment_fixed_size 0
		.amdhsa_kernarg_size 64
		.amdhsa_user_sgpr_count 6
		.amdhsa_user_sgpr_private_segment_buffer 1
		.amdhsa_user_sgpr_dispatch_ptr 0
		.amdhsa_user_sgpr_queue_ptr 0
		.amdhsa_user_sgpr_kernarg_segment_ptr 1
		.amdhsa_user_sgpr_dispatch_id 0
		.amdhsa_user_sgpr_flat_scratch_init 0
		.amdhsa_user_sgpr_private_segment_size 0
		.amdhsa_uses_dynamic_stack 0
		.amdhsa_system_sgpr_private_segment_wavefront_offset 0
		.amdhsa_system_sgpr_workgroup_id_x 1
		.amdhsa_system_sgpr_workgroup_id_y 0
		.amdhsa_system_sgpr_workgroup_id_z 0
		.amdhsa_system_sgpr_workgroup_info 0
		.amdhsa_system_vgpr_workitem_id 0
		.amdhsa_next_free_vgpr 1
		.amdhsa_next_free_sgpr 0
		.amdhsa_reserve_vcc 0
		.amdhsa_reserve_flat_scratch 0
		.amdhsa_float_round_mode_32 0
		.amdhsa_float_round_mode_16_64 0
		.amdhsa_float_denorm_mode_32 3
		.amdhsa_float_denorm_mode_16_64 3
		.amdhsa_dx10_clamp 1
		.amdhsa_ieee_mode 1
		.amdhsa_fp16_overflow 0
		.amdhsa_exception_fp_ieee_invalid_op 0
		.amdhsa_exception_fp_denorm_src 0
		.amdhsa_exception_fp_ieee_div_zero 0
		.amdhsa_exception_fp_ieee_overflow 0
		.amdhsa_exception_fp_ieee_underflow 0
		.amdhsa_exception_fp_ieee_inexact 0
		.amdhsa_exception_int_div_zero 0
	.end_amdhsa_kernel
	.section	.text._ZN7rocprim17ROCPRIM_400000_NS6detail17trampoline_kernelINS0_14default_configENS1_22reduce_config_selectorIlEEZNS1_11reduce_implILb1ES3_PlS7_lN6hipcub16HIPCUB_304000_NS6detail34convert_binary_result_type_wrapperINS9_3SumENS9_22TransformInputIteratorIb7NonZeroIsEPslEElEEEE10hipError_tPvRmT1_T2_T3_mT4_P12ihipStream_tbEUlT_E0_NS1_11comp_targetILNS1_3genE3ELNS1_11target_archE908ELNS1_3gpuE7ELNS1_3repE0EEENS1_30default_config_static_selectorELNS0_4arch9wavefront6targetE1EEEvSM_,"axG",@progbits,_ZN7rocprim17ROCPRIM_400000_NS6detail17trampoline_kernelINS0_14default_configENS1_22reduce_config_selectorIlEEZNS1_11reduce_implILb1ES3_PlS7_lN6hipcub16HIPCUB_304000_NS6detail34convert_binary_result_type_wrapperINS9_3SumENS9_22TransformInputIteratorIb7NonZeroIsEPslEElEEEE10hipError_tPvRmT1_T2_T3_mT4_P12ihipStream_tbEUlT_E0_NS1_11comp_targetILNS1_3genE3ELNS1_11target_archE908ELNS1_3gpuE7ELNS1_3repE0EEENS1_30default_config_static_selectorELNS0_4arch9wavefront6targetE1EEEvSM_,comdat
.Lfunc_end84:
	.size	_ZN7rocprim17ROCPRIM_400000_NS6detail17trampoline_kernelINS0_14default_configENS1_22reduce_config_selectorIlEEZNS1_11reduce_implILb1ES3_PlS7_lN6hipcub16HIPCUB_304000_NS6detail34convert_binary_result_type_wrapperINS9_3SumENS9_22TransformInputIteratorIb7NonZeroIsEPslEElEEEE10hipError_tPvRmT1_T2_T3_mT4_P12ihipStream_tbEUlT_E0_NS1_11comp_targetILNS1_3genE3ELNS1_11target_archE908ELNS1_3gpuE7ELNS1_3repE0EEENS1_30default_config_static_selectorELNS0_4arch9wavefront6targetE1EEEvSM_, .Lfunc_end84-_ZN7rocprim17ROCPRIM_400000_NS6detail17trampoline_kernelINS0_14default_configENS1_22reduce_config_selectorIlEEZNS1_11reduce_implILb1ES3_PlS7_lN6hipcub16HIPCUB_304000_NS6detail34convert_binary_result_type_wrapperINS9_3SumENS9_22TransformInputIteratorIb7NonZeroIsEPslEElEEEE10hipError_tPvRmT1_T2_T3_mT4_P12ihipStream_tbEUlT_E0_NS1_11comp_targetILNS1_3genE3ELNS1_11target_archE908ELNS1_3gpuE7ELNS1_3repE0EEENS1_30default_config_static_selectorELNS0_4arch9wavefront6targetE1EEEvSM_
                                        ; -- End function
	.set _ZN7rocprim17ROCPRIM_400000_NS6detail17trampoline_kernelINS0_14default_configENS1_22reduce_config_selectorIlEEZNS1_11reduce_implILb1ES3_PlS7_lN6hipcub16HIPCUB_304000_NS6detail34convert_binary_result_type_wrapperINS9_3SumENS9_22TransformInputIteratorIb7NonZeroIsEPslEElEEEE10hipError_tPvRmT1_T2_T3_mT4_P12ihipStream_tbEUlT_E0_NS1_11comp_targetILNS1_3genE3ELNS1_11target_archE908ELNS1_3gpuE7ELNS1_3repE0EEENS1_30default_config_static_selectorELNS0_4arch9wavefront6targetE1EEEvSM_.num_vgpr, 0
	.set _ZN7rocprim17ROCPRIM_400000_NS6detail17trampoline_kernelINS0_14default_configENS1_22reduce_config_selectorIlEEZNS1_11reduce_implILb1ES3_PlS7_lN6hipcub16HIPCUB_304000_NS6detail34convert_binary_result_type_wrapperINS9_3SumENS9_22TransformInputIteratorIb7NonZeroIsEPslEElEEEE10hipError_tPvRmT1_T2_T3_mT4_P12ihipStream_tbEUlT_E0_NS1_11comp_targetILNS1_3genE3ELNS1_11target_archE908ELNS1_3gpuE7ELNS1_3repE0EEENS1_30default_config_static_selectorELNS0_4arch9wavefront6targetE1EEEvSM_.num_agpr, 0
	.set _ZN7rocprim17ROCPRIM_400000_NS6detail17trampoline_kernelINS0_14default_configENS1_22reduce_config_selectorIlEEZNS1_11reduce_implILb1ES3_PlS7_lN6hipcub16HIPCUB_304000_NS6detail34convert_binary_result_type_wrapperINS9_3SumENS9_22TransformInputIteratorIb7NonZeroIsEPslEElEEEE10hipError_tPvRmT1_T2_T3_mT4_P12ihipStream_tbEUlT_E0_NS1_11comp_targetILNS1_3genE3ELNS1_11target_archE908ELNS1_3gpuE7ELNS1_3repE0EEENS1_30default_config_static_selectorELNS0_4arch9wavefront6targetE1EEEvSM_.numbered_sgpr, 0
	.set _ZN7rocprim17ROCPRIM_400000_NS6detail17trampoline_kernelINS0_14default_configENS1_22reduce_config_selectorIlEEZNS1_11reduce_implILb1ES3_PlS7_lN6hipcub16HIPCUB_304000_NS6detail34convert_binary_result_type_wrapperINS9_3SumENS9_22TransformInputIteratorIb7NonZeroIsEPslEElEEEE10hipError_tPvRmT1_T2_T3_mT4_P12ihipStream_tbEUlT_E0_NS1_11comp_targetILNS1_3genE3ELNS1_11target_archE908ELNS1_3gpuE7ELNS1_3repE0EEENS1_30default_config_static_selectorELNS0_4arch9wavefront6targetE1EEEvSM_.num_named_barrier, 0
	.set _ZN7rocprim17ROCPRIM_400000_NS6detail17trampoline_kernelINS0_14default_configENS1_22reduce_config_selectorIlEEZNS1_11reduce_implILb1ES3_PlS7_lN6hipcub16HIPCUB_304000_NS6detail34convert_binary_result_type_wrapperINS9_3SumENS9_22TransformInputIteratorIb7NonZeroIsEPslEElEEEE10hipError_tPvRmT1_T2_T3_mT4_P12ihipStream_tbEUlT_E0_NS1_11comp_targetILNS1_3genE3ELNS1_11target_archE908ELNS1_3gpuE7ELNS1_3repE0EEENS1_30default_config_static_selectorELNS0_4arch9wavefront6targetE1EEEvSM_.private_seg_size, 0
	.set _ZN7rocprim17ROCPRIM_400000_NS6detail17trampoline_kernelINS0_14default_configENS1_22reduce_config_selectorIlEEZNS1_11reduce_implILb1ES3_PlS7_lN6hipcub16HIPCUB_304000_NS6detail34convert_binary_result_type_wrapperINS9_3SumENS9_22TransformInputIteratorIb7NonZeroIsEPslEElEEEE10hipError_tPvRmT1_T2_T3_mT4_P12ihipStream_tbEUlT_E0_NS1_11comp_targetILNS1_3genE3ELNS1_11target_archE908ELNS1_3gpuE7ELNS1_3repE0EEENS1_30default_config_static_selectorELNS0_4arch9wavefront6targetE1EEEvSM_.uses_vcc, 0
	.set _ZN7rocprim17ROCPRIM_400000_NS6detail17trampoline_kernelINS0_14default_configENS1_22reduce_config_selectorIlEEZNS1_11reduce_implILb1ES3_PlS7_lN6hipcub16HIPCUB_304000_NS6detail34convert_binary_result_type_wrapperINS9_3SumENS9_22TransformInputIteratorIb7NonZeroIsEPslEElEEEE10hipError_tPvRmT1_T2_T3_mT4_P12ihipStream_tbEUlT_E0_NS1_11comp_targetILNS1_3genE3ELNS1_11target_archE908ELNS1_3gpuE7ELNS1_3repE0EEENS1_30default_config_static_selectorELNS0_4arch9wavefront6targetE1EEEvSM_.uses_flat_scratch, 0
	.set _ZN7rocprim17ROCPRIM_400000_NS6detail17trampoline_kernelINS0_14default_configENS1_22reduce_config_selectorIlEEZNS1_11reduce_implILb1ES3_PlS7_lN6hipcub16HIPCUB_304000_NS6detail34convert_binary_result_type_wrapperINS9_3SumENS9_22TransformInputIteratorIb7NonZeroIsEPslEElEEEE10hipError_tPvRmT1_T2_T3_mT4_P12ihipStream_tbEUlT_E0_NS1_11comp_targetILNS1_3genE3ELNS1_11target_archE908ELNS1_3gpuE7ELNS1_3repE0EEENS1_30default_config_static_selectorELNS0_4arch9wavefront6targetE1EEEvSM_.has_dyn_sized_stack, 0
	.set _ZN7rocprim17ROCPRIM_400000_NS6detail17trampoline_kernelINS0_14default_configENS1_22reduce_config_selectorIlEEZNS1_11reduce_implILb1ES3_PlS7_lN6hipcub16HIPCUB_304000_NS6detail34convert_binary_result_type_wrapperINS9_3SumENS9_22TransformInputIteratorIb7NonZeroIsEPslEElEEEE10hipError_tPvRmT1_T2_T3_mT4_P12ihipStream_tbEUlT_E0_NS1_11comp_targetILNS1_3genE3ELNS1_11target_archE908ELNS1_3gpuE7ELNS1_3repE0EEENS1_30default_config_static_selectorELNS0_4arch9wavefront6targetE1EEEvSM_.has_recursion, 0
	.set _ZN7rocprim17ROCPRIM_400000_NS6detail17trampoline_kernelINS0_14default_configENS1_22reduce_config_selectorIlEEZNS1_11reduce_implILb1ES3_PlS7_lN6hipcub16HIPCUB_304000_NS6detail34convert_binary_result_type_wrapperINS9_3SumENS9_22TransformInputIteratorIb7NonZeroIsEPslEElEEEE10hipError_tPvRmT1_T2_T3_mT4_P12ihipStream_tbEUlT_E0_NS1_11comp_targetILNS1_3genE3ELNS1_11target_archE908ELNS1_3gpuE7ELNS1_3repE0EEENS1_30default_config_static_selectorELNS0_4arch9wavefront6targetE1EEEvSM_.has_indirect_call, 0
	.section	.AMDGPU.csdata,"",@progbits
; Kernel info:
; codeLenInByte = 0
; TotalNumSgprs: 4
; NumVgprs: 0
; ScratchSize: 0
; MemoryBound: 0
; FloatMode: 240
; IeeeMode: 1
; LDSByteSize: 0 bytes/workgroup (compile time only)
; SGPRBlocks: 0
; VGPRBlocks: 0
; NumSGPRsForWavesPerEU: 4
; NumVGPRsForWavesPerEU: 1
; Occupancy: 10
; WaveLimiterHint : 0
; COMPUTE_PGM_RSRC2:SCRATCH_EN: 0
; COMPUTE_PGM_RSRC2:USER_SGPR: 6
; COMPUTE_PGM_RSRC2:TRAP_HANDLER: 0
; COMPUTE_PGM_RSRC2:TGID_X_EN: 1
; COMPUTE_PGM_RSRC2:TGID_Y_EN: 0
; COMPUTE_PGM_RSRC2:TGID_Z_EN: 0
; COMPUTE_PGM_RSRC2:TIDIG_COMP_CNT: 0
	.section	.text._ZN7rocprim17ROCPRIM_400000_NS6detail17trampoline_kernelINS0_14default_configENS1_22reduce_config_selectorIlEEZNS1_11reduce_implILb1ES3_PlS7_lN6hipcub16HIPCUB_304000_NS6detail34convert_binary_result_type_wrapperINS9_3SumENS9_22TransformInputIteratorIb7NonZeroIsEPslEElEEEE10hipError_tPvRmT1_T2_T3_mT4_P12ihipStream_tbEUlT_E0_NS1_11comp_targetILNS1_3genE2ELNS1_11target_archE906ELNS1_3gpuE6ELNS1_3repE0EEENS1_30default_config_static_selectorELNS0_4arch9wavefront6targetE1EEEvSM_,"axG",@progbits,_ZN7rocprim17ROCPRIM_400000_NS6detail17trampoline_kernelINS0_14default_configENS1_22reduce_config_selectorIlEEZNS1_11reduce_implILb1ES3_PlS7_lN6hipcub16HIPCUB_304000_NS6detail34convert_binary_result_type_wrapperINS9_3SumENS9_22TransformInputIteratorIb7NonZeroIsEPslEElEEEE10hipError_tPvRmT1_T2_T3_mT4_P12ihipStream_tbEUlT_E0_NS1_11comp_targetILNS1_3genE2ELNS1_11target_archE906ELNS1_3gpuE6ELNS1_3repE0EEENS1_30default_config_static_selectorELNS0_4arch9wavefront6targetE1EEEvSM_,comdat
	.protected	_ZN7rocprim17ROCPRIM_400000_NS6detail17trampoline_kernelINS0_14default_configENS1_22reduce_config_selectorIlEEZNS1_11reduce_implILb1ES3_PlS7_lN6hipcub16HIPCUB_304000_NS6detail34convert_binary_result_type_wrapperINS9_3SumENS9_22TransformInputIteratorIb7NonZeroIsEPslEElEEEE10hipError_tPvRmT1_T2_T3_mT4_P12ihipStream_tbEUlT_E0_NS1_11comp_targetILNS1_3genE2ELNS1_11target_archE906ELNS1_3gpuE6ELNS1_3repE0EEENS1_30default_config_static_selectorELNS0_4arch9wavefront6targetE1EEEvSM_ ; -- Begin function _ZN7rocprim17ROCPRIM_400000_NS6detail17trampoline_kernelINS0_14default_configENS1_22reduce_config_selectorIlEEZNS1_11reduce_implILb1ES3_PlS7_lN6hipcub16HIPCUB_304000_NS6detail34convert_binary_result_type_wrapperINS9_3SumENS9_22TransformInputIteratorIb7NonZeroIsEPslEElEEEE10hipError_tPvRmT1_T2_T3_mT4_P12ihipStream_tbEUlT_E0_NS1_11comp_targetILNS1_3genE2ELNS1_11target_archE906ELNS1_3gpuE6ELNS1_3repE0EEENS1_30default_config_static_selectorELNS0_4arch9wavefront6targetE1EEEvSM_
	.globl	_ZN7rocprim17ROCPRIM_400000_NS6detail17trampoline_kernelINS0_14default_configENS1_22reduce_config_selectorIlEEZNS1_11reduce_implILb1ES3_PlS7_lN6hipcub16HIPCUB_304000_NS6detail34convert_binary_result_type_wrapperINS9_3SumENS9_22TransformInputIteratorIb7NonZeroIsEPslEElEEEE10hipError_tPvRmT1_T2_T3_mT4_P12ihipStream_tbEUlT_E0_NS1_11comp_targetILNS1_3genE2ELNS1_11target_archE906ELNS1_3gpuE6ELNS1_3repE0EEENS1_30default_config_static_selectorELNS0_4arch9wavefront6targetE1EEEvSM_
	.p2align	8
	.type	_ZN7rocprim17ROCPRIM_400000_NS6detail17trampoline_kernelINS0_14default_configENS1_22reduce_config_selectorIlEEZNS1_11reduce_implILb1ES3_PlS7_lN6hipcub16HIPCUB_304000_NS6detail34convert_binary_result_type_wrapperINS9_3SumENS9_22TransformInputIteratorIb7NonZeroIsEPslEElEEEE10hipError_tPvRmT1_T2_T3_mT4_P12ihipStream_tbEUlT_E0_NS1_11comp_targetILNS1_3genE2ELNS1_11target_archE906ELNS1_3gpuE6ELNS1_3repE0EEENS1_30default_config_static_selectorELNS0_4arch9wavefront6targetE1EEEvSM_,@function
_ZN7rocprim17ROCPRIM_400000_NS6detail17trampoline_kernelINS0_14default_configENS1_22reduce_config_selectorIlEEZNS1_11reduce_implILb1ES3_PlS7_lN6hipcub16HIPCUB_304000_NS6detail34convert_binary_result_type_wrapperINS9_3SumENS9_22TransformInputIteratorIb7NonZeroIsEPslEElEEEE10hipError_tPvRmT1_T2_T3_mT4_P12ihipStream_tbEUlT_E0_NS1_11comp_targetILNS1_3genE2ELNS1_11target_archE906ELNS1_3gpuE6ELNS1_3repE0EEENS1_30default_config_static_selectorELNS0_4arch9wavefront6targetE1EEEvSM_: ; @_ZN7rocprim17ROCPRIM_400000_NS6detail17trampoline_kernelINS0_14default_configENS1_22reduce_config_selectorIlEEZNS1_11reduce_implILb1ES3_PlS7_lN6hipcub16HIPCUB_304000_NS6detail34convert_binary_result_type_wrapperINS9_3SumENS9_22TransformInputIteratorIb7NonZeroIsEPslEElEEEE10hipError_tPvRmT1_T2_T3_mT4_P12ihipStream_tbEUlT_E0_NS1_11comp_targetILNS1_3genE2ELNS1_11target_archE906ELNS1_3gpuE6ELNS1_3repE0EEENS1_30default_config_static_selectorELNS0_4arch9wavefront6targetE1EEEvSM_
; %bb.0:
	s_load_dwordx8 s[8:15], s[4:5], 0x0
	s_load_dwordx4 s[0:3], s[4:5], 0x20
	s_load_dwordx2 s[16:17], s[4:5], 0x30
	v_lshlrev_b32_e32 v6, 3, v0
	v_mbcnt_lo_u32_b32 v5, -1, 0
	s_waitcnt lgkmcnt(0)
	s_lshl_b64 s[4:5], s[10:11], 3
	s_add_u32 s18, s8, s4
	s_addc_u32 s19, s9, s5
	s_lshl_b32 s8, s6, 9
	s_mov_b32 s9, 0
	s_lshr_b64 s[10:11], s[12:13], 9
	s_lshl_b64 s[4:5], s[8:9], 3
	s_add_u32 s4, s18, s4
	s_mov_b32 s7, s9
	s_addc_u32 s5, s19, s5
	s_cmp_lg_u64 s[10:11], s[6:7]
	s_cbranch_scc0 .LBB85_6
; %bb.1:
	global_load_dwordx2 v[1:2], v6, s[4:5]
	global_load_dwordx2 v[7:8], v6, s[4:5] offset:2048
	v_mbcnt_hi_u32_b32 v3, -1, v5
	v_lshlrev_b32_e32 v4, 2, v3
	v_or_b32_e32 v9, 0xfc, v4
	s_waitcnt vmcnt(0)
	v_add_co_u32_e32 v1, vcc, v7, v1
	v_addc_co_u32_e32 v2, vcc, v8, v2, vcc
	s_nop 0
	v_mov_b32_dpp v7, v1 quad_perm:[1,0,3,2] row_mask:0xf bank_mask:0xf bound_ctrl:1
	v_add_co_u32_e32 v1, vcc, v1, v7
	v_mov_b32_dpp v8, v2 quad_perm:[1,0,3,2] row_mask:0xf bank_mask:0xf bound_ctrl:1
	v_addc_co_u32_e32 v2, vcc, 0, v2, vcc
	v_add_co_u32_e32 v7, vcc, 0, v1
	v_addc_co_u32_e32 v2, vcc, v8, v2, vcc
	v_mov_b32_dpp v1, v1 quad_perm:[2,3,0,1] row_mask:0xf bank_mask:0xf bound_ctrl:1
	v_add_co_u32_e32 v1, vcc, v7, v1
	v_mov_b32_dpp v8, v2 quad_perm:[2,3,0,1] row_mask:0xf bank_mask:0xf bound_ctrl:1
	v_addc_co_u32_e32 v2, vcc, 0, v2, vcc
	v_add_co_u32_e32 v7, vcc, 0, v1
	v_addc_co_u32_e32 v2, vcc, v2, v8, vcc
	v_mov_b32_dpp v1, v1 row_ror:4 row_mask:0xf bank_mask:0xf bound_ctrl:1
	v_add_co_u32_e32 v1, vcc, v7, v1
	v_mov_b32_dpp v8, v2 row_ror:4 row_mask:0xf bank_mask:0xf bound_ctrl:1
	v_addc_co_u32_e32 v2, vcc, 0, v2, vcc
	v_add_co_u32_e32 v7, vcc, 0, v1
	v_addc_co_u32_e32 v2, vcc, v2, v8, vcc
	v_mov_b32_dpp v1, v1 row_ror:8 row_mask:0xf bank_mask:0xf bound_ctrl:1
	v_add_co_u32_e32 v1, vcc, v7, v1
	v_mov_b32_dpp v8, v2 row_ror:8 row_mask:0xf bank_mask:0xf bound_ctrl:1
	v_addc_co_u32_e32 v2, vcc, 0, v2, vcc
	v_add_co_u32_e32 v7, vcc, 0, v1
	v_addc_co_u32_e32 v2, vcc, v2, v8, vcc
	v_mov_b32_dpp v1, v1 row_bcast:15 row_mask:0xf bank_mask:0xf bound_ctrl:1
	v_add_co_u32_e32 v1, vcc, v7, v1
	v_mov_b32_dpp v8, v2 row_bcast:15 row_mask:0xf bank_mask:0xf bound_ctrl:1
	v_addc_co_u32_e32 v2, vcc, 0, v2, vcc
	v_add_co_u32_e32 v7, vcc, 0, v1
	v_addc_co_u32_e32 v2, vcc, v2, v8, vcc
	v_mov_b32_dpp v1, v1 row_bcast:31 row_mask:0xf bank_mask:0xf bound_ctrl:1
	v_add_co_u32_e32 v1, vcc, v7, v1
	v_addc_co_u32_e32 v7, vcc, 0, v2, vcc
	ds_bpermute_b32 v1, v9, v1
	s_nop 0
	v_add_u32_dpp v2, v2, v7 row_bcast:31 row_mask:0xf bank_mask:0xf bound_ctrl:1
	ds_bpermute_b32 v2, v9, v2
	v_cmp_eq_u32_e32 vcc, 0, v3
	s_and_saveexec_b64 s[10:11], vcc
	s_cbranch_execz .LBB85_3
; %bb.2:
	v_lshrrev_b32_e32 v7, 3, v0
	v_and_b32_e32 v7, 24, v7
	s_waitcnt lgkmcnt(0)
	ds_write_b64 v7, v[1:2]
.LBB85_3:
	s_or_b64 exec, exec, s[10:11]
	v_cmp_gt_u32_e32 vcc, 64, v0
	s_waitcnt lgkmcnt(0)
	s_barrier
	s_and_saveexec_b64 s[10:11], vcc
	s_cbranch_execz .LBB85_5
; %bb.4:
	v_and_b32_e32 v7, 3, v3
	v_lshlrev_b32_e32 v1, 3, v7
	ds_read_b64 v[1:2], v1
	v_cmp_ne_u32_e32 vcc, 3, v7
	v_addc_co_u32_e32 v3, vcc, 0, v3, vcc
	v_lshlrev_b32_e32 v3, 2, v3
	s_waitcnt lgkmcnt(0)
	ds_bpermute_b32 v7, v3, v1
	ds_bpermute_b32 v3, v3, v2
	v_or_b32_e32 v4, 8, v4
	s_waitcnt lgkmcnt(1)
	v_add_co_u32_e32 v1, vcc, v1, v7
	v_addc_co_u32_e32 v2, vcc, 0, v2, vcc
	ds_bpermute_b32 v7, v4, v1
	v_add_co_u32_e32 v1, vcc, 0, v1
	s_waitcnt lgkmcnt(1)
	v_addc_co_u32_e32 v2, vcc, v3, v2, vcc
	ds_bpermute_b32 v3, v4, v2
	s_waitcnt lgkmcnt(1)
	v_add_co_u32_e32 v1, vcc, v1, v7
	v_addc_co_u32_e32 v2, vcc, 0, v2, vcc
	v_add_co_u32_e32 v1, vcc, 0, v1
	s_waitcnt lgkmcnt(0)
	v_addc_co_u32_e32 v2, vcc, v2, v3, vcc
.LBB85_5:
	s_or_b64 exec, exec, s[10:11]
	s_branch .LBB85_28
.LBB85_6:
                                        ; implicit-def: $vgpr1_vgpr2
	s_cbranch_execz .LBB85_28
; %bb.7:
	s_sub_i32 s10, s12, s8
	v_mov_b32_e32 v1, 0
	v_cmp_gt_u32_e32 vcc, s10, v0
	v_mov_b32_e32 v2, v1
	v_mov_b32_e32 v3, v1
	;; [unrolled: 1-line block ×3, first 2 shown]
	s_and_saveexec_b64 s[8:9], vcc
	s_cbranch_execz .LBB85_9
; %bb.8:
	global_load_dwordx2 v[7:8], v6, s[4:5]
	v_mov_b32_e32 v9, v1
	v_mov_b32_e32 v10, v1
	s_waitcnt vmcnt(0)
	v_mov_b32_e32 v1, v7
	v_mov_b32_e32 v2, v8
	;; [unrolled: 1-line block ×4, first 2 shown]
.LBB85_9:
	s_or_b64 exec, exec, s[8:9]
	v_or_b32_e32 v7, 0x100, v0
	v_cmp_gt_u32_e32 vcc, s10, v7
	s_and_saveexec_b64 s[8:9], vcc
	s_cbranch_execz .LBB85_11
; %bb.10:
	global_load_dwordx2 v[3:4], v6, s[4:5] offset:2048
.LBB85_11:
	s_or_b64 exec, exec, s[8:9]
	s_waitcnt vmcnt(0)
	v_cndmask_b32_e32 v3, 0, v3, vcc
	v_cndmask_b32_e32 v4, 0, v4, vcc
	v_add_co_u32_e32 v1, vcc, v3, v1
	v_mbcnt_hi_u32_b32 v3, -1, v5
	v_addc_co_u32_e32 v2, vcc, v4, v2, vcc
	v_and_b32_e32 v4, 63, v3
	v_cmp_ne_u32_e32 vcc, 63, v4
	v_addc_co_u32_e32 v6, vcc, 0, v3, vcc
	v_lshlrev_b32_e32 v6, 2, v6
	ds_bpermute_b32 v8, v6, v1
	ds_bpermute_b32 v7, v6, v2
	s_min_u32 s8, s10, 0x100
	v_and_b32_e32 v5, 0xc0, v0
	v_sub_u32_e64 v5, s8, v5 clamp
	v_add_u32_e32 v6, 1, v4
	v_cmp_lt_u32_e32 vcc, v6, v5
	v_mov_b32_e32 v6, v1
	s_and_saveexec_b64 s[4:5], vcc
	s_cbranch_execz .LBB85_13
; %bb.12:
	s_waitcnt lgkmcnt(1)
	v_add_co_u32_e32 v6, vcc, v1, v8
	v_addc_co_u32_e32 v2, vcc, 0, v2, vcc
	v_add_co_u32_e32 v1, vcc, 0, v6
	s_waitcnt lgkmcnt(0)
	v_addc_co_u32_e32 v2, vcc, v7, v2, vcc
.LBB85_13:
	s_or_b64 exec, exec, s[4:5]
	v_cmp_gt_u32_e32 vcc, 62, v4
	s_waitcnt lgkmcnt(0)
	v_cndmask_b32_e64 v7, 0, 2, vcc
	v_add_lshl_u32 v7, v7, v3, 2
	ds_bpermute_b32 v8, v7, v6
	ds_bpermute_b32 v7, v7, v2
	v_add_u32_e32 v9, 2, v4
	v_cmp_lt_u32_e32 vcc, v9, v5
	s_and_saveexec_b64 s[4:5], vcc
	s_cbranch_execz .LBB85_15
; %bb.14:
	s_waitcnt lgkmcnt(1)
	v_add_co_u32_e32 v6, vcc, v1, v8
	v_addc_co_u32_e32 v2, vcc, 0, v2, vcc
	v_add_co_u32_e32 v1, vcc, 0, v6
	s_waitcnt lgkmcnt(0)
	v_addc_co_u32_e32 v2, vcc, v7, v2, vcc
.LBB85_15:
	s_or_b64 exec, exec, s[4:5]
	v_cmp_gt_u32_e32 vcc, 60, v4
	s_waitcnt lgkmcnt(0)
	v_cndmask_b32_e64 v7, 0, 4, vcc
	v_add_lshl_u32 v7, v7, v3, 2
	ds_bpermute_b32 v8, v7, v6
	ds_bpermute_b32 v7, v7, v2
	v_add_u32_e32 v9, 4, v4
	v_cmp_lt_u32_e32 vcc, v9, v5
	;; [unrolled: 19-line block ×4, first 2 shown]
	s_and_saveexec_b64 s[4:5], vcc
	s_cbranch_execz .LBB85_21
; %bb.20:
	s_waitcnt lgkmcnt(1)
	v_add_co_u32_e32 v6, vcc, v1, v8
	v_addc_co_u32_e32 v2, vcc, 0, v2, vcc
	v_add_co_u32_e32 v1, vcc, 0, v6
	s_waitcnt lgkmcnt(0)
	v_addc_co_u32_e32 v2, vcc, v7, v2, vcc
.LBB85_21:
	s_or_b64 exec, exec, s[4:5]
	s_waitcnt lgkmcnt(0)
	v_lshlrev_b32_e32 v7, 2, v3
	v_or_b32_e32 v8, 0x80, v7
	ds_bpermute_b32 v6, v8, v6
	ds_bpermute_b32 v8, v8, v2
	v_add_u32_e32 v4, 32, v4
	s_waitcnt lgkmcnt(1)
	v_add_co_u32_e32 v6, vcc, v1, v6
	v_addc_co_u32_e32 v9, vcc, 0, v2, vcc
	v_add_co_u32_e32 v6, vcc, 0, v6
	s_waitcnt lgkmcnt(0)
	v_addc_co_u32_e32 v8, vcc, v9, v8, vcc
	v_cmp_lt_u32_e32 vcc, v4, v5
	v_cndmask_b32_e32 v2, v2, v8, vcc
	v_cndmask_b32_e32 v1, v1, v6, vcc
	v_cmp_eq_u32_e32 vcc, 0, v3
	s_and_saveexec_b64 s[4:5], vcc
; %bb.22:
	v_lshrrev_b32_e32 v4, 3, v0
	v_and_b32_e32 v4, 24, v4
	ds_write_b64 v4, v[1:2] offset:32
; %bb.23:
	s_or_b64 exec, exec, s[4:5]
	v_cmp_gt_u32_e32 vcc, 4, v0
	s_waitcnt lgkmcnt(0)
	s_barrier
	s_and_saveexec_b64 s[4:5], vcc
	s_cbranch_execz .LBB85_27
; %bb.24:
	v_lshlrev_b32_e32 v1, 3, v3
	ds_read_b64 v[1:2], v1 offset:32
	v_and_b32_e32 v4, 3, v3
	v_cmp_ne_u32_e32 vcc, 3, v4
	v_addc_co_u32_e32 v3, vcc, 0, v3, vcc
	v_lshlrev_b32_e32 v3, 2, v3
	s_waitcnt lgkmcnt(0)
	ds_bpermute_b32 v6, v3, v1
	ds_bpermute_b32 v5, v3, v2
	s_add_i32 s8, s8, 63
	s_lshr_b32 s10, s8, 6
	v_add_u32_e32 v3, 1, v4
	v_cmp_gt_u32_e32 vcc, s10, v3
	v_mov_b32_e32 v3, v1
	s_and_saveexec_b64 s[8:9], vcc
	s_cbranch_execz .LBB85_26
; %bb.25:
	s_waitcnt lgkmcnt(1)
	v_add_co_u32_e32 v3, vcc, v1, v6
	v_addc_co_u32_e32 v2, vcc, 0, v2, vcc
	v_add_co_u32_e32 v1, vcc, 0, v3
	s_waitcnt lgkmcnt(0)
	v_addc_co_u32_e32 v2, vcc, v5, v2, vcc
.LBB85_26:
	s_or_b64 exec, exec, s[8:9]
	s_waitcnt lgkmcnt(0)
	v_or_b32_e32 v5, 8, v7
	ds_bpermute_b32 v3, v5, v3
	ds_bpermute_b32 v5, v5, v2
	v_add_u32_e32 v4, 2, v4
	s_waitcnt lgkmcnt(1)
	v_add_co_u32_e32 v3, vcc, v1, v3
	v_addc_co_u32_e32 v6, vcc, 0, v2, vcc
	v_add_co_u32_e32 v3, vcc, 0, v3
	s_waitcnt lgkmcnt(0)
	v_addc_co_u32_e32 v5, vcc, v6, v5, vcc
	v_cmp_gt_u32_e32 vcc, s10, v4
	v_cndmask_b32_e32 v2, v2, v5, vcc
	v_cndmask_b32_e32 v1, v1, v3, vcc
.LBB85_27:
	s_or_b64 exec, exec, s[4:5]
.LBB85_28:
	v_cmp_eq_u32_e32 vcc, 0, v0
	s_and_saveexec_b64 s[4:5], vcc
	s_cbranch_execnz .LBB85_30
; %bb.29:
	s_endpgm
.LBB85_30:
	s_mul_i32 s1, s2, s1
	s_mul_hi_u32 s4, s2, s0
	s_add_i32 s1, s4, s1
	s_mul_i32 s3, s3, s0
	s_add_i32 s1, s1, s3
	s_mul_i32 s0, s2, s0
	s_lshl_b64 s[0:1], s[0:1], 3
	s_add_u32 s2, s14, s0
	s_addc_u32 s3, s15, s1
	s_cmp_eq_u64 s[12:13], 0
	v_mov_b32_e32 v0, s17
	s_cselect_b64 vcc, -1, 0
	s_lshl_b64 s[0:1], s[6:7], 3
	v_cndmask_b32_e32 v2, v2, v0, vcc
	v_mov_b32_e32 v0, s16
	s_add_u32 s0, s2, s0
	v_cndmask_b32_e32 v1, v1, v0, vcc
	s_addc_u32 s1, s3, s1
	v_mov_b32_e32 v0, 0
	global_store_dwordx2 v0, v[1:2], s[0:1]
	s_endpgm
	.section	.rodata,"a",@progbits
	.p2align	6, 0x0
	.amdhsa_kernel _ZN7rocprim17ROCPRIM_400000_NS6detail17trampoline_kernelINS0_14default_configENS1_22reduce_config_selectorIlEEZNS1_11reduce_implILb1ES3_PlS7_lN6hipcub16HIPCUB_304000_NS6detail34convert_binary_result_type_wrapperINS9_3SumENS9_22TransformInputIteratorIb7NonZeroIsEPslEElEEEE10hipError_tPvRmT1_T2_T3_mT4_P12ihipStream_tbEUlT_E0_NS1_11comp_targetILNS1_3genE2ELNS1_11target_archE906ELNS1_3gpuE6ELNS1_3repE0EEENS1_30default_config_static_selectorELNS0_4arch9wavefront6targetE1EEEvSM_
		.amdhsa_group_segment_fixed_size 64
		.amdhsa_private_segment_fixed_size 0
		.amdhsa_kernarg_size 64
		.amdhsa_user_sgpr_count 6
		.amdhsa_user_sgpr_private_segment_buffer 1
		.amdhsa_user_sgpr_dispatch_ptr 0
		.amdhsa_user_sgpr_queue_ptr 0
		.amdhsa_user_sgpr_kernarg_segment_ptr 1
		.amdhsa_user_sgpr_dispatch_id 0
		.amdhsa_user_sgpr_flat_scratch_init 0
		.amdhsa_user_sgpr_private_segment_size 0
		.amdhsa_uses_dynamic_stack 0
		.amdhsa_system_sgpr_private_segment_wavefront_offset 0
		.amdhsa_system_sgpr_workgroup_id_x 1
		.amdhsa_system_sgpr_workgroup_id_y 0
		.amdhsa_system_sgpr_workgroup_id_z 0
		.amdhsa_system_sgpr_workgroup_info 0
		.amdhsa_system_vgpr_workitem_id 0
		.amdhsa_next_free_vgpr 11
		.amdhsa_next_free_sgpr 20
		.amdhsa_reserve_vcc 1
		.amdhsa_reserve_flat_scratch 0
		.amdhsa_float_round_mode_32 0
		.amdhsa_float_round_mode_16_64 0
		.amdhsa_float_denorm_mode_32 3
		.amdhsa_float_denorm_mode_16_64 3
		.amdhsa_dx10_clamp 1
		.amdhsa_ieee_mode 1
		.amdhsa_fp16_overflow 0
		.amdhsa_exception_fp_ieee_invalid_op 0
		.amdhsa_exception_fp_denorm_src 0
		.amdhsa_exception_fp_ieee_div_zero 0
		.amdhsa_exception_fp_ieee_overflow 0
		.amdhsa_exception_fp_ieee_underflow 0
		.amdhsa_exception_fp_ieee_inexact 0
		.amdhsa_exception_int_div_zero 0
	.end_amdhsa_kernel
	.section	.text._ZN7rocprim17ROCPRIM_400000_NS6detail17trampoline_kernelINS0_14default_configENS1_22reduce_config_selectorIlEEZNS1_11reduce_implILb1ES3_PlS7_lN6hipcub16HIPCUB_304000_NS6detail34convert_binary_result_type_wrapperINS9_3SumENS9_22TransformInputIteratorIb7NonZeroIsEPslEElEEEE10hipError_tPvRmT1_T2_T3_mT4_P12ihipStream_tbEUlT_E0_NS1_11comp_targetILNS1_3genE2ELNS1_11target_archE906ELNS1_3gpuE6ELNS1_3repE0EEENS1_30default_config_static_selectorELNS0_4arch9wavefront6targetE1EEEvSM_,"axG",@progbits,_ZN7rocprim17ROCPRIM_400000_NS6detail17trampoline_kernelINS0_14default_configENS1_22reduce_config_selectorIlEEZNS1_11reduce_implILb1ES3_PlS7_lN6hipcub16HIPCUB_304000_NS6detail34convert_binary_result_type_wrapperINS9_3SumENS9_22TransformInputIteratorIb7NonZeroIsEPslEElEEEE10hipError_tPvRmT1_T2_T3_mT4_P12ihipStream_tbEUlT_E0_NS1_11comp_targetILNS1_3genE2ELNS1_11target_archE906ELNS1_3gpuE6ELNS1_3repE0EEENS1_30default_config_static_selectorELNS0_4arch9wavefront6targetE1EEEvSM_,comdat
.Lfunc_end85:
	.size	_ZN7rocprim17ROCPRIM_400000_NS6detail17trampoline_kernelINS0_14default_configENS1_22reduce_config_selectorIlEEZNS1_11reduce_implILb1ES3_PlS7_lN6hipcub16HIPCUB_304000_NS6detail34convert_binary_result_type_wrapperINS9_3SumENS9_22TransformInputIteratorIb7NonZeroIsEPslEElEEEE10hipError_tPvRmT1_T2_T3_mT4_P12ihipStream_tbEUlT_E0_NS1_11comp_targetILNS1_3genE2ELNS1_11target_archE906ELNS1_3gpuE6ELNS1_3repE0EEENS1_30default_config_static_selectorELNS0_4arch9wavefront6targetE1EEEvSM_, .Lfunc_end85-_ZN7rocprim17ROCPRIM_400000_NS6detail17trampoline_kernelINS0_14default_configENS1_22reduce_config_selectorIlEEZNS1_11reduce_implILb1ES3_PlS7_lN6hipcub16HIPCUB_304000_NS6detail34convert_binary_result_type_wrapperINS9_3SumENS9_22TransformInputIteratorIb7NonZeroIsEPslEElEEEE10hipError_tPvRmT1_T2_T3_mT4_P12ihipStream_tbEUlT_E0_NS1_11comp_targetILNS1_3genE2ELNS1_11target_archE906ELNS1_3gpuE6ELNS1_3repE0EEENS1_30default_config_static_selectorELNS0_4arch9wavefront6targetE1EEEvSM_
                                        ; -- End function
	.set _ZN7rocprim17ROCPRIM_400000_NS6detail17trampoline_kernelINS0_14default_configENS1_22reduce_config_selectorIlEEZNS1_11reduce_implILb1ES3_PlS7_lN6hipcub16HIPCUB_304000_NS6detail34convert_binary_result_type_wrapperINS9_3SumENS9_22TransformInputIteratorIb7NonZeroIsEPslEElEEEE10hipError_tPvRmT1_T2_T3_mT4_P12ihipStream_tbEUlT_E0_NS1_11comp_targetILNS1_3genE2ELNS1_11target_archE906ELNS1_3gpuE6ELNS1_3repE0EEENS1_30default_config_static_selectorELNS0_4arch9wavefront6targetE1EEEvSM_.num_vgpr, 11
	.set _ZN7rocprim17ROCPRIM_400000_NS6detail17trampoline_kernelINS0_14default_configENS1_22reduce_config_selectorIlEEZNS1_11reduce_implILb1ES3_PlS7_lN6hipcub16HIPCUB_304000_NS6detail34convert_binary_result_type_wrapperINS9_3SumENS9_22TransformInputIteratorIb7NonZeroIsEPslEElEEEE10hipError_tPvRmT1_T2_T3_mT4_P12ihipStream_tbEUlT_E0_NS1_11comp_targetILNS1_3genE2ELNS1_11target_archE906ELNS1_3gpuE6ELNS1_3repE0EEENS1_30default_config_static_selectorELNS0_4arch9wavefront6targetE1EEEvSM_.num_agpr, 0
	.set _ZN7rocprim17ROCPRIM_400000_NS6detail17trampoline_kernelINS0_14default_configENS1_22reduce_config_selectorIlEEZNS1_11reduce_implILb1ES3_PlS7_lN6hipcub16HIPCUB_304000_NS6detail34convert_binary_result_type_wrapperINS9_3SumENS9_22TransformInputIteratorIb7NonZeroIsEPslEElEEEE10hipError_tPvRmT1_T2_T3_mT4_P12ihipStream_tbEUlT_E0_NS1_11comp_targetILNS1_3genE2ELNS1_11target_archE906ELNS1_3gpuE6ELNS1_3repE0EEENS1_30default_config_static_selectorELNS0_4arch9wavefront6targetE1EEEvSM_.numbered_sgpr, 20
	.set _ZN7rocprim17ROCPRIM_400000_NS6detail17trampoline_kernelINS0_14default_configENS1_22reduce_config_selectorIlEEZNS1_11reduce_implILb1ES3_PlS7_lN6hipcub16HIPCUB_304000_NS6detail34convert_binary_result_type_wrapperINS9_3SumENS9_22TransformInputIteratorIb7NonZeroIsEPslEElEEEE10hipError_tPvRmT1_T2_T3_mT4_P12ihipStream_tbEUlT_E0_NS1_11comp_targetILNS1_3genE2ELNS1_11target_archE906ELNS1_3gpuE6ELNS1_3repE0EEENS1_30default_config_static_selectorELNS0_4arch9wavefront6targetE1EEEvSM_.num_named_barrier, 0
	.set _ZN7rocprim17ROCPRIM_400000_NS6detail17trampoline_kernelINS0_14default_configENS1_22reduce_config_selectorIlEEZNS1_11reduce_implILb1ES3_PlS7_lN6hipcub16HIPCUB_304000_NS6detail34convert_binary_result_type_wrapperINS9_3SumENS9_22TransformInputIteratorIb7NonZeroIsEPslEElEEEE10hipError_tPvRmT1_T2_T3_mT4_P12ihipStream_tbEUlT_E0_NS1_11comp_targetILNS1_3genE2ELNS1_11target_archE906ELNS1_3gpuE6ELNS1_3repE0EEENS1_30default_config_static_selectorELNS0_4arch9wavefront6targetE1EEEvSM_.private_seg_size, 0
	.set _ZN7rocprim17ROCPRIM_400000_NS6detail17trampoline_kernelINS0_14default_configENS1_22reduce_config_selectorIlEEZNS1_11reduce_implILb1ES3_PlS7_lN6hipcub16HIPCUB_304000_NS6detail34convert_binary_result_type_wrapperINS9_3SumENS9_22TransformInputIteratorIb7NonZeroIsEPslEElEEEE10hipError_tPvRmT1_T2_T3_mT4_P12ihipStream_tbEUlT_E0_NS1_11comp_targetILNS1_3genE2ELNS1_11target_archE906ELNS1_3gpuE6ELNS1_3repE0EEENS1_30default_config_static_selectorELNS0_4arch9wavefront6targetE1EEEvSM_.uses_vcc, 1
	.set _ZN7rocprim17ROCPRIM_400000_NS6detail17trampoline_kernelINS0_14default_configENS1_22reduce_config_selectorIlEEZNS1_11reduce_implILb1ES3_PlS7_lN6hipcub16HIPCUB_304000_NS6detail34convert_binary_result_type_wrapperINS9_3SumENS9_22TransformInputIteratorIb7NonZeroIsEPslEElEEEE10hipError_tPvRmT1_T2_T3_mT4_P12ihipStream_tbEUlT_E0_NS1_11comp_targetILNS1_3genE2ELNS1_11target_archE906ELNS1_3gpuE6ELNS1_3repE0EEENS1_30default_config_static_selectorELNS0_4arch9wavefront6targetE1EEEvSM_.uses_flat_scratch, 0
	.set _ZN7rocprim17ROCPRIM_400000_NS6detail17trampoline_kernelINS0_14default_configENS1_22reduce_config_selectorIlEEZNS1_11reduce_implILb1ES3_PlS7_lN6hipcub16HIPCUB_304000_NS6detail34convert_binary_result_type_wrapperINS9_3SumENS9_22TransformInputIteratorIb7NonZeroIsEPslEElEEEE10hipError_tPvRmT1_T2_T3_mT4_P12ihipStream_tbEUlT_E0_NS1_11comp_targetILNS1_3genE2ELNS1_11target_archE906ELNS1_3gpuE6ELNS1_3repE0EEENS1_30default_config_static_selectorELNS0_4arch9wavefront6targetE1EEEvSM_.has_dyn_sized_stack, 0
	.set _ZN7rocprim17ROCPRIM_400000_NS6detail17trampoline_kernelINS0_14default_configENS1_22reduce_config_selectorIlEEZNS1_11reduce_implILb1ES3_PlS7_lN6hipcub16HIPCUB_304000_NS6detail34convert_binary_result_type_wrapperINS9_3SumENS9_22TransformInputIteratorIb7NonZeroIsEPslEElEEEE10hipError_tPvRmT1_T2_T3_mT4_P12ihipStream_tbEUlT_E0_NS1_11comp_targetILNS1_3genE2ELNS1_11target_archE906ELNS1_3gpuE6ELNS1_3repE0EEENS1_30default_config_static_selectorELNS0_4arch9wavefront6targetE1EEEvSM_.has_recursion, 0
	.set _ZN7rocprim17ROCPRIM_400000_NS6detail17trampoline_kernelINS0_14default_configENS1_22reduce_config_selectorIlEEZNS1_11reduce_implILb1ES3_PlS7_lN6hipcub16HIPCUB_304000_NS6detail34convert_binary_result_type_wrapperINS9_3SumENS9_22TransformInputIteratorIb7NonZeroIsEPslEElEEEE10hipError_tPvRmT1_T2_T3_mT4_P12ihipStream_tbEUlT_E0_NS1_11comp_targetILNS1_3genE2ELNS1_11target_archE906ELNS1_3gpuE6ELNS1_3repE0EEENS1_30default_config_static_selectorELNS0_4arch9wavefront6targetE1EEEvSM_.has_indirect_call, 0
	.section	.AMDGPU.csdata,"",@progbits
; Kernel info:
; codeLenInByte = 1496
; TotalNumSgprs: 24
; NumVgprs: 11
; ScratchSize: 0
; MemoryBound: 0
; FloatMode: 240
; IeeeMode: 1
; LDSByteSize: 64 bytes/workgroup (compile time only)
; SGPRBlocks: 2
; VGPRBlocks: 2
; NumSGPRsForWavesPerEU: 24
; NumVGPRsForWavesPerEU: 11
; Occupancy: 10
; WaveLimiterHint : 1
; COMPUTE_PGM_RSRC2:SCRATCH_EN: 0
; COMPUTE_PGM_RSRC2:USER_SGPR: 6
; COMPUTE_PGM_RSRC2:TRAP_HANDLER: 0
; COMPUTE_PGM_RSRC2:TGID_X_EN: 1
; COMPUTE_PGM_RSRC2:TGID_Y_EN: 0
; COMPUTE_PGM_RSRC2:TGID_Z_EN: 0
; COMPUTE_PGM_RSRC2:TIDIG_COMP_CNT: 0
	.section	.text._ZN7rocprim17ROCPRIM_400000_NS6detail17trampoline_kernelINS0_14default_configENS1_22reduce_config_selectorIlEEZNS1_11reduce_implILb1ES3_PlS7_lN6hipcub16HIPCUB_304000_NS6detail34convert_binary_result_type_wrapperINS9_3SumENS9_22TransformInputIteratorIb7NonZeroIsEPslEElEEEE10hipError_tPvRmT1_T2_T3_mT4_P12ihipStream_tbEUlT_E0_NS1_11comp_targetILNS1_3genE10ELNS1_11target_archE1201ELNS1_3gpuE5ELNS1_3repE0EEENS1_30default_config_static_selectorELNS0_4arch9wavefront6targetE1EEEvSM_,"axG",@progbits,_ZN7rocprim17ROCPRIM_400000_NS6detail17trampoline_kernelINS0_14default_configENS1_22reduce_config_selectorIlEEZNS1_11reduce_implILb1ES3_PlS7_lN6hipcub16HIPCUB_304000_NS6detail34convert_binary_result_type_wrapperINS9_3SumENS9_22TransformInputIteratorIb7NonZeroIsEPslEElEEEE10hipError_tPvRmT1_T2_T3_mT4_P12ihipStream_tbEUlT_E0_NS1_11comp_targetILNS1_3genE10ELNS1_11target_archE1201ELNS1_3gpuE5ELNS1_3repE0EEENS1_30default_config_static_selectorELNS0_4arch9wavefront6targetE1EEEvSM_,comdat
	.protected	_ZN7rocprim17ROCPRIM_400000_NS6detail17trampoline_kernelINS0_14default_configENS1_22reduce_config_selectorIlEEZNS1_11reduce_implILb1ES3_PlS7_lN6hipcub16HIPCUB_304000_NS6detail34convert_binary_result_type_wrapperINS9_3SumENS9_22TransformInputIteratorIb7NonZeroIsEPslEElEEEE10hipError_tPvRmT1_T2_T3_mT4_P12ihipStream_tbEUlT_E0_NS1_11comp_targetILNS1_3genE10ELNS1_11target_archE1201ELNS1_3gpuE5ELNS1_3repE0EEENS1_30default_config_static_selectorELNS0_4arch9wavefront6targetE1EEEvSM_ ; -- Begin function _ZN7rocprim17ROCPRIM_400000_NS6detail17trampoline_kernelINS0_14default_configENS1_22reduce_config_selectorIlEEZNS1_11reduce_implILb1ES3_PlS7_lN6hipcub16HIPCUB_304000_NS6detail34convert_binary_result_type_wrapperINS9_3SumENS9_22TransformInputIteratorIb7NonZeroIsEPslEElEEEE10hipError_tPvRmT1_T2_T3_mT4_P12ihipStream_tbEUlT_E0_NS1_11comp_targetILNS1_3genE10ELNS1_11target_archE1201ELNS1_3gpuE5ELNS1_3repE0EEENS1_30default_config_static_selectorELNS0_4arch9wavefront6targetE1EEEvSM_
	.globl	_ZN7rocprim17ROCPRIM_400000_NS6detail17trampoline_kernelINS0_14default_configENS1_22reduce_config_selectorIlEEZNS1_11reduce_implILb1ES3_PlS7_lN6hipcub16HIPCUB_304000_NS6detail34convert_binary_result_type_wrapperINS9_3SumENS9_22TransformInputIteratorIb7NonZeroIsEPslEElEEEE10hipError_tPvRmT1_T2_T3_mT4_P12ihipStream_tbEUlT_E0_NS1_11comp_targetILNS1_3genE10ELNS1_11target_archE1201ELNS1_3gpuE5ELNS1_3repE0EEENS1_30default_config_static_selectorELNS0_4arch9wavefront6targetE1EEEvSM_
	.p2align	8
	.type	_ZN7rocprim17ROCPRIM_400000_NS6detail17trampoline_kernelINS0_14default_configENS1_22reduce_config_selectorIlEEZNS1_11reduce_implILb1ES3_PlS7_lN6hipcub16HIPCUB_304000_NS6detail34convert_binary_result_type_wrapperINS9_3SumENS9_22TransformInputIteratorIb7NonZeroIsEPslEElEEEE10hipError_tPvRmT1_T2_T3_mT4_P12ihipStream_tbEUlT_E0_NS1_11comp_targetILNS1_3genE10ELNS1_11target_archE1201ELNS1_3gpuE5ELNS1_3repE0EEENS1_30default_config_static_selectorELNS0_4arch9wavefront6targetE1EEEvSM_,@function
_ZN7rocprim17ROCPRIM_400000_NS6detail17trampoline_kernelINS0_14default_configENS1_22reduce_config_selectorIlEEZNS1_11reduce_implILb1ES3_PlS7_lN6hipcub16HIPCUB_304000_NS6detail34convert_binary_result_type_wrapperINS9_3SumENS9_22TransformInputIteratorIb7NonZeroIsEPslEElEEEE10hipError_tPvRmT1_T2_T3_mT4_P12ihipStream_tbEUlT_E0_NS1_11comp_targetILNS1_3genE10ELNS1_11target_archE1201ELNS1_3gpuE5ELNS1_3repE0EEENS1_30default_config_static_selectorELNS0_4arch9wavefront6targetE1EEEvSM_: ; @_ZN7rocprim17ROCPRIM_400000_NS6detail17trampoline_kernelINS0_14default_configENS1_22reduce_config_selectorIlEEZNS1_11reduce_implILb1ES3_PlS7_lN6hipcub16HIPCUB_304000_NS6detail34convert_binary_result_type_wrapperINS9_3SumENS9_22TransformInputIteratorIb7NonZeroIsEPslEElEEEE10hipError_tPvRmT1_T2_T3_mT4_P12ihipStream_tbEUlT_E0_NS1_11comp_targetILNS1_3genE10ELNS1_11target_archE1201ELNS1_3gpuE5ELNS1_3repE0EEENS1_30default_config_static_selectorELNS0_4arch9wavefront6targetE1EEEvSM_
; %bb.0:
	.section	.rodata,"a",@progbits
	.p2align	6, 0x0
	.amdhsa_kernel _ZN7rocprim17ROCPRIM_400000_NS6detail17trampoline_kernelINS0_14default_configENS1_22reduce_config_selectorIlEEZNS1_11reduce_implILb1ES3_PlS7_lN6hipcub16HIPCUB_304000_NS6detail34convert_binary_result_type_wrapperINS9_3SumENS9_22TransformInputIteratorIb7NonZeroIsEPslEElEEEE10hipError_tPvRmT1_T2_T3_mT4_P12ihipStream_tbEUlT_E0_NS1_11comp_targetILNS1_3genE10ELNS1_11target_archE1201ELNS1_3gpuE5ELNS1_3repE0EEENS1_30default_config_static_selectorELNS0_4arch9wavefront6targetE1EEEvSM_
		.amdhsa_group_segment_fixed_size 0
		.amdhsa_private_segment_fixed_size 0
		.amdhsa_kernarg_size 64
		.amdhsa_user_sgpr_count 6
		.amdhsa_user_sgpr_private_segment_buffer 1
		.amdhsa_user_sgpr_dispatch_ptr 0
		.amdhsa_user_sgpr_queue_ptr 0
		.amdhsa_user_sgpr_kernarg_segment_ptr 1
		.amdhsa_user_sgpr_dispatch_id 0
		.amdhsa_user_sgpr_flat_scratch_init 0
		.amdhsa_user_sgpr_private_segment_size 0
		.amdhsa_uses_dynamic_stack 0
		.amdhsa_system_sgpr_private_segment_wavefront_offset 0
		.amdhsa_system_sgpr_workgroup_id_x 1
		.amdhsa_system_sgpr_workgroup_id_y 0
		.amdhsa_system_sgpr_workgroup_id_z 0
		.amdhsa_system_sgpr_workgroup_info 0
		.amdhsa_system_vgpr_workitem_id 0
		.amdhsa_next_free_vgpr 1
		.amdhsa_next_free_sgpr 0
		.amdhsa_reserve_vcc 0
		.amdhsa_reserve_flat_scratch 0
		.amdhsa_float_round_mode_32 0
		.amdhsa_float_round_mode_16_64 0
		.amdhsa_float_denorm_mode_32 3
		.amdhsa_float_denorm_mode_16_64 3
		.amdhsa_dx10_clamp 1
		.amdhsa_ieee_mode 1
		.amdhsa_fp16_overflow 0
		.amdhsa_exception_fp_ieee_invalid_op 0
		.amdhsa_exception_fp_denorm_src 0
		.amdhsa_exception_fp_ieee_div_zero 0
		.amdhsa_exception_fp_ieee_overflow 0
		.amdhsa_exception_fp_ieee_underflow 0
		.amdhsa_exception_fp_ieee_inexact 0
		.amdhsa_exception_int_div_zero 0
	.end_amdhsa_kernel
	.section	.text._ZN7rocprim17ROCPRIM_400000_NS6detail17trampoline_kernelINS0_14default_configENS1_22reduce_config_selectorIlEEZNS1_11reduce_implILb1ES3_PlS7_lN6hipcub16HIPCUB_304000_NS6detail34convert_binary_result_type_wrapperINS9_3SumENS9_22TransformInputIteratorIb7NonZeroIsEPslEElEEEE10hipError_tPvRmT1_T2_T3_mT4_P12ihipStream_tbEUlT_E0_NS1_11comp_targetILNS1_3genE10ELNS1_11target_archE1201ELNS1_3gpuE5ELNS1_3repE0EEENS1_30default_config_static_selectorELNS0_4arch9wavefront6targetE1EEEvSM_,"axG",@progbits,_ZN7rocprim17ROCPRIM_400000_NS6detail17trampoline_kernelINS0_14default_configENS1_22reduce_config_selectorIlEEZNS1_11reduce_implILb1ES3_PlS7_lN6hipcub16HIPCUB_304000_NS6detail34convert_binary_result_type_wrapperINS9_3SumENS9_22TransformInputIteratorIb7NonZeroIsEPslEElEEEE10hipError_tPvRmT1_T2_T3_mT4_P12ihipStream_tbEUlT_E0_NS1_11comp_targetILNS1_3genE10ELNS1_11target_archE1201ELNS1_3gpuE5ELNS1_3repE0EEENS1_30default_config_static_selectorELNS0_4arch9wavefront6targetE1EEEvSM_,comdat
.Lfunc_end86:
	.size	_ZN7rocprim17ROCPRIM_400000_NS6detail17trampoline_kernelINS0_14default_configENS1_22reduce_config_selectorIlEEZNS1_11reduce_implILb1ES3_PlS7_lN6hipcub16HIPCUB_304000_NS6detail34convert_binary_result_type_wrapperINS9_3SumENS9_22TransformInputIteratorIb7NonZeroIsEPslEElEEEE10hipError_tPvRmT1_T2_T3_mT4_P12ihipStream_tbEUlT_E0_NS1_11comp_targetILNS1_3genE10ELNS1_11target_archE1201ELNS1_3gpuE5ELNS1_3repE0EEENS1_30default_config_static_selectorELNS0_4arch9wavefront6targetE1EEEvSM_, .Lfunc_end86-_ZN7rocprim17ROCPRIM_400000_NS6detail17trampoline_kernelINS0_14default_configENS1_22reduce_config_selectorIlEEZNS1_11reduce_implILb1ES3_PlS7_lN6hipcub16HIPCUB_304000_NS6detail34convert_binary_result_type_wrapperINS9_3SumENS9_22TransformInputIteratorIb7NonZeroIsEPslEElEEEE10hipError_tPvRmT1_T2_T3_mT4_P12ihipStream_tbEUlT_E0_NS1_11comp_targetILNS1_3genE10ELNS1_11target_archE1201ELNS1_3gpuE5ELNS1_3repE0EEENS1_30default_config_static_selectorELNS0_4arch9wavefront6targetE1EEEvSM_
                                        ; -- End function
	.set _ZN7rocprim17ROCPRIM_400000_NS6detail17trampoline_kernelINS0_14default_configENS1_22reduce_config_selectorIlEEZNS1_11reduce_implILb1ES3_PlS7_lN6hipcub16HIPCUB_304000_NS6detail34convert_binary_result_type_wrapperINS9_3SumENS9_22TransformInputIteratorIb7NonZeroIsEPslEElEEEE10hipError_tPvRmT1_T2_T3_mT4_P12ihipStream_tbEUlT_E0_NS1_11comp_targetILNS1_3genE10ELNS1_11target_archE1201ELNS1_3gpuE5ELNS1_3repE0EEENS1_30default_config_static_selectorELNS0_4arch9wavefront6targetE1EEEvSM_.num_vgpr, 0
	.set _ZN7rocprim17ROCPRIM_400000_NS6detail17trampoline_kernelINS0_14default_configENS1_22reduce_config_selectorIlEEZNS1_11reduce_implILb1ES3_PlS7_lN6hipcub16HIPCUB_304000_NS6detail34convert_binary_result_type_wrapperINS9_3SumENS9_22TransformInputIteratorIb7NonZeroIsEPslEElEEEE10hipError_tPvRmT1_T2_T3_mT4_P12ihipStream_tbEUlT_E0_NS1_11comp_targetILNS1_3genE10ELNS1_11target_archE1201ELNS1_3gpuE5ELNS1_3repE0EEENS1_30default_config_static_selectorELNS0_4arch9wavefront6targetE1EEEvSM_.num_agpr, 0
	.set _ZN7rocprim17ROCPRIM_400000_NS6detail17trampoline_kernelINS0_14default_configENS1_22reduce_config_selectorIlEEZNS1_11reduce_implILb1ES3_PlS7_lN6hipcub16HIPCUB_304000_NS6detail34convert_binary_result_type_wrapperINS9_3SumENS9_22TransformInputIteratorIb7NonZeroIsEPslEElEEEE10hipError_tPvRmT1_T2_T3_mT4_P12ihipStream_tbEUlT_E0_NS1_11comp_targetILNS1_3genE10ELNS1_11target_archE1201ELNS1_3gpuE5ELNS1_3repE0EEENS1_30default_config_static_selectorELNS0_4arch9wavefront6targetE1EEEvSM_.numbered_sgpr, 0
	.set _ZN7rocprim17ROCPRIM_400000_NS6detail17trampoline_kernelINS0_14default_configENS1_22reduce_config_selectorIlEEZNS1_11reduce_implILb1ES3_PlS7_lN6hipcub16HIPCUB_304000_NS6detail34convert_binary_result_type_wrapperINS9_3SumENS9_22TransformInputIteratorIb7NonZeroIsEPslEElEEEE10hipError_tPvRmT1_T2_T3_mT4_P12ihipStream_tbEUlT_E0_NS1_11comp_targetILNS1_3genE10ELNS1_11target_archE1201ELNS1_3gpuE5ELNS1_3repE0EEENS1_30default_config_static_selectorELNS0_4arch9wavefront6targetE1EEEvSM_.num_named_barrier, 0
	.set _ZN7rocprim17ROCPRIM_400000_NS6detail17trampoline_kernelINS0_14default_configENS1_22reduce_config_selectorIlEEZNS1_11reduce_implILb1ES3_PlS7_lN6hipcub16HIPCUB_304000_NS6detail34convert_binary_result_type_wrapperINS9_3SumENS9_22TransformInputIteratorIb7NonZeroIsEPslEElEEEE10hipError_tPvRmT1_T2_T3_mT4_P12ihipStream_tbEUlT_E0_NS1_11comp_targetILNS1_3genE10ELNS1_11target_archE1201ELNS1_3gpuE5ELNS1_3repE0EEENS1_30default_config_static_selectorELNS0_4arch9wavefront6targetE1EEEvSM_.private_seg_size, 0
	.set _ZN7rocprim17ROCPRIM_400000_NS6detail17trampoline_kernelINS0_14default_configENS1_22reduce_config_selectorIlEEZNS1_11reduce_implILb1ES3_PlS7_lN6hipcub16HIPCUB_304000_NS6detail34convert_binary_result_type_wrapperINS9_3SumENS9_22TransformInputIteratorIb7NonZeroIsEPslEElEEEE10hipError_tPvRmT1_T2_T3_mT4_P12ihipStream_tbEUlT_E0_NS1_11comp_targetILNS1_3genE10ELNS1_11target_archE1201ELNS1_3gpuE5ELNS1_3repE0EEENS1_30default_config_static_selectorELNS0_4arch9wavefront6targetE1EEEvSM_.uses_vcc, 0
	.set _ZN7rocprim17ROCPRIM_400000_NS6detail17trampoline_kernelINS0_14default_configENS1_22reduce_config_selectorIlEEZNS1_11reduce_implILb1ES3_PlS7_lN6hipcub16HIPCUB_304000_NS6detail34convert_binary_result_type_wrapperINS9_3SumENS9_22TransformInputIteratorIb7NonZeroIsEPslEElEEEE10hipError_tPvRmT1_T2_T3_mT4_P12ihipStream_tbEUlT_E0_NS1_11comp_targetILNS1_3genE10ELNS1_11target_archE1201ELNS1_3gpuE5ELNS1_3repE0EEENS1_30default_config_static_selectorELNS0_4arch9wavefront6targetE1EEEvSM_.uses_flat_scratch, 0
	.set _ZN7rocprim17ROCPRIM_400000_NS6detail17trampoline_kernelINS0_14default_configENS1_22reduce_config_selectorIlEEZNS1_11reduce_implILb1ES3_PlS7_lN6hipcub16HIPCUB_304000_NS6detail34convert_binary_result_type_wrapperINS9_3SumENS9_22TransformInputIteratorIb7NonZeroIsEPslEElEEEE10hipError_tPvRmT1_T2_T3_mT4_P12ihipStream_tbEUlT_E0_NS1_11comp_targetILNS1_3genE10ELNS1_11target_archE1201ELNS1_3gpuE5ELNS1_3repE0EEENS1_30default_config_static_selectorELNS0_4arch9wavefront6targetE1EEEvSM_.has_dyn_sized_stack, 0
	.set _ZN7rocprim17ROCPRIM_400000_NS6detail17trampoline_kernelINS0_14default_configENS1_22reduce_config_selectorIlEEZNS1_11reduce_implILb1ES3_PlS7_lN6hipcub16HIPCUB_304000_NS6detail34convert_binary_result_type_wrapperINS9_3SumENS9_22TransformInputIteratorIb7NonZeroIsEPslEElEEEE10hipError_tPvRmT1_T2_T3_mT4_P12ihipStream_tbEUlT_E0_NS1_11comp_targetILNS1_3genE10ELNS1_11target_archE1201ELNS1_3gpuE5ELNS1_3repE0EEENS1_30default_config_static_selectorELNS0_4arch9wavefront6targetE1EEEvSM_.has_recursion, 0
	.set _ZN7rocprim17ROCPRIM_400000_NS6detail17trampoline_kernelINS0_14default_configENS1_22reduce_config_selectorIlEEZNS1_11reduce_implILb1ES3_PlS7_lN6hipcub16HIPCUB_304000_NS6detail34convert_binary_result_type_wrapperINS9_3SumENS9_22TransformInputIteratorIb7NonZeroIsEPslEElEEEE10hipError_tPvRmT1_T2_T3_mT4_P12ihipStream_tbEUlT_E0_NS1_11comp_targetILNS1_3genE10ELNS1_11target_archE1201ELNS1_3gpuE5ELNS1_3repE0EEENS1_30default_config_static_selectorELNS0_4arch9wavefront6targetE1EEEvSM_.has_indirect_call, 0
	.section	.AMDGPU.csdata,"",@progbits
; Kernel info:
; codeLenInByte = 0
; TotalNumSgprs: 4
; NumVgprs: 0
; ScratchSize: 0
; MemoryBound: 0
; FloatMode: 240
; IeeeMode: 1
; LDSByteSize: 0 bytes/workgroup (compile time only)
; SGPRBlocks: 0
; VGPRBlocks: 0
; NumSGPRsForWavesPerEU: 4
; NumVGPRsForWavesPerEU: 1
; Occupancy: 10
; WaveLimiterHint : 0
; COMPUTE_PGM_RSRC2:SCRATCH_EN: 0
; COMPUTE_PGM_RSRC2:USER_SGPR: 6
; COMPUTE_PGM_RSRC2:TRAP_HANDLER: 0
; COMPUTE_PGM_RSRC2:TGID_X_EN: 1
; COMPUTE_PGM_RSRC2:TGID_Y_EN: 0
; COMPUTE_PGM_RSRC2:TGID_Z_EN: 0
; COMPUTE_PGM_RSRC2:TIDIG_COMP_CNT: 0
	.section	.text._ZN7rocprim17ROCPRIM_400000_NS6detail17trampoline_kernelINS0_14default_configENS1_22reduce_config_selectorIlEEZNS1_11reduce_implILb1ES3_PlS7_lN6hipcub16HIPCUB_304000_NS6detail34convert_binary_result_type_wrapperINS9_3SumENS9_22TransformInputIteratorIb7NonZeroIsEPslEElEEEE10hipError_tPvRmT1_T2_T3_mT4_P12ihipStream_tbEUlT_E0_NS1_11comp_targetILNS1_3genE10ELNS1_11target_archE1200ELNS1_3gpuE4ELNS1_3repE0EEENS1_30default_config_static_selectorELNS0_4arch9wavefront6targetE1EEEvSM_,"axG",@progbits,_ZN7rocprim17ROCPRIM_400000_NS6detail17trampoline_kernelINS0_14default_configENS1_22reduce_config_selectorIlEEZNS1_11reduce_implILb1ES3_PlS7_lN6hipcub16HIPCUB_304000_NS6detail34convert_binary_result_type_wrapperINS9_3SumENS9_22TransformInputIteratorIb7NonZeroIsEPslEElEEEE10hipError_tPvRmT1_T2_T3_mT4_P12ihipStream_tbEUlT_E0_NS1_11comp_targetILNS1_3genE10ELNS1_11target_archE1200ELNS1_3gpuE4ELNS1_3repE0EEENS1_30default_config_static_selectorELNS0_4arch9wavefront6targetE1EEEvSM_,comdat
	.protected	_ZN7rocprim17ROCPRIM_400000_NS6detail17trampoline_kernelINS0_14default_configENS1_22reduce_config_selectorIlEEZNS1_11reduce_implILb1ES3_PlS7_lN6hipcub16HIPCUB_304000_NS6detail34convert_binary_result_type_wrapperINS9_3SumENS9_22TransformInputIteratorIb7NonZeroIsEPslEElEEEE10hipError_tPvRmT1_T2_T3_mT4_P12ihipStream_tbEUlT_E0_NS1_11comp_targetILNS1_3genE10ELNS1_11target_archE1200ELNS1_3gpuE4ELNS1_3repE0EEENS1_30default_config_static_selectorELNS0_4arch9wavefront6targetE1EEEvSM_ ; -- Begin function _ZN7rocprim17ROCPRIM_400000_NS6detail17trampoline_kernelINS0_14default_configENS1_22reduce_config_selectorIlEEZNS1_11reduce_implILb1ES3_PlS7_lN6hipcub16HIPCUB_304000_NS6detail34convert_binary_result_type_wrapperINS9_3SumENS9_22TransformInputIteratorIb7NonZeroIsEPslEElEEEE10hipError_tPvRmT1_T2_T3_mT4_P12ihipStream_tbEUlT_E0_NS1_11comp_targetILNS1_3genE10ELNS1_11target_archE1200ELNS1_3gpuE4ELNS1_3repE0EEENS1_30default_config_static_selectorELNS0_4arch9wavefront6targetE1EEEvSM_
	.globl	_ZN7rocprim17ROCPRIM_400000_NS6detail17trampoline_kernelINS0_14default_configENS1_22reduce_config_selectorIlEEZNS1_11reduce_implILb1ES3_PlS7_lN6hipcub16HIPCUB_304000_NS6detail34convert_binary_result_type_wrapperINS9_3SumENS9_22TransformInputIteratorIb7NonZeroIsEPslEElEEEE10hipError_tPvRmT1_T2_T3_mT4_P12ihipStream_tbEUlT_E0_NS1_11comp_targetILNS1_3genE10ELNS1_11target_archE1200ELNS1_3gpuE4ELNS1_3repE0EEENS1_30default_config_static_selectorELNS0_4arch9wavefront6targetE1EEEvSM_
	.p2align	8
	.type	_ZN7rocprim17ROCPRIM_400000_NS6detail17trampoline_kernelINS0_14default_configENS1_22reduce_config_selectorIlEEZNS1_11reduce_implILb1ES3_PlS7_lN6hipcub16HIPCUB_304000_NS6detail34convert_binary_result_type_wrapperINS9_3SumENS9_22TransformInputIteratorIb7NonZeroIsEPslEElEEEE10hipError_tPvRmT1_T2_T3_mT4_P12ihipStream_tbEUlT_E0_NS1_11comp_targetILNS1_3genE10ELNS1_11target_archE1200ELNS1_3gpuE4ELNS1_3repE0EEENS1_30default_config_static_selectorELNS0_4arch9wavefront6targetE1EEEvSM_,@function
_ZN7rocprim17ROCPRIM_400000_NS6detail17trampoline_kernelINS0_14default_configENS1_22reduce_config_selectorIlEEZNS1_11reduce_implILb1ES3_PlS7_lN6hipcub16HIPCUB_304000_NS6detail34convert_binary_result_type_wrapperINS9_3SumENS9_22TransformInputIteratorIb7NonZeroIsEPslEElEEEE10hipError_tPvRmT1_T2_T3_mT4_P12ihipStream_tbEUlT_E0_NS1_11comp_targetILNS1_3genE10ELNS1_11target_archE1200ELNS1_3gpuE4ELNS1_3repE0EEENS1_30default_config_static_selectorELNS0_4arch9wavefront6targetE1EEEvSM_: ; @_ZN7rocprim17ROCPRIM_400000_NS6detail17trampoline_kernelINS0_14default_configENS1_22reduce_config_selectorIlEEZNS1_11reduce_implILb1ES3_PlS7_lN6hipcub16HIPCUB_304000_NS6detail34convert_binary_result_type_wrapperINS9_3SumENS9_22TransformInputIteratorIb7NonZeroIsEPslEElEEEE10hipError_tPvRmT1_T2_T3_mT4_P12ihipStream_tbEUlT_E0_NS1_11comp_targetILNS1_3genE10ELNS1_11target_archE1200ELNS1_3gpuE4ELNS1_3repE0EEENS1_30default_config_static_selectorELNS0_4arch9wavefront6targetE1EEEvSM_
; %bb.0:
	.section	.rodata,"a",@progbits
	.p2align	6, 0x0
	.amdhsa_kernel _ZN7rocprim17ROCPRIM_400000_NS6detail17trampoline_kernelINS0_14default_configENS1_22reduce_config_selectorIlEEZNS1_11reduce_implILb1ES3_PlS7_lN6hipcub16HIPCUB_304000_NS6detail34convert_binary_result_type_wrapperINS9_3SumENS9_22TransformInputIteratorIb7NonZeroIsEPslEElEEEE10hipError_tPvRmT1_T2_T3_mT4_P12ihipStream_tbEUlT_E0_NS1_11comp_targetILNS1_3genE10ELNS1_11target_archE1200ELNS1_3gpuE4ELNS1_3repE0EEENS1_30default_config_static_selectorELNS0_4arch9wavefront6targetE1EEEvSM_
		.amdhsa_group_segment_fixed_size 0
		.amdhsa_private_segment_fixed_size 0
		.amdhsa_kernarg_size 64
		.amdhsa_user_sgpr_count 6
		.amdhsa_user_sgpr_private_segment_buffer 1
		.amdhsa_user_sgpr_dispatch_ptr 0
		.amdhsa_user_sgpr_queue_ptr 0
		.amdhsa_user_sgpr_kernarg_segment_ptr 1
		.amdhsa_user_sgpr_dispatch_id 0
		.amdhsa_user_sgpr_flat_scratch_init 0
		.amdhsa_user_sgpr_private_segment_size 0
		.amdhsa_uses_dynamic_stack 0
		.amdhsa_system_sgpr_private_segment_wavefront_offset 0
		.amdhsa_system_sgpr_workgroup_id_x 1
		.amdhsa_system_sgpr_workgroup_id_y 0
		.amdhsa_system_sgpr_workgroup_id_z 0
		.amdhsa_system_sgpr_workgroup_info 0
		.amdhsa_system_vgpr_workitem_id 0
		.amdhsa_next_free_vgpr 1
		.amdhsa_next_free_sgpr 0
		.amdhsa_reserve_vcc 0
		.amdhsa_reserve_flat_scratch 0
		.amdhsa_float_round_mode_32 0
		.amdhsa_float_round_mode_16_64 0
		.amdhsa_float_denorm_mode_32 3
		.amdhsa_float_denorm_mode_16_64 3
		.amdhsa_dx10_clamp 1
		.amdhsa_ieee_mode 1
		.amdhsa_fp16_overflow 0
		.amdhsa_exception_fp_ieee_invalid_op 0
		.amdhsa_exception_fp_denorm_src 0
		.amdhsa_exception_fp_ieee_div_zero 0
		.amdhsa_exception_fp_ieee_overflow 0
		.amdhsa_exception_fp_ieee_underflow 0
		.amdhsa_exception_fp_ieee_inexact 0
		.amdhsa_exception_int_div_zero 0
	.end_amdhsa_kernel
	.section	.text._ZN7rocprim17ROCPRIM_400000_NS6detail17trampoline_kernelINS0_14default_configENS1_22reduce_config_selectorIlEEZNS1_11reduce_implILb1ES3_PlS7_lN6hipcub16HIPCUB_304000_NS6detail34convert_binary_result_type_wrapperINS9_3SumENS9_22TransformInputIteratorIb7NonZeroIsEPslEElEEEE10hipError_tPvRmT1_T2_T3_mT4_P12ihipStream_tbEUlT_E0_NS1_11comp_targetILNS1_3genE10ELNS1_11target_archE1200ELNS1_3gpuE4ELNS1_3repE0EEENS1_30default_config_static_selectorELNS0_4arch9wavefront6targetE1EEEvSM_,"axG",@progbits,_ZN7rocprim17ROCPRIM_400000_NS6detail17trampoline_kernelINS0_14default_configENS1_22reduce_config_selectorIlEEZNS1_11reduce_implILb1ES3_PlS7_lN6hipcub16HIPCUB_304000_NS6detail34convert_binary_result_type_wrapperINS9_3SumENS9_22TransformInputIteratorIb7NonZeroIsEPslEElEEEE10hipError_tPvRmT1_T2_T3_mT4_P12ihipStream_tbEUlT_E0_NS1_11comp_targetILNS1_3genE10ELNS1_11target_archE1200ELNS1_3gpuE4ELNS1_3repE0EEENS1_30default_config_static_selectorELNS0_4arch9wavefront6targetE1EEEvSM_,comdat
.Lfunc_end87:
	.size	_ZN7rocprim17ROCPRIM_400000_NS6detail17trampoline_kernelINS0_14default_configENS1_22reduce_config_selectorIlEEZNS1_11reduce_implILb1ES3_PlS7_lN6hipcub16HIPCUB_304000_NS6detail34convert_binary_result_type_wrapperINS9_3SumENS9_22TransformInputIteratorIb7NonZeroIsEPslEElEEEE10hipError_tPvRmT1_T2_T3_mT4_P12ihipStream_tbEUlT_E0_NS1_11comp_targetILNS1_3genE10ELNS1_11target_archE1200ELNS1_3gpuE4ELNS1_3repE0EEENS1_30default_config_static_selectorELNS0_4arch9wavefront6targetE1EEEvSM_, .Lfunc_end87-_ZN7rocprim17ROCPRIM_400000_NS6detail17trampoline_kernelINS0_14default_configENS1_22reduce_config_selectorIlEEZNS1_11reduce_implILb1ES3_PlS7_lN6hipcub16HIPCUB_304000_NS6detail34convert_binary_result_type_wrapperINS9_3SumENS9_22TransformInputIteratorIb7NonZeroIsEPslEElEEEE10hipError_tPvRmT1_T2_T3_mT4_P12ihipStream_tbEUlT_E0_NS1_11comp_targetILNS1_3genE10ELNS1_11target_archE1200ELNS1_3gpuE4ELNS1_3repE0EEENS1_30default_config_static_selectorELNS0_4arch9wavefront6targetE1EEEvSM_
                                        ; -- End function
	.set _ZN7rocprim17ROCPRIM_400000_NS6detail17trampoline_kernelINS0_14default_configENS1_22reduce_config_selectorIlEEZNS1_11reduce_implILb1ES3_PlS7_lN6hipcub16HIPCUB_304000_NS6detail34convert_binary_result_type_wrapperINS9_3SumENS9_22TransformInputIteratorIb7NonZeroIsEPslEElEEEE10hipError_tPvRmT1_T2_T3_mT4_P12ihipStream_tbEUlT_E0_NS1_11comp_targetILNS1_3genE10ELNS1_11target_archE1200ELNS1_3gpuE4ELNS1_3repE0EEENS1_30default_config_static_selectorELNS0_4arch9wavefront6targetE1EEEvSM_.num_vgpr, 0
	.set _ZN7rocprim17ROCPRIM_400000_NS6detail17trampoline_kernelINS0_14default_configENS1_22reduce_config_selectorIlEEZNS1_11reduce_implILb1ES3_PlS7_lN6hipcub16HIPCUB_304000_NS6detail34convert_binary_result_type_wrapperINS9_3SumENS9_22TransformInputIteratorIb7NonZeroIsEPslEElEEEE10hipError_tPvRmT1_T2_T3_mT4_P12ihipStream_tbEUlT_E0_NS1_11comp_targetILNS1_3genE10ELNS1_11target_archE1200ELNS1_3gpuE4ELNS1_3repE0EEENS1_30default_config_static_selectorELNS0_4arch9wavefront6targetE1EEEvSM_.num_agpr, 0
	.set _ZN7rocprim17ROCPRIM_400000_NS6detail17trampoline_kernelINS0_14default_configENS1_22reduce_config_selectorIlEEZNS1_11reduce_implILb1ES3_PlS7_lN6hipcub16HIPCUB_304000_NS6detail34convert_binary_result_type_wrapperINS9_3SumENS9_22TransformInputIteratorIb7NonZeroIsEPslEElEEEE10hipError_tPvRmT1_T2_T3_mT4_P12ihipStream_tbEUlT_E0_NS1_11comp_targetILNS1_3genE10ELNS1_11target_archE1200ELNS1_3gpuE4ELNS1_3repE0EEENS1_30default_config_static_selectorELNS0_4arch9wavefront6targetE1EEEvSM_.numbered_sgpr, 0
	.set _ZN7rocprim17ROCPRIM_400000_NS6detail17trampoline_kernelINS0_14default_configENS1_22reduce_config_selectorIlEEZNS1_11reduce_implILb1ES3_PlS7_lN6hipcub16HIPCUB_304000_NS6detail34convert_binary_result_type_wrapperINS9_3SumENS9_22TransformInputIteratorIb7NonZeroIsEPslEElEEEE10hipError_tPvRmT1_T2_T3_mT4_P12ihipStream_tbEUlT_E0_NS1_11comp_targetILNS1_3genE10ELNS1_11target_archE1200ELNS1_3gpuE4ELNS1_3repE0EEENS1_30default_config_static_selectorELNS0_4arch9wavefront6targetE1EEEvSM_.num_named_barrier, 0
	.set _ZN7rocprim17ROCPRIM_400000_NS6detail17trampoline_kernelINS0_14default_configENS1_22reduce_config_selectorIlEEZNS1_11reduce_implILb1ES3_PlS7_lN6hipcub16HIPCUB_304000_NS6detail34convert_binary_result_type_wrapperINS9_3SumENS9_22TransformInputIteratorIb7NonZeroIsEPslEElEEEE10hipError_tPvRmT1_T2_T3_mT4_P12ihipStream_tbEUlT_E0_NS1_11comp_targetILNS1_3genE10ELNS1_11target_archE1200ELNS1_3gpuE4ELNS1_3repE0EEENS1_30default_config_static_selectorELNS0_4arch9wavefront6targetE1EEEvSM_.private_seg_size, 0
	.set _ZN7rocprim17ROCPRIM_400000_NS6detail17trampoline_kernelINS0_14default_configENS1_22reduce_config_selectorIlEEZNS1_11reduce_implILb1ES3_PlS7_lN6hipcub16HIPCUB_304000_NS6detail34convert_binary_result_type_wrapperINS9_3SumENS9_22TransformInputIteratorIb7NonZeroIsEPslEElEEEE10hipError_tPvRmT1_T2_T3_mT4_P12ihipStream_tbEUlT_E0_NS1_11comp_targetILNS1_3genE10ELNS1_11target_archE1200ELNS1_3gpuE4ELNS1_3repE0EEENS1_30default_config_static_selectorELNS0_4arch9wavefront6targetE1EEEvSM_.uses_vcc, 0
	.set _ZN7rocprim17ROCPRIM_400000_NS6detail17trampoline_kernelINS0_14default_configENS1_22reduce_config_selectorIlEEZNS1_11reduce_implILb1ES3_PlS7_lN6hipcub16HIPCUB_304000_NS6detail34convert_binary_result_type_wrapperINS9_3SumENS9_22TransformInputIteratorIb7NonZeroIsEPslEElEEEE10hipError_tPvRmT1_T2_T3_mT4_P12ihipStream_tbEUlT_E0_NS1_11comp_targetILNS1_3genE10ELNS1_11target_archE1200ELNS1_3gpuE4ELNS1_3repE0EEENS1_30default_config_static_selectorELNS0_4arch9wavefront6targetE1EEEvSM_.uses_flat_scratch, 0
	.set _ZN7rocprim17ROCPRIM_400000_NS6detail17trampoline_kernelINS0_14default_configENS1_22reduce_config_selectorIlEEZNS1_11reduce_implILb1ES3_PlS7_lN6hipcub16HIPCUB_304000_NS6detail34convert_binary_result_type_wrapperINS9_3SumENS9_22TransformInputIteratorIb7NonZeroIsEPslEElEEEE10hipError_tPvRmT1_T2_T3_mT4_P12ihipStream_tbEUlT_E0_NS1_11comp_targetILNS1_3genE10ELNS1_11target_archE1200ELNS1_3gpuE4ELNS1_3repE0EEENS1_30default_config_static_selectorELNS0_4arch9wavefront6targetE1EEEvSM_.has_dyn_sized_stack, 0
	.set _ZN7rocprim17ROCPRIM_400000_NS6detail17trampoline_kernelINS0_14default_configENS1_22reduce_config_selectorIlEEZNS1_11reduce_implILb1ES3_PlS7_lN6hipcub16HIPCUB_304000_NS6detail34convert_binary_result_type_wrapperINS9_3SumENS9_22TransformInputIteratorIb7NonZeroIsEPslEElEEEE10hipError_tPvRmT1_T2_T3_mT4_P12ihipStream_tbEUlT_E0_NS1_11comp_targetILNS1_3genE10ELNS1_11target_archE1200ELNS1_3gpuE4ELNS1_3repE0EEENS1_30default_config_static_selectorELNS0_4arch9wavefront6targetE1EEEvSM_.has_recursion, 0
	.set _ZN7rocprim17ROCPRIM_400000_NS6detail17trampoline_kernelINS0_14default_configENS1_22reduce_config_selectorIlEEZNS1_11reduce_implILb1ES3_PlS7_lN6hipcub16HIPCUB_304000_NS6detail34convert_binary_result_type_wrapperINS9_3SumENS9_22TransformInputIteratorIb7NonZeroIsEPslEElEEEE10hipError_tPvRmT1_T2_T3_mT4_P12ihipStream_tbEUlT_E0_NS1_11comp_targetILNS1_3genE10ELNS1_11target_archE1200ELNS1_3gpuE4ELNS1_3repE0EEENS1_30default_config_static_selectorELNS0_4arch9wavefront6targetE1EEEvSM_.has_indirect_call, 0
	.section	.AMDGPU.csdata,"",@progbits
; Kernel info:
; codeLenInByte = 0
; TotalNumSgprs: 4
; NumVgprs: 0
; ScratchSize: 0
; MemoryBound: 0
; FloatMode: 240
; IeeeMode: 1
; LDSByteSize: 0 bytes/workgroup (compile time only)
; SGPRBlocks: 0
; VGPRBlocks: 0
; NumSGPRsForWavesPerEU: 4
; NumVGPRsForWavesPerEU: 1
; Occupancy: 10
; WaveLimiterHint : 0
; COMPUTE_PGM_RSRC2:SCRATCH_EN: 0
; COMPUTE_PGM_RSRC2:USER_SGPR: 6
; COMPUTE_PGM_RSRC2:TRAP_HANDLER: 0
; COMPUTE_PGM_RSRC2:TGID_X_EN: 1
; COMPUTE_PGM_RSRC2:TGID_Y_EN: 0
; COMPUTE_PGM_RSRC2:TGID_Z_EN: 0
; COMPUTE_PGM_RSRC2:TIDIG_COMP_CNT: 0
	.section	.text._ZN7rocprim17ROCPRIM_400000_NS6detail17trampoline_kernelINS0_14default_configENS1_22reduce_config_selectorIlEEZNS1_11reduce_implILb1ES3_PlS7_lN6hipcub16HIPCUB_304000_NS6detail34convert_binary_result_type_wrapperINS9_3SumENS9_22TransformInputIteratorIb7NonZeroIsEPslEElEEEE10hipError_tPvRmT1_T2_T3_mT4_P12ihipStream_tbEUlT_E0_NS1_11comp_targetILNS1_3genE9ELNS1_11target_archE1100ELNS1_3gpuE3ELNS1_3repE0EEENS1_30default_config_static_selectorELNS0_4arch9wavefront6targetE1EEEvSM_,"axG",@progbits,_ZN7rocprim17ROCPRIM_400000_NS6detail17trampoline_kernelINS0_14default_configENS1_22reduce_config_selectorIlEEZNS1_11reduce_implILb1ES3_PlS7_lN6hipcub16HIPCUB_304000_NS6detail34convert_binary_result_type_wrapperINS9_3SumENS9_22TransformInputIteratorIb7NonZeroIsEPslEElEEEE10hipError_tPvRmT1_T2_T3_mT4_P12ihipStream_tbEUlT_E0_NS1_11comp_targetILNS1_3genE9ELNS1_11target_archE1100ELNS1_3gpuE3ELNS1_3repE0EEENS1_30default_config_static_selectorELNS0_4arch9wavefront6targetE1EEEvSM_,comdat
	.protected	_ZN7rocprim17ROCPRIM_400000_NS6detail17trampoline_kernelINS0_14default_configENS1_22reduce_config_selectorIlEEZNS1_11reduce_implILb1ES3_PlS7_lN6hipcub16HIPCUB_304000_NS6detail34convert_binary_result_type_wrapperINS9_3SumENS9_22TransformInputIteratorIb7NonZeroIsEPslEElEEEE10hipError_tPvRmT1_T2_T3_mT4_P12ihipStream_tbEUlT_E0_NS1_11comp_targetILNS1_3genE9ELNS1_11target_archE1100ELNS1_3gpuE3ELNS1_3repE0EEENS1_30default_config_static_selectorELNS0_4arch9wavefront6targetE1EEEvSM_ ; -- Begin function _ZN7rocprim17ROCPRIM_400000_NS6detail17trampoline_kernelINS0_14default_configENS1_22reduce_config_selectorIlEEZNS1_11reduce_implILb1ES3_PlS7_lN6hipcub16HIPCUB_304000_NS6detail34convert_binary_result_type_wrapperINS9_3SumENS9_22TransformInputIteratorIb7NonZeroIsEPslEElEEEE10hipError_tPvRmT1_T2_T3_mT4_P12ihipStream_tbEUlT_E0_NS1_11comp_targetILNS1_3genE9ELNS1_11target_archE1100ELNS1_3gpuE3ELNS1_3repE0EEENS1_30default_config_static_selectorELNS0_4arch9wavefront6targetE1EEEvSM_
	.globl	_ZN7rocprim17ROCPRIM_400000_NS6detail17trampoline_kernelINS0_14default_configENS1_22reduce_config_selectorIlEEZNS1_11reduce_implILb1ES3_PlS7_lN6hipcub16HIPCUB_304000_NS6detail34convert_binary_result_type_wrapperINS9_3SumENS9_22TransformInputIteratorIb7NonZeroIsEPslEElEEEE10hipError_tPvRmT1_T2_T3_mT4_P12ihipStream_tbEUlT_E0_NS1_11comp_targetILNS1_3genE9ELNS1_11target_archE1100ELNS1_3gpuE3ELNS1_3repE0EEENS1_30default_config_static_selectorELNS0_4arch9wavefront6targetE1EEEvSM_
	.p2align	8
	.type	_ZN7rocprim17ROCPRIM_400000_NS6detail17trampoline_kernelINS0_14default_configENS1_22reduce_config_selectorIlEEZNS1_11reduce_implILb1ES3_PlS7_lN6hipcub16HIPCUB_304000_NS6detail34convert_binary_result_type_wrapperINS9_3SumENS9_22TransformInputIteratorIb7NonZeroIsEPslEElEEEE10hipError_tPvRmT1_T2_T3_mT4_P12ihipStream_tbEUlT_E0_NS1_11comp_targetILNS1_3genE9ELNS1_11target_archE1100ELNS1_3gpuE3ELNS1_3repE0EEENS1_30default_config_static_selectorELNS0_4arch9wavefront6targetE1EEEvSM_,@function
_ZN7rocprim17ROCPRIM_400000_NS6detail17trampoline_kernelINS0_14default_configENS1_22reduce_config_selectorIlEEZNS1_11reduce_implILb1ES3_PlS7_lN6hipcub16HIPCUB_304000_NS6detail34convert_binary_result_type_wrapperINS9_3SumENS9_22TransformInputIteratorIb7NonZeroIsEPslEElEEEE10hipError_tPvRmT1_T2_T3_mT4_P12ihipStream_tbEUlT_E0_NS1_11comp_targetILNS1_3genE9ELNS1_11target_archE1100ELNS1_3gpuE3ELNS1_3repE0EEENS1_30default_config_static_selectorELNS0_4arch9wavefront6targetE1EEEvSM_: ; @_ZN7rocprim17ROCPRIM_400000_NS6detail17trampoline_kernelINS0_14default_configENS1_22reduce_config_selectorIlEEZNS1_11reduce_implILb1ES3_PlS7_lN6hipcub16HIPCUB_304000_NS6detail34convert_binary_result_type_wrapperINS9_3SumENS9_22TransformInputIteratorIb7NonZeroIsEPslEElEEEE10hipError_tPvRmT1_T2_T3_mT4_P12ihipStream_tbEUlT_E0_NS1_11comp_targetILNS1_3genE9ELNS1_11target_archE1100ELNS1_3gpuE3ELNS1_3repE0EEENS1_30default_config_static_selectorELNS0_4arch9wavefront6targetE1EEEvSM_
; %bb.0:
	.section	.rodata,"a",@progbits
	.p2align	6, 0x0
	.amdhsa_kernel _ZN7rocprim17ROCPRIM_400000_NS6detail17trampoline_kernelINS0_14default_configENS1_22reduce_config_selectorIlEEZNS1_11reduce_implILb1ES3_PlS7_lN6hipcub16HIPCUB_304000_NS6detail34convert_binary_result_type_wrapperINS9_3SumENS9_22TransformInputIteratorIb7NonZeroIsEPslEElEEEE10hipError_tPvRmT1_T2_T3_mT4_P12ihipStream_tbEUlT_E0_NS1_11comp_targetILNS1_3genE9ELNS1_11target_archE1100ELNS1_3gpuE3ELNS1_3repE0EEENS1_30default_config_static_selectorELNS0_4arch9wavefront6targetE1EEEvSM_
		.amdhsa_group_segment_fixed_size 0
		.amdhsa_private_segment_fixed_size 0
		.amdhsa_kernarg_size 64
		.amdhsa_user_sgpr_count 6
		.amdhsa_user_sgpr_private_segment_buffer 1
		.amdhsa_user_sgpr_dispatch_ptr 0
		.amdhsa_user_sgpr_queue_ptr 0
		.amdhsa_user_sgpr_kernarg_segment_ptr 1
		.amdhsa_user_sgpr_dispatch_id 0
		.amdhsa_user_sgpr_flat_scratch_init 0
		.amdhsa_user_sgpr_private_segment_size 0
		.amdhsa_uses_dynamic_stack 0
		.amdhsa_system_sgpr_private_segment_wavefront_offset 0
		.amdhsa_system_sgpr_workgroup_id_x 1
		.amdhsa_system_sgpr_workgroup_id_y 0
		.amdhsa_system_sgpr_workgroup_id_z 0
		.amdhsa_system_sgpr_workgroup_info 0
		.amdhsa_system_vgpr_workitem_id 0
		.amdhsa_next_free_vgpr 1
		.amdhsa_next_free_sgpr 0
		.amdhsa_reserve_vcc 0
		.amdhsa_reserve_flat_scratch 0
		.amdhsa_float_round_mode_32 0
		.amdhsa_float_round_mode_16_64 0
		.amdhsa_float_denorm_mode_32 3
		.amdhsa_float_denorm_mode_16_64 3
		.amdhsa_dx10_clamp 1
		.amdhsa_ieee_mode 1
		.amdhsa_fp16_overflow 0
		.amdhsa_exception_fp_ieee_invalid_op 0
		.amdhsa_exception_fp_denorm_src 0
		.amdhsa_exception_fp_ieee_div_zero 0
		.amdhsa_exception_fp_ieee_overflow 0
		.amdhsa_exception_fp_ieee_underflow 0
		.amdhsa_exception_fp_ieee_inexact 0
		.amdhsa_exception_int_div_zero 0
	.end_amdhsa_kernel
	.section	.text._ZN7rocprim17ROCPRIM_400000_NS6detail17trampoline_kernelINS0_14default_configENS1_22reduce_config_selectorIlEEZNS1_11reduce_implILb1ES3_PlS7_lN6hipcub16HIPCUB_304000_NS6detail34convert_binary_result_type_wrapperINS9_3SumENS9_22TransformInputIteratorIb7NonZeroIsEPslEElEEEE10hipError_tPvRmT1_T2_T3_mT4_P12ihipStream_tbEUlT_E0_NS1_11comp_targetILNS1_3genE9ELNS1_11target_archE1100ELNS1_3gpuE3ELNS1_3repE0EEENS1_30default_config_static_selectorELNS0_4arch9wavefront6targetE1EEEvSM_,"axG",@progbits,_ZN7rocprim17ROCPRIM_400000_NS6detail17trampoline_kernelINS0_14default_configENS1_22reduce_config_selectorIlEEZNS1_11reduce_implILb1ES3_PlS7_lN6hipcub16HIPCUB_304000_NS6detail34convert_binary_result_type_wrapperINS9_3SumENS9_22TransformInputIteratorIb7NonZeroIsEPslEElEEEE10hipError_tPvRmT1_T2_T3_mT4_P12ihipStream_tbEUlT_E0_NS1_11comp_targetILNS1_3genE9ELNS1_11target_archE1100ELNS1_3gpuE3ELNS1_3repE0EEENS1_30default_config_static_selectorELNS0_4arch9wavefront6targetE1EEEvSM_,comdat
.Lfunc_end88:
	.size	_ZN7rocprim17ROCPRIM_400000_NS6detail17trampoline_kernelINS0_14default_configENS1_22reduce_config_selectorIlEEZNS1_11reduce_implILb1ES3_PlS7_lN6hipcub16HIPCUB_304000_NS6detail34convert_binary_result_type_wrapperINS9_3SumENS9_22TransformInputIteratorIb7NonZeroIsEPslEElEEEE10hipError_tPvRmT1_T2_T3_mT4_P12ihipStream_tbEUlT_E0_NS1_11comp_targetILNS1_3genE9ELNS1_11target_archE1100ELNS1_3gpuE3ELNS1_3repE0EEENS1_30default_config_static_selectorELNS0_4arch9wavefront6targetE1EEEvSM_, .Lfunc_end88-_ZN7rocprim17ROCPRIM_400000_NS6detail17trampoline_kernelINS0_14default_configENS1_22reduce_config_selectorIlEEZNS1_11reduce_implILb1ES3_PlS7_lN6hipcub16HIPCUB_304000_NS6detail34convert_binary_result_type_wrapperINS9_3SumENS9_22TransformInputIteratorIb7NonZeroIsEPslEElEEEE10hipError_tPvRmT1_T2_T3_mT4_P12ihipStream_tbEUlT_E0_NS1_11comp_targetILNS1_3genE9ELNS1_11target_archE1100ELNS1_3gpuE3ELNS1_3repE0EEENS1_30default_config_static_selectorELNS0_4arch9wavefront6targetE1EEEvSM_
                                        ; -- End function
	.set _ZN7rocprim17ROCPRIM_400000_NS6detail17trampoline_kernelINS0_14default_configENS1_22reduce_config_selectorIlEEZNS1_11reduce_implILb1ES3_PlS7_lN6hipcub16HIPCUB_304000_NS6detail34convert_binary_result_type_wrapperINS9_3SumENS9_22TransformInputIteratorIb7NonZeroIsEPslEElEEEE10hipError_tPvRmT1_T2_T3_mT4_P12ihipStream_tbEUlT_E0_NS1_11comp_targetILNS1_3genE9ELNS1_11target_archE1100ELNS1_3gpuE3ELNS1_3repE0EEENS1_30default_config_static_selectorELNS0_4arch9wavefront6targetE1EEEvSM_.num_vgpr, 0
	.set _ZN7rocprim17ROCPRIM_400000_NS6detail17trampoline_kernelINS0_14default_configENS1_22reduce_config_selectorIlEEZNS1_11reduce_implILb1ES3_PlS7_lN6hipcub16HIPCUB_304000_NS6detail34convert_binary_result_type_wrapperINS9_3SumENS9_22TransformInputIteratorIb7NonZeroIsEPslEElEEEE10hipError_tPvRmT1_T2_T3_mT4_P12ihipStream_tbEUlT_E0_NS1_11comp_targetILNS1_3genE9ELNS1_11target_archE1100ELNS1_3gpuE3ELNS1_3repE0EEENS1_30default_config_static_selectorELNS0_4arch9wavefront6targetE1EEEvSM_.num_agpr, 0
	.set _ZN7rocprim17ROCPRIM_400000_NS6detail17trampoline_kernelINS0_14default_configENS1_22reduce_config_selectorIlEEZNS1_11reduce_implILb1ES3_PlS7_lN6hipcub16HIPCUB_304000_NS6detail34convert_binary_result_type_wrapperINS9_3SumENS9_22TransformInputIteratorIb7NonZeroIsEPslEElEEEE10hipError_tPvRmT1_T2_T3_mT4_P12ihipStream_tbEUlT_E0_NS1_11comp_targetILNS1_3genE9ELNS1_11target_archE1100ELNS1_3gpuE3ELNS1_3repE0EEENS1_30default_config_static_selectorELNS0_4arch9wavefront6targetE1EEEvSM_.numbered_sgpr, 0
	.set _ZN7rocprim17ROCPRIM_400000_NS6detail17trampoline_kernelINS0_14default_configENS1_22reduce_config_selectorIlEEZNS1_11reduce_implILb1ES3_PlS7_lN6hipcub16HIPCUB_304000_NS6detail34convert_binary_result_type_wrapperINS9_3SumENS9_22TransformInputIteratorIb7NonZeroIsEPslEElEEEE10hipError_tPvRmT1_T2_T3_mT4_P12ihipStream_tbEUlT_E0_NS1_11comp_targetILNS1_3genE9ELNS1_11target_archE1100ELNS1_3gpuE3ELNS1_3repE0EEENS1_30default_config_static_selectorELNS0_4arch9wavefront6targetE1EEEvSM_.num_named_barrier, 0
	.set _ZN7rocprim17ROCPRIM_400000_NS6detail17trampoline_kernelINS0_14default_configENS1_22reduce_config_selectorIlEEZNS1_11reduce_implILb1ES3_PlS7_lN6hipcub16HIPCUB_304000_NS6detail34convert_binary_result_type_wrapperINS9_3SumENS9_22TransformInputIteratorIb7NonZeroIsEPslEElEEEE10hipError_tPvRmT1_T2_T3_mT4_P12ihipStream_tbEUlT_E0_NS1_11comp_targetILNS1_3genE9ELNS1_11target_archE1100ELNS1_3gpuE3ELNS1_3repE0EEENS1_30default_config_static_selectorELNS0_4arch9wavefront6targetE1EEEvSM_.private_seg_size, 0
	.set _ZN7rocprim17ROCPRIM_400000_NS6detail17trampoline_kernelINS0_14default_configENS1_22reduce_config_selectorIlEEZNS1_11reduce_implILb1ES3_PlS7_lN6hipcub16HIPCUB_304000_NS6detail34convert_binary_result_type_wrapperINS9_3SumENS9_22TransformInputIteratorIb7NonZeroIsEPslEElEEEE10hipError_tPvRmT1_T2_T3_mT4_P12ihipStream_tbEUlT_E0_NS1_11comp_targetILNS1_3genE9ELNS1_11target_archE1100ELNS1_3gpuE3ELNS1_3repE0EEENS1_30default_config_static_selectorELNS0_4arch9wavefront6targetE1EEEvSM_.uses_vcc, 0
	.set _ZN7rocprim17ROCPRIM_400000_NS6detail17trampoline_kernelINS0_14default_configENS1_22reduce_config_selectorIlEEZNS1_11reduce_implILb1ES3_PlS7_lN6hipcub16HIPCUB_304000_NS6detail34convert_binary_result_type_wrapperINS9_3SumENS9_22TransformInputIteratorIb7NonZeroIsEPslEElEEEE10hipError_tPvRmT1_T2_T3_mT4_P12ihipStream_tbEUlT_E0_NS1_11comp_targetILNS1_3genE9ELNS1_11target_archE1100ELNS1_3gpuE3ELNS1_3repE0EEENS1_30default_config_static_selectorELNS0_4arch9wavefront6targetE1EEEvSM_.uses_flat_scratch, 0
	.set _ZN7rocprim17ROCPRIM_400000_NS6detail17trampoline_kernelINS0_14default_configENS1_22reduce_config_selectorIlEEZNS1_11reduce_implILb1ES3_PlS7_lN6hipcub16HIPCUB_304000_NS6detail34convert_binary_result_type_wrapperINS9_3SumENS9_22TransformInputIteratorIb7NonZeroIsEPslEElEEEE10hipError_tPvRmT1_T2_T3_mT4_P12ihipStream_tbEUlT_E0_NS1_11comp_targetILNS1_3genE9ELNS1_11target_archE1100ELNS1_3gpuE3ELNS1_3repE0EEENS1_30default_config_static_selectorELNS0_4arch9wavefront6targetE1EEEvSM_.has_dyn_sized_stack, 0
	.set _ZN7rocprim17ROCPRIM_400000_NS6detail17trampoline_kernelINS0_14default_configENS1_22reduce_config_selectorIlEEZNS1_11reduce_implILb1ES3_PlS7_lN6hipcub16HIPCUB_304000_NS6detail34convert_binary_result_type_wrapperINS9_3SumENS9_22TransformInputIteratorIb7NonZeroIsEPslEElEEEE10hipError_tPvRmT1_T2_T3_mT4_P12ihipStream_tbEUlT_E0_NS1_11comp_targetILNS1_3genE9ELNS1_11target_archE1100ELNS1_3gpuE3ELNS1_3repE0EEENS1_30default_config_static_selectorELNS0_4arch9wavefront6targetE1EEEvSM_.has_recursion, 0
	.set _ZN7rocprim17ROCPRIM_400000_NS6detail17trampoline_kernelINS0_14default_configENS1_22reduce_config_selectorIlEEZNS1_11reduce_implILb1ES3_PlS7_lN6hipcub16HIPCUB_304000_NS6detail34convert_binary_result_type_wrapperINS9_3SumENS9_22TransformInputIteratorIb7NonZeroIsEPslEElEEEE10hipError_tPvRmT1_T2_T3_mT4_P12ihipStream_tbEUlT_E0_NS1_11comp_targetILNS1_3genE9ELNS1_11target_archE1100ELNS1_3gpuE3ELNS1_3repE0EEENS1_30default_config_static_selectorELNS0_4arch9wavefront6targetE1EEEvSM_.has_indirect_call, 0
	.section	.AMDGPU.csdata,"",@progbits
; Kernel info:
; codeLenInByte = 0
; TotalNumSgprs: 4
; NumVgprs: 0
; ScratchSize: 0
; MemoryBound: 0
; FloatMode: 240
; IeeeMode: 1
; LDSByteSize: 0 bytes/workgroup (compile time only)
; SGPRBlocks: 0
; VGPRBlocks: 0
; NumSGPRsForWavesPerEU: 4
; NumVGPRsForWavesPerEU: 1
; Occupancy: 10
; WaveLimiterHint : 0
; COMPUTE_PGM_RSRC2:SCRATCH_EN: 0
; COMPUTE_PGM_RSRC2:USER_SGPR: 6
; COMPUTE_PGM_RSRC2:TRAP_HANDLER: 0
; COMPUTE_PGM_RSRC2:TGID_X_EN: 1
; COMPUTE_PGM_RSRC2:TGID_Y_EN: 0
; COMPUTE_PGM_RSRC2:TGID_Z_EN: 0
; COMPUTE_PGM_RSRC2:TIDIG_COMP_CNT: 0
	.section	.text._ZN7rocprim17ROCPRIM_400000_NS6detail17trampoline_kernelINS0_14default_configENS1_22reduce_config_selectorIlEEZNS1_11reduce_implILb1ES3_PlS7_lN6hipcub16HIPCUB_304000_NS6detail34convert_binary_result_type_wrapperINS9_3SumENS9_22TransformInputIteratorIb7NonZeroIsEPslEElEEEE10hipError_tPvRmT1_T2_T3_mT4_P12ihipStream_tbEUlT_E0_NS1_11comp_targetILNS1_3genE8ELNS1_11target_archE1030ELNS1_3gpuE2ELNS1_3repE0EEENS1_30default_config_static_selectorELNS0_4arch9wavefront6targetE1EEEvSM_,"axG",@progbits,_ZN7rocprim17ROCPRIM_400000_NS6detail17trampoline_kernelINS0_14default_configENS1_22reduce_config_selectorIlEEZNS1_11reduce_implILb1ES3_PlS7_lN6hipcub16HIPCUB_304000_NS6detail34convert_binary_result_type_wrapperINS9_3SumENS9_22TransformInputIteratorIb7NonZeroIsEPslEElEEEE10hipError_tPvRmT1_T2_T3_mT4_P12ihipStream_tbEUlT_E0_NS1_11comp_targetILNS1_3genE8ELNS1_11target_archE1030ELNS1_3gpuE2ELNS1_3repE0EEENS1_30default_config_static_selectorELNS0_4arch9wavefront6targetE1EEEvSM_,comdat
	.protected	_ZN7rocprim17ROCPRIM_400000_NS6detail17trampoline_kernelINS0_14default_configENS1_22reduce_config_selectorIlEEZNS1_11reduce_implILb1ES3_PlS7_lN6hipcub16HIPCUB_304000_NS6detail34convert_binary_result_type_wrapperINS9_3SumENS9_22TransformInputIteratorIb7NonZeroIsEPslEElEEEE10hipError_tPvRmT1_T2_T3_mT4_P12ihipStream_tbEUlT_E0_NS1_11comp_targetILNS1_3genE8ELNS1_11target_archE1030ELNS1_3gpuE2ELNS1_3repE0EEENS1_30default_config_static_selectorELNS0_4arch9wavefront6targetE1EEEvSM_ ; -- Begin function _ZN7rocprim17ROCPRIM_400000_NS6detail17trampoline_kernelINS0_14default_configENS1_22reduce_config_selectorIlEEZNS1_11reduce_implILb1ES3_PlS7_lN6hipcub16HIPCUB_304000_NS6detail34convert_binary_result_type_wrapperINS9_3SumENS9_22TransformInputIteratorIb7NonZeroIsEPslEElEEEE10hipError_tPvRmT1_T2_T3_mT4_P12ihipStream_tbEUlT_E0_NS1_11comp_targetILNS1_3genE8ELNS1_11target_archE1030ELNS1_3gpuE2ELNS1_3repE0EEENS1_30default_config_static_selectorELNS0_4arch9wavefront6targetE1EEEvSM_
	.globl	_ZN7rocprim17ROCPRIM_400000_NS6detail17trampoline_kernelINS0_14default_configENS1_22reduce_config_selectorIlEEZNS1_11reduce_implILb1ES3_PlS7_lN6hipcub16HIPCUB_304000_NS6detail34convert_binary_result_type_wrapperINS9_3SumENS9_22TransformInputIteratorIb7NonZeroIsEPslEElEEEE10hipError_tPvRmT1_T2_T3_mT4_P12ihipStream_tbEUlT_E0_NS1_11comp_targetILNS1_3genE8ELNS1_11target_archE1030ELNS1_3gpuE2ELNS1_3repE0EEENS1_30default_config_static_selectorELNS0_4arch9wavefront6targetE1EEEvSM_
	.p2align	8
	.type	_ZN7rocprim17ROCPRIM_400000_NS6detail17trampoline_kernelINS0_14default_configENS1_22reduce_config_selectorIlEEZNS1_11reduce_implILb1ES3_PlS7_lN6hipcub16HIPCUB_304000_NS6detail34convert_binary_result_type_wrapperINS9_3SumENS9_22TransformInputIteratorIb7NonZeroIsEPslEElEEEE10hipError_tPvRmT1_T2_T3_mT4_P12ihipStream_tbEUlT_E0_NS1_11comp_targetILNS1_3genE8ELNS1_11target_archE1030ELNS1_3gpuE2ELNS1_3repE0EEENS1_30default_config_static_selectorELNS0_4arch9wavefront6targetE1EEEvSM_,@function
_ZN7rocprim17ROCPRIM_400000_NS6detail17trampoline_kernelINS0_14default_configENS1_22reduce_config_selectorIlEEZNS1_11reduce_implILb1ES3_PlS7_lN6hipcub16HIPCUB_304000_NS6detail34convert_binary_result_type_wrapperINS9_3SumENS9_22TransformInputIteratorIb7NonZeroIsEPslEElEEEE10hipError_tPvRmT1_T2_T3_mT4_P12ihipStream_tbEUlT_E0_NS1_11comp_targetILNS1_3genE8ELNS1_11target_archE1030ELNS1_3gpuE2ELNS1_3repE0EEENS1_30default_config_static_selectorELNS0_4arch9wavefront6targetE1EEEvSM_: ; @_ZN7rocprim17ROCPRIM_400000_NS6detail17trampoline_kernelINS0_14default_configENS1_22reduce_config_selectorIlEEZNS1_11reduce_implILb1ES3_PlS7_lN6hipcub16HIPCUB_304000_NS6detail34convert_binary_result_type_wrapperINS9_3SumENS9_22TransformInputIteratorIb7NonZeroIsEPslEElEEEE10hipError_tPvRmT1_T2_T3_mT4_P12ihipStream_tbEUlT_E0_NS1_11comp_targetILNS1_3genE8ELNS1_11target_archE1030ELNS1_3gpuE2ELNS1_3repE0EEENS1_30default_config_static_selectorELNS0_4arch9wavefront6targetE1EEEvSM_
; %bb.0:
	.section	.rodata,"a",@progbits
	.p2align	6, 0x0
	.amdhsa_kernel _ZN7rocprim17ROCPRIM_400000_NS6detail17trampoline_kernelINS0_14default_configENS1_22reduce_config_selectorIlEEZNS1_11reduce_implILb1ES3_PlS7_lN6hipcub16HIPCUB_304000_NS6detail34convert_binary_result_type_wrapperINS9_3SumENS9_22TransformInputIteratorIb7NonZeroIsEPslEElEEEE10hipError_tPvRmT1_T2_T3_mT4_P12ihipStream_tbEUlT_E0_NS1_11comp_targetILNS1_3genE8ELNS1_11target_archE1030ELNS1_3gpuE2ELNS1_3repE0EEENS1_30default_config_static_selectorELNS0_4arch9wavefront6targetE1EEEvSM_
		.amdhsa_group_segment_fixed_size 0
		.amdhsa_private_segment_fixed_size 0
		.amdhsa_kernarg_size 64
		.amdhsa_user_sgpr_count 6
		.amdhsa_user_sgpr_private_segment_buffer 1
		.amdhsa_user_sgpr_dispatch_ptr 0
		.amdhsa_user_sgpr_queue_ptr 0
		.amdhsa_user_sgpr_kernarg_segment_ptr 1
		.amdhsa_user_sgpr_dispatch_id 0
		.amdhsa_user_sgpr_flat_scratch_init 0
		.amdhsa_user_sgpr_private_segment_size 0
		.amdhsa_uses_dynamic_stack 0
		.amdhsa_system_sgpr_private_segment_wavefront_offset 0
		.amdhsa_system_sgpr_workgroup_id_x 1
		.amdhsa_system_sgpr_workgroup_id_y 0
		.amdhsa_system_sgpr_workgroup_id_z 0
		.amdhsa_system_sgpr_workgroup_info 0
		.amdhsa_system_vgpr_workitem_id 0
		.amdhsa_next_free_vgpr 1
		.amdhsa_next_free_sgpr 0
		.amdhsa_reserve_vcc 0
		.amdhsa_reserve_flat_scratch 0
		.amdhsa_float_round_mode_32 0
		.amdhsa_float_round_mode_16_64 0
		.amdhsa_float_denorm_mode_32 3
		.amdhsa_float_denorm_mode_16_64 3
		.amdhsa_dx10_clamp 1
		.amdhsa_ieee_mode 1
		.amdhsa_fp16_overflow 0
		.amdhsa_exception_fp_ieee_invalid_op 0
		.amdhsa_exception_fp_denorm_src 0
		.amdhsa_exception_fp_ieee_div_zero 0
		.amdhsa_exception_fp_ieee_overflow 0
		.amdhsa_exception_fp_ieee_underflow 0
		.amdhsa_exception_fp_ieee_inexact 0
		.amdhsa_exception_int_div_zero 0
	.end_amdhsa_kernel
	.section	.text._ZN7rocprim17ROCPRIM_400000_NS6detail17trampoline_kernelINS0_14default_configENS1_22reduce_config_selectorIlEEZNS1_11reduce_implILb1ES3_PlS7_lN6hipcub16HIPCUB_304000_NS6detail34convert_binary_result_type_wrapperINS9_3SumENS9_22TransformInputIteratorIb7NonZeroIsEPslEElEEEE10hipError_tPvRmT1_T2_T3_mT4_P12ihipStream_tbEUlT_E0_NS1_11comp_targetILNS1_3genE8ELNS1_11target_archE1030ELNS1_3gpuE2ELNS1_3repE0EEENS1_30default_config_static_selectorELNS0_4arch9wavefront6targetE1EEEvSM_,"axG",@progbits,_ZN7rocprim17ROCPRIM_400000_NS6detail17trampoline_kernelINS0_14default_configENS1_22reduce_config_selectorIlEEZNS1_11reduce_implILb1ES3_PlS7_lN6hipcub16HIPCUB_304000_NS6detail34convert_binary_result_type_wrapperINS9_3SumENS9_22TransformInputIteratorIb7NonZeroIsEPslEElEEEE10hipError_tPvRmT1_T2_T3_mT4_P12ihipStream_tbEUlT_E0_NS1_11comp_targetILNS1_3genE8ELNS1_11target_archE1030ELNS1_3gpuE2ELNS1_3repE0EEENS1_30default_config_static_selectorELNS0_4arch9wavefront6targetE1EEEvSM_,comdat
.Lfunc_end89:
	.size	_ZN7rocprim17ROCPRIM_400000_NS6detail17trampoline_kernelINS0_14default_configENS1_22reduce_config_selectorIlEEZNS1_11reduce_implILb1ES3_PlS7_lN6hipcub16HIPCUB_304000_NS6detail34convert_binary_result_type_wrapperINS9_3SumENS9_22TransformInputIteratorIb7NonZeroIsEPslEElEEEE10hipError_tPvRmT1_T2_T3_mT4_P12ihipStream_tbEUlT_E0_NS1_11comp_targetILNS1_3genE8ELNS1_11target_archE1030ELNS1_3gpuE2ELNS1_3repE0EEENS1_30default_config_static_selectorELNS0_4arch9wavefront6targetE1EEEvSM_, .Lfunc_end89-_ZN7rocprim17ROCPRIM_400000_NS6detail17trampoline_kernelINS0_14default_configENS1_22reduce_config_selectorIlEEZNS1_11reduce_implILb1ES3_PlS7_lN6hipcub16HIPCUB_304000_NS6detail34convert_binary_result_type_wrapperINS9_3SumENS9_22TransformInputIteratorIb7NonZeroIsEPslEElEEEE10hipError_tPvRmT1_T2_T3_mT4_P12ihipStream_tbEUlT_E0_NS1_11comp_targetILNS1_3genE8ELNS1_11target_archE1030ELNS1_3gpuE2ELNS1_3repE0EEENS1_30default_config_static_selectorELNS0_4arch9wavefront6targetE1EEEvSM_
                                        ; -- End function
	.set _ZN7rocprim17ROCPRIM_400000_NS6detail17trampoline_kernelINS0_14default_configENS1_22reduce_config_selectorIlEEZNS1_11reduce_implILb1ES3_PlS7_lN6hipcub16HIPCUB_304000_NS6detail34convert_binary_result_type_wrapperINS9_3SumENS9_22TransformInputIteratorIb7NonZeroIsEPslEElEEEE10hipError_tPvRmT1_T2_T3_mT4_P12ihipStream_tbEUlT_E0_NS1_11comp_targetILNS1_3genE8ELNS1_11target_archE1030ELNS1_3gpuE2ELNS1_3repE0EEENS1_30default_config_static_selectorELNS0_4arch9wavefront6targetE1EEEvSM_.num_vgpr, 0
	.set _ZN7rocprim17ROCPRIM_400000_NS6detail17trampoline_kernelINS0_14default_configENS1_22reduce_config_selectorIlEEZNS1_11reduce_implILb1ES3_PlS7_lN6hipcub16HIPCUB_304000_NS6detail34convert_binary_result_type_wrapperINS9_3SumENS9_22TransformInputIteratorIb7NonZeroIsEPslEElEEEE10hipError_tPvRmT1_T2_T3_mT4_P12ihipStream_tbEUlT_E0_NS1_11comp_targetILNS1_3genE8ELNS1_11target_archE1030ELNS1_3gpuE2ELNS1_3repE0EEENS1_30default_config_static_selectorELNS0_4arch9wavefront6targetE1EEEvSM_.num_agpr, 0
	.set _ZN7rocprim17ROCPRIM_400000_NS6detail17trampoline_kernelINS0_14default_configENS1_22reduce_config_selectorIlEEZNS1_11reduce_implILb1ES3_PlS7_lN6hipcub16HIPCUB_304000_NS6detail34convert_binary_result_type_wrapperINS9_3SumENS9_22TransformInputIteratorIb7NonZeroIsEPslEElEEEE10hipError_tPvRmT1_T2_T3_mT4_P12ihipStream_tbEUlT_E0_NS1_11comp_targetILNS1_3genE8ELNS1_11target_archE1030ELNS1_3gpuE2ELNS1_3repE0EEENS1_30default_config_static_selectorELNS0_4arch9wavefront6targetE1EEEvSM_.numbered_sgpr, 0
	.set _ZN7rocprim17ROCPRIM_400000_NS6detail17trampoline_kernelINS0_14default_configENS1_22reduce_config_selectorIlEEZNS1_11reduce_implILb1ES3_PlS7_lN6hipcub16HIPCUB_304000_NS6detail34convert_binary_result_type_wrapperINS9_3SumENS9_22TransformInputIteratorIb7NonZeroIsEPslEElEEEE10hipError_tPvRmT1_T2_T3_mT4_P12ihipStream_tbEUlT_E0_NS1_11comp_targetILNS1_3genE8ELNS1_11target_archE1030ELNS1_3gpuE2ELNS1_3repE0EEENS1_30default_config_static_selectorELNS0_4arch9wavefront6targetE1EEEvSM_.num_named_barrier, 0
	.set _ZN7rocprim17ROCPRIM_400000_NS6detail17trampoline_kernelINS0_14default_configENS1_22reduce_config_selectorIlEEZNS1_11reduce_implILb1ES3_PlS7_lN6hipcub16HIPCUB_304000_NS6detail34convert_binary_result_type_wrapperINS9_3SumENS9_22TransformInputIteratorIb7NonZeroIsEPslEElEEEE10hipError_tPvRmT1_T2_T3_mT4_P12ihipStream_tbEUlT_E0_NS1_11comp_targetILNS1_3genE8ELNS1_11target_archE1030ELNS1_3gpuE2ELNS1_3repE0EEENS1_30default_config_static_selectorELNS0_4arch9wavefront6targetE1EEEvSM_.private_seg_size, 0
	.set _ZN7rocprim17ROCPRIM_400000_NS6detail17trampoline_kernelINS0_14default_configENS1_22reduce_config_selectorIlEEZNS1_11reduce_implILb1ES3_PlS7_lN6hipcub16HIPCUB_304000_NS6detail34convert_binary_result_type_wrapperINS9_3SumENS9_22TransformInputIteratorIb7NonZeroIsEPslEElEEEE10hipError_tPvRmT1_T2_T3_mT4_P12ihipStream_tbEUlT_E0_NS1_11comp_targetILNS1_3genE8ELNS1_11target_archE1030ELNS1_3gpuE2ELNS1_3repE0EEENS1_30default_config_static_selectorELNS0_4arch9wavefront6targetE1EEEvSM_.uses_vcc, 0
	.set _ZN7rocprim17ROCPRIM_400000_NS6detail17trampoline_kernelINS0_14default_configENS1_22reduce_config_selectorIlEEZNS1_11reduce_implILb1ES3_PlS7_lN6hipcub16HIPCUB_304000_NS6detail34convert_binary_result_type_wrapperINS9_3SumENS9_22TransformInputIteratorIb7NonZeroIsEPslEElEEEE10hipError_tPvRmT1_T2_T3_mT4_P12ihipStream_tbEUlT_E0_NS1_11comp_targetILNS1_3genE8ELNS1_11target_archE1030ELNS1_3gpuE2ELNS1_3repE0EEENS1_30default_config_static_selectorELNS0_4arch9wavefront6targetE1EEEvSM_.uses_flat_scratch, 0
	.set _ZN7rocprim17ROCPRIM_400000_NS6detail17trampoline_kernelINS0_14default_configENS1_22reduce_config_selectorIlEEZNS1_11reduce_implILb1ES3_PlS7_lN6hipcub16HIPCUB_304000_NS6detail34convert_binary_result_type_wrapperINS9_3SumENS9_22TransformInputIteratorIb7NonZeroIsEPslEElEEEE10hipError_tPvRmT1_T2_T3_mT4_P12ihipStream_tbEUlT_E0_NS1_11comp_targetILNS1_3genE8ELNS1_11target_archE1030ELNS1_3gpuE2ELNS1_3repE0EEENS1_30default_config_static_selectorELNS0_4arch9wavefront6targetE1EEEvSM_.has_dyn_sized_stack, 0
	.set _ZN7rocprim17ROCPRIM_400000_NS6detail17trampoline_kernelINS0_14default_configENS1_22reduce_config_selectorIlEEZNS1_11reduce_implILb1ES3_PlS7_lN6hipcub16HIPCUB_304000_NS6detail34convert_binary_result_type_wrapperINS9_3SumENS9_22TransformInputIteratorIb7NonZeroIsEPslEElEEEE10hipError_tPvRmT1_T2_T3_mT4_P12ihipStream_tbEUlT_E0_NS1_11comp_targetILNS1_3genE8ELNS1_11target_archE1030ELNS1_3gpuE2ELNS1_3repE0EEENS1_30default_config_static_selectorELNS0_4arch9wavefront6targetE1EEEvSM_.has_recursion, 0
	.set _ZN7rocprim17ROCPRIM_400000_NS6detail17trampoline_kernelINS0_14default_configENS1_22reduce_config_selectorIlEEZNS1_11reduce_implILb1ES3_PlS7_lN6hipcub16HIPCUB_304000_NS6detail34convert_binary_result_type_wrapperINS9_3SumENS9_22TransformInputIteratorIb7NonZeroIsEPslEElEEEE10hipError_tPvRmT1_T2_T3_mT4_P12ihipStream_tbEUlT_E0_NS1_11comp_targetILNS1_3genE8ELNS1_11target_archE1030ELNS1_3gpuE2ELNS1_3repE0EEENS1_30default_config_static_selectorELNS0_4arch9wavefront6targetE1EEEvSM_.has_indirect_call, 0
	.section	.AMDGPU.csdata,"",@progbits
; Kernel info:
; codeLenInByte = 0
; TotalNumSgprs: 4
; NumVgprs: 0
; ScratchSize: 0
; MemoryBound: 0
; FloatMode: 240
; IeeeMode: 1
; LDSByteSize: 0 bytes/workgroup (compile time only)
; SGPRBlocks: 0
; VGPRBlocks: 0
; NumSGPRsForWavesPerEU: 4
; NumVGPRsForWavesPerEU: 1
; Occupancy: 10
; WaveLimiterHint : 0
; COMPUTE_PGM_RSRC2:SCRATCH_EN: 0
; COMPUTE_PGM_RSRC2:USER_SGPR: 6
; COMPUTE_PGM_RSRC2:TRAP_HANDLER: 0
; COMPUTE_PGM_RSRC2:TGID_X_EN: 1
; COMPUTE_PGM_RSRC2:TGID_Y_EN: 0
; COMPUTE_PGM_RSRC2:TGID_Z_EN: 0
; COMPUTE_PGM_RSRC2:TIDIG_COMP_CNT: 0
	.section	.text._ZN7rocprim17ROCPRIM_400000_NS6detail17trampoline_kernelINS0_14default_configENS1_22reduce_config_selectorIlEEZNS1_11reduce_implILb1ES3_PlS7_lN6hipcub16HIPCUB_304000_NS6detail34convert_binary_result_type_wrapperINS9_3SumENS9_22TransformInputIteratorIb7NonZeroIsEPslEElEEEE10hipError_tPvRmT1_T2_T3_mT4_P12ihipStream_tbEUlT_E1_NS1_11comp_targetILNS1_3genE0ELNS1_11target_archE4294967295ELNS1_3gpuE0ELNS1_3repE0EEENS1_30default_config_static_selectorELNS0_4arch9wavefront6targetE1EEEvSM_,"axG",@progbits,_ZN7rocprim17ROCPRIM_400000_NS6detail17trampoline_kernelINS0_14default_configENS1_22reduce_config_selectorIlEEZNS1_11reduce_implILb1ES3_PlS7_lN6hipcub16HIPCUB_304000_NS6detail34convert_binary_result_type_wrapperINS9_3SumENS9_22TransformInputIteratorIb7NonZeroIsEPslEElEEEE10hipError_tPvRmT1_T2_T3_mT4_P12ihipStream_tbEUlT_E1_NS1_11comp_targetILNS1_3genE0ELNS1_11target_archE4294967295ELNS1_3gpuE0ELNS1_3repE0EEENS1_30default_config_static_selectorELNS0_4arch9wavefront6targetE1EEEvSM_,comdat
	.protected	_ZN7rocprim17ROCPRIM_400000_NS6detail17trampoline_kernelINS0_14default_configENS1_22reduce_config_selectorIlEEZNS1_11reduce_implILb1ES3_PlS7_lN6hipcub16HIPCUB_304000_NS6detail34convert_binary_result_type_wrapperINS9_3SumENS9_22TransformInputIteratorIb7NonZeroIsEPslEElEEEE10hipError_tPvRmT1_T2_T3_mT4_P12ihipStream_tbEUlT_E1_NS1_11comp_targetILNS1_3genE0ELNS1_11target_archE4294967295ELNS1_3gpuE0ELNS1_3repE0EEENS1_30default_config_static_selectorELNS0_4arch9wavefront6targetE1EEEvSM_ ; -- Begin function _ZN7rocprim17ROCPRIM_400000_NS6detail17trampoline_kernelINS0_14default_configENS1_22reduce_config_selectorIlEEZNS1_11reduce_implILb1ES3_PlS7_lN6hipcub16HIPCUB_304000_NS6detail34convert_binary_result_type_wrapperINS9_3SumENS9_22TransformInputIteratorIb7NonZeroIsEPslEElEEEE10hipError_tPvRmT1_T2_T3_mT4_P12ihipStream_tbEUlT_E1_NS1_11comp_targetILNS1_3genE0ELNS1_11target_archE4294967295ELNS1_3gpuE0ELNS1_3repE0EEENS1_30default_config_static_selectorELNS0_4arch9wavefront6targetE1EEEvSM_
	.globl	_ZN7rocprim17ROCPRIM_400000_NS6detail17trampoline_kernelINS0_14default_configENS1_22reduce_config_selectorIlEEZNS1_11reduce_implILb1ES3_PlS7_lN6hipcub16HIPCUB_304000_NS6detail34convert_binary_result_type_wrapperINS9_3SumENS9_22TransformInputIteratorIb7NonZeroIsEPslEElEEEE10hipError_tPvRmT1_T2_T3_mT4_P12ihipStream_tbEUlT_E1_NS1_11comp_targetILNS1_3genE0ELNS1_11target_archE4294967295ELNS1_3gpuE0ELNS1_3repE0EEENS1_30default_config_static_selectorELNS0_4arch9wavefront6targetE1EEEvSM_
	.p2align	8
	.type	_ZN7rocprim17ROCPRIM_400000_NS6detail17trampoline_kernelINS0_14default_configENS1_22reduce_config_selectorIlEEZNS1_11reduce_implILb1ES3_PlS7_lN6hipcub16HIPCUB_304000_NS6detail34convert_binary_result_type_wrapperINS9_3SumENS9_22TransformInputIteratorIb7NonZeroIsEPslEElEEEE10hipError_tPvRmT1_T2_T3_mT4_P12ihipStream_tbEUlT_E1_NS1_11comp_targetILNS1_3genE0ELNS1_11target_archE4294967295ELNS1_3gpuE0ELNS1_3repE0EEENS1_30default_config_static_selectorELNS0_4arch9wavefront6targetE1EEEvSM_,@function
_ZN7rocprim17ROCPRIM_400000_NS6detail17trampoline_kernelINS0_14default_configENS1_22reduce_config_selectorIlEEZNS1_11reduce_implILb1ES3_PlS7_lN6hipcub16HIPCUB_304000_NS6detail34convert_binary_result_type_wrapperINS9_3SumENS9_22TransformInputIteratorIb7NonZeroIsEPslEElEEEE10hipError_tPvRmT1_T2_T3_mT4_P12ihipStream_tbEUlT_E1_NS1_11comp_targetILNS1_3genE0ELNS1_11target_archE4294967295ELNS1_3gpuE0ELNS1_3repE0EEENS1_30default_config_static_selectorELNS0_4arch9wavefront6targetE1EEEvSM_: ; @_ZN7rocprim17ROCPRIM_400000_NS6detail17trampoline_kernelINS0_14default_configENS1_22reduce_config_selectorIlEEZNS1_11reduce_implILb1ES3_PlS7_lN6hipcub16HIPCUB_304000_NS6detail34convert_binary_result_type_wrapperINS9_3SumENS9_22TransformInputIteratorIb7NonZeroIsEPslEElEEEE10hipError_tPvRmT1_T2_T3_mT4_P12ihipStream_tbEUlT_E1_NS1_11comp_targetILNS1_3genE0ELNS1_11target_archE4294967295ELNS1_3gpuE0ELNS1_3repE0EEENS1_30default_config_static_selectorELNS0_4arch9wavefront6targetE1EEEvSM_
; %bb.0:
	.section	.rodata,"a",@progbits
	.p2align	6, 0x0
	.amdhsa_kernel _ZN7rocprim17ROCPRIM_400000_NS6detail17trampoline_kernelINS0_14default_configENS1_22reduce_config_selectorIlEEZNS1_11reduce_implILb1ES3_PlS7_lN6hipcub16HIPCUB_304000_NS6detail34convert_binary_result_type_wrapperINS9_3SumENS9_22TransformInputIteratorIb7NonZeroIsEPslEElEEEE10hipError_tPvRmT1_T2_T3_mT4_P12ihipStream_tbEUlT_E1_NS1_11comp_targetILNS1_3genE0ELNS1_11target_archE4294967295ELNS1_3gpuE0ELNS1_3repE0EEENS1_30default_config_static_selectorELNS0_4arch9wavefront6targetE1EEEvSM_
		.amdhsa_group_segment_fixed_size 0
		.amdhsa_private_segment_fixed_size 0
		.amdhsa_kernarg_size 48
		.amdhsa_user_sgpr_count 6
		.amdhsa_user_sgpr_private_segment_buffer 1
		.amdhsa_user_sgpr_dispatch_ptr 0
		.amdhsa_user_sgpr_queue_ptr 0
		.amdhsa_user_sgpr_kernarg_segment_ptr 1
		.amdhsa_user_sgpr_dispatch_id 0
		.amdhsa_user_sgpr_flat_scratch_init 0
		.amdhsa_user_sgpr_private_segment_size 0
		.amdhsa_uses_dynamic_stack 0
		.amdhsa_system_sgpr_private_segment_wavefront_offset 0
		.amdhsa_system_sgpr_workgroup_id_x 1
		.amdhsa_system_sgpr_workgroup_id_y 0
		.amdhsa_system_sgpr_workgroup_id_z 0
		.amdhsa_system_sgpr_workgroup_info 0
		.amdhsa_system_vgpr_workitem_id 0
		.amdhsa_next_free_vgpr 1
		.amdhsa_next_free_sgpr 0
		.amdhsa_reserve_vcc 0
		.amdhsa_reserve_flat_scratch 0
		.amdhsa_float_round_mode_32 0
		.amdhsa_float_round_mode_16_64 0
		.amdhsa_float_denorm_mode_32 3
		.amdhsa_float_denorm_mode_16_64 3
		.amdhsa_dx10_clamp 1
		.amdhsa_ieee_mode 1
		.amdhsa_fp16_overflow 0
		.amdhsa_exception_fp_ieee_invalid_op 0
		.amdhsa_exception_fp_denorm_src 0
		.amdhsa_exception_fp_ieee_div_zero 0
		.amdhsa_exception_fp_ieee_overflow 0
		.amdhsa_exception_fp_ieee_underflow 0
		.amdhsa_exception_fp_ieee_inexact 0
		.amdhsa_exception_int_div_zero 0
	.end_amdhsa_kernel
	.section	.text._ZN7rocprim17ROCPRIM_400000_NS6detail17trampoline_kernelINS0_14default_configENS1_22reduce_config_selectorIlEEZNS1_11reduce_implILb1ES3_PlS7_lN6hipcub16HIPCUB_304000_NS6detail34convert_binary_result_type_wrapperINS9_3SumENS9_22TransformInputIteratorIb7NonZeroIsEPslEElEEEE10hipError_tPvRmT1_T2_T3_mT4_P12ihipStream_tbEUlT_E1_NS1_11comp_targetILNS1_3genE0ELNS1_11target_archE4294967295ELNS1_3gpuE0ELNS1_3repE0EEENS1_30default_config_static_selectorELNS0_4arch9wavefront6targetE1EEEvSM_,"axG",@progbits,_ZN7rocprim17ROCPRIM_400000_NS6detail17trampoline_kernelINS0_14default_configENS1_22reduce_config_selectorIlEEZNS1_11reduce_implILb1ES3_PlS7_lN6hipcub16HIPCUB_304000_NS6detail34convert_binary_result_type_wrapperINS9_3SumENS9_22TransformInputIteratorIb7NonZeroIsEPslEElEEEE10hipError_tPvRmT1_T2_T3_mT4_P12ihipStream_tbEUlT_E1_NS1_11comp_targetILNS1_3genE0ELNS1_11target_archE4294967295ELNS1_3gpuE0ELNS1_3repE0EEENS1_30default_config_static_selectorELNS0_4arch9wavefront6targetE1EEEvSM_,comdat
.Lfunc_end90:
	.size	_ZN7rocprim17ROCPRIM_400000_NS6detail17trampoline_kernelINS0_14default_configENS1_22reduce_config_selectorIlEEZNS1_11reduce_implILb1ES3_PlS7_lN6hipcub16HIPCUB_304000_NS6detail34convert_binary_result_type_wrapperINS9_3SumENS9_22TransformInputIteratorIb7NonZeroIsEPslEElEEEE10hipError_tPvRmT1_T2_T3_mT4_P12ihipStream_tbEUlT_E1_NS1_11comp_targetILNS1_3genE0ELNS1_11target_archE4294967295ELNS1_3gpuE0ELNS1_3repE0EEENS1_30default_config_static_selectorELNS0_4arch9wavefront6targetE1EEEvSM_, .Lfunc_end90-_ZN7rocprim17ROCPRIM_400000_NS6detail17trampoline_kernelINS0_14default_configENS1_22reduce_config_selectorIlEEZNS1_11reduce_implILb1ES3_PlS7_lN6hipcub16HIPCUB_304000_NS6detail34convert_binary_result_type_wrapperINS9_3SumENS9_22TransformInputIteratorIb7NonZeroIsEPslEElEEEE10hipError_tPvRmT1_T2_T3_mT4_P12ihipStream_tbEUlT_E1_NS1_11comp_targetILNS1_3genE0ELNS1_11target_archE4294967295ELNS1_3gpuE0ELNS1_3repE0EEENS1_30default_config_static_selectorELNS0_4arch9wavefront6targetE1EEEvSM_
                                        ; -- End function
	.set _ZN7rocprim17ROCPRIM_400000_NS6detail17trampoline_kernelINS0_14default_configENS1_22reduce_config_selectorIlEEZNS1_11reduce_implILb1ES3_PlS7_lN6hipcub16HIPCUB_304000_NS6detail34convert_binary_result_type_wrapperINS9_3SumENS9_22TransformInputIteratorIb7NonZeroIsEPslEElEEEE10hipError_tPvRmT1_T2_T3_mT4_P12ihipStream_tbEUlT_E1_NS1_11comp_targetILNS1_3genE0ELNS1_11target_archE4294967295ELNS1_3gpuE0ELNS1_3repE0EEENS1_30default_config_static_selectorELNS0_4arch9wavefront6targetE1EEEvSM_.num_vgpr, 0
	.set _ZN7rocprim17ROCPRIM_400000_NS6detail17trampoline_kernelINS0_14default_configENS1_22reduce_config_selectorIlEEZNS1_11reduce_implILb1ES3_PlS7_lN6hipcub16HIPCUB_304000_NS6detail34convert_binary_result_type_wrapperINS9_3SumENS9_22TransformInputIteratorIb7NonZeroIsEPslEElEEEE10hipError_tPvRmT1_T2_T3_mT4_P12ihipStream_tbEUlT_E1_NS1_11comp_targetILNS1_3genE0ELNS1_11target_archE4294967295ELNS1_3gpuE0ELNS1_3repE0EEENS1_30default_config_static_selectorELNS0_4arch9wavefront6targetE1EEEvSM_.num_agpr, 0
	.set _ZN7rocprim17ROCPRIM_400000_NS6detail17trampoline_kernelINS0_14default_configENS1_22reduce_config_selectorIlEEZNS1_11reduce_implILb1ES3_PlS7_lN6hipcub16HIPCUB_304000_NS6detail34convert_binary_result_type_wrapperINS9_3SumENS9_22TransformInputIteratorIb7NonZeroIsEPslEElEEEE10hipError_tPvRmT1_T2_T3_mT4_P12ihipStream_tbEUlT_E1_NS1_11comp_targetILNS1_3genE0ELNS1_11target_archE4294967295ELNS1_3gpuE0ELNS1_3repE0EEENS1_30default_config_static_selectorELNS0_4arch9wavefront6targetE1EEEvSM_.numbered_sgpr, 0
	.set _ZN7rocprim17ROCPRIM_400000_NS6detail17trampoline_kernelINS0_14default_configENS1_22reduce_config_selectorIlEEZNS1_11reduce_implILb1ES3_PlS7_lN6hipcub16HIPCUB_304000_NS6detail34convert_binary_result_type_wrapperINS9_3SumENS9_22TransformInputIteratorIb7NonZeroIsEPslEElEEEE10hipError_tPvRmT1_T2_T3_mT4_P12ihipStream_tbEUlT_E1_NS1_11comp_targetILNS1_3genE0ELNS1_11target_archE4294967295ELNS1_3gpuE0ELNS1_3repE0EEENS1_30default_config_static_selectorELNS0_4arch9wavefront6targetE1EEEvSM_.num_named_barrier, 0
	.set _ZN7rocprim17ROCPRIM_400000_NS6detail17trampoline_kernelINS0_14default_configENS1_22reduce_config_selectorIlEEZNS1_11reduce_implILb1ES3_PlS7_lN6hipcub16HIPCUB_304000_NS6detail34convert_binary_result_type_wrapperINS9_3SumENS9_22TransformInputIteratorIb7NonZeroIsEPslEElEEEE10hipError_tPvRmT1_T2_T3_mT4_P12ihipStream_tbEUlT_E1_NS1_11comp_targetILNS1_3genE0ELNS1_11target_archE4294967295ELNS1_3gpuE0ELNS1_3repE0EEENS1_30default_config_static_selectorELNS0_4arch9wavefront6targetE1EEEvSM_.private_seg_size, 0
	.set _ZN7rocprim17ROCPRIM_400000_NS6detail17trampoline_kernelINS0_14default_configENS1_22reduce_config_selectorIlEEZNS1_11reduce_implILb1ES3_PlS7_lN6hipcub16HIPCUB_304000_NS6detail34convert_binary_result_type_wrapperINS9_3SumENS9_22TransformInputIteratorIb7NonZeroIsEPslEElEEEE10hipError_tPvRmT1_T2_T3_mT4_P12ihipStream_tbEUlT_E1_NS1_11comp_targetILNS1_3genE0ELNS1_11target_archE4294967295ELNS1_3gpuE0ELNS1_3repE0EEENS1_30default_config_static_selectorELNS0_4arch9wavefront6targetE1EEEvSM_.uses_vcc, 0
	.set _ZN7rocprim17ROCPRIM_400000_NS6detail17trampoline_kernelINS0_14default_configENS1_22reduce_config_selectorIlEEZNS1_11reduce_implILb1ES3_PlS7_lN6hipcub16HIPCUB_304000_NS6detail34convert_binary_result_type_wrapperINS9_3SumENS9_22TransformInputIteratorIb7NonZeroIsEPslEElEEEE10hipError_tPvRmT1_T2_T3_mT4_P12ihipStream_tbEUlT_E1_NS1_11comp_targetILNS1_3genE0ELNS1_11target_archE4294967295ELNS1_3gpuE0ELNS1_3repE0EEENS1_30default_config_static_selectorELNS0_4arch9wavefront6targetE1EEEvSM_.uses_flat_scratch, 0
	.set _ZN7rocprim17ROCPRIM_400000_NS6detail17trampoline_kernelINS0_14default_configENS1_22reduce_config_selectorIlEEZNS1_11reduce_implILb1ES3_PlS7_lN6hipcub16HIPCUB_304000_NS6detail34convert_binary_result_type_wrapperINS9_3SumENS9_22TransformInputIteratorIb7NonZeroIsEPslEElEEEE10hipError_tPvRmT1_T2_T3_mT4_P12ihipStream_tbEUlT_E1_NS1_11comp_targetILNS1_3genE0ELNS1_11target_archE4294967295ELNS1_3gpuE0ELNS1_3repE0EEENS1_30default_config_static_selectorELNS0_4arch9wavefront6targetE1EEEvSM_.has_dyn_sized_stack, 0
	.set _ZN7rocprim17ROCPRIM_400000_NS6detail17trampoline_kernelINS0_14default_configENS1_22reduce_config_selectorIlEEZNS1_11reduce_implILb1ES3_PlS7_lN6hipcub16HIPCUB_304000_NS6detail34convert_binary_result_type_wrapperINS9_3SumENS9_22TransformInputIteratorIb7NonZeroIsEPslEElEEEE10hipError_tPvRmT1_T2_T3_mT4_P12ihipStream_tbEUlT_E1_NS1_11comp_targetILNS1_3genE0ELNS1_11target_archE4294967295ELNS1_3gpuE0ELNS1_3repE0EEENS1_30default_config_static_selectorELNS0_4arch9wavefront6targetE1EEEvSM_.has_recursion, 0
	.set _ZN7rocprim17ROCPRIM_400000_NS6detail17trampoline_kernelINS0_14default_configENS1_22reduce_config_selectorIlEEZNS1_11reduce_implILb1ES3_PlS7_lN6hipcub16HIPCUB_304000_NS6detail34convert_binary_result_type_wrapperINS9_3SumENS9_22TransformInputIteratorIb7NonZeroIsEPslEElEEEE10hipError_tPvRmT1_T2_T3_mT4_P12ihipStream_tbEUlT_E1_NS1_11comp_targetILNS1_3genE0ELNS1_11target_archE4294967295ELNS1_3gpuE0ELNS1_3repE0EEENS1_30default_config_static_selectorELNS0_4arch9wavefront6targetE1EEEvSM_.has_indirect_call, 0
	.section	.AMDGPU.csdata,"",@progbits
; Kernel info:
; codeLenInByte = 0
; TotalNumSgprs: 4
; NumVgprs: 0
; ScratchSize: 0
; MemoryBound: 0
; FloatMode: 240
; IeeeMode: 1
; LDSByteSize: 0 bytes/workgroup (compile time only)
; SGPRBlocks: 0
; VGPRBlocks: 0
; NumSGPRsForWavesPerEU: 4
; NumVGPRsForWavesPerEU: 1
; Occupancy: 10
; WaveLimiterHint : 0
; COMPUTE_PGM_RSRC2:SCRATCH_EN: 0
; COMPUTE_PGM_RSRC2:USER_SGPR: 6
; COMPUTE_PGM_RSRC2:TRAP_HANDLER: 0
; COMPUTE_PGM_RSRC2:TGID_X_EN: 1
; COMPUTE_PGM_RSRC2:TGID_Y_EN: 0
; COMPUTE_PGM_RSRC2:TGID_Z_EN: 0
; COMPUTE_PGM_RSRC2:TIDIG_COMP_CNT: 0
	.section	.text._ZN7rocprim17ROCPRIM_400000_NS6detail17trampoline_kernelINS0_14default_configENS1_22reduce_config_selectorIlEEZNS1_11reduce_implILb1ES3_PlS7_lN6hipcub16HIPCUB_304000_NS6detail34convert_binary_result_type_wrapperINS9_3SumENS9_22TransformInputIteratorIb7NonZeroIsEPslEElEEEE10hipError_tPvRmT1_T2_T3_mT4_P12ihipStream_tbEUlT_E1_NS1_11comp_targetILNS1_3genE5ELNS1_11target_archE942ELNS1_3gpuE9ELNS1_3repE0EEENS1_30default_config_static_selectorELNS0_4arch9wavefront6targetE1EEEvSM_,"axG",@progbits,_ZN7rocprim17ROCPRIM_400000_NS6detail17trampoline_kernelINS0_14default_configENS1_22reduce_config_selectorIlEEZNS1_11reduce_implILb1ES3_PlS7_lN6hipcub16HIPCUB_304000_NS6detail34convert_binary_result_type_wrapperINS9_3SumENS9_22TransformInputIteratorIb7NonZeroIsEPslEElEEEE10hipError_tPvRmT1_T2_T3_mT4_P12ihipStream_tbEUlT_E1_NS1_11comp_targetILNS1_3genE5ELNS1_11target_archE942ELNS1_3gpuE9ELNS1_3repE0EEENS1_30default_config_static_selectorELNS0_4arch9wavefront6targetE1EEEvSM_,comdat
	.protected	_ZN7rocprim17ROCPRIM_400000_NS6detail17trampoline_kernelINS0_14default_configENS1_22reduce_config_selectorIlEEZNS1_11reduce_implILb1ES3_PlS7_lN6hipcub16HIPCUB_304000_NS6detail34convert_binary_result_type_wrapperINS9_3SumENS9_22TransformInputIteratorIb7NonZeroIsEPslEElEEEE10hipError_tPvRmT1_T2_T3_mT4_P12ihipStream_tbEUlT_E1_NS1_11comp_targetILNS1_3genE5ELNS1_11target_archE942ELNS1_3gpuE9ELNS1_3repE0EEENS1_30default_config_static_selectorELNS0_4arch9wavefront6targetE1EEEvSM_ ; -- Begin function _ZN7rocprim17ROCPRIM_400000_NS6detail17trampoline_kernelINS0_14default_configENS1_22reduce_config_selectorIlEEZNS1_11reduce_implILb1ES3_PlS7_lN6hipcub16HIPCUB_304000_NS6detail34convert_binary_result_type_wrapperINS9_3SumENS9_22TransformInputIteratorIb7NonZeroIsEPslEElEEEE10hipError_tPvRmT1_T2_T3_mT4_P12ihipStream_tbEUlT_E1_NS1_11comp_targetILNS1_3genE5ELNS1_11target_archE942ELNS1_3gpuE9ELNS1_3repE0EEENS1_30default_config_static_selectorELNS0_4arch9wavefront6targetE1EEEvSM_
	.globl	_ZN7rocprim17ROCPRIM_400000_NS6detail17trampoline_kernelINS0_14default_configENS1_22reduce_config_selectorIlEEZNS1_11reduce_implILb1ES3_PlS7_lN6hipcub16HIPCUB_304000_NS6detail34convert_binary_result_type_wrapperINS9_3SumENS9_22TransformInputIteratorIb7NonZeroIsEPslEElEEEE10hipError_tPvRmT1_T2_T3_mT4_P12ihipStream_tbEUlT_E1_NS1_11comp_targetILNS1_3genE5ELNS1_11target_archE942ELNS1_3gpuE9ELNS1_3repE0EEENS1_30default_config_static_selectorELNS0_4arch9wavefront6targetE1EEEvSM_
	.p2align	8
	.type	_ZN7rocprim17ROCPRIM_400000_NS6detail17trampoline_kernelINS0_14default_configENS1_22reduce_config_selectorIlEEZNS1_11reduce_implILb1ES3_PlS7_lN6hipcub16HIPCUB_304000_NS6detail34convert_binary_result_type_wrapperINS9_3SumENS9_22TransformInputIteratorIb7NonZeroIsEPslEElEEEE10hipError_tPvRmT1_T2_T3_mT4_P12ihipStream_tbEUlT_E1_NS1_11comp_targetILNS1_3genE5ELNS1_11target_archE942ELNS1_3gpuE9ELNS1_3repE0EEENS1_30default_config_static_selectorELNS0_4arch9wavefront6targetE1EEEvSM_,@function
_ZN7rocprim17ROCPRIM_400000_NS6detail17trampoline_kernelINS0_14default_configENS1_22reduce_config_selectorIlEEZNS1_11reduce_implILb1ES3_PlS7_lN6hipcub16HIPCUB_304000_NS6detail34convert_binary_result_type_wrapperINS9_3SumENS9_22TransformInputIteratorIb7NonZeroIsEPslEElEEEE10hipError_tPvRmT1_T2_T3_mT4_P12ihipStream_tbEUlT_E1_NS1_11comp_targetILNS1_3genE5ELNS1_11target_archE942ELNS1_3gpuE9ELNS1_3repE0EEENS1_30default_config_static_selectorELNS0_4arch9wavefront6targetE1EEEvSM_: ; @_ZN7rocprim17ROCPRIM_400000_NS6detail17trampoline_kernelINS0_14default_configENS1_22reduce_config_selectorIlEEZNS1_11reduce_implILb1ES3_PlS7_lN6hipcub16HIPCUB_304000_NS6detail34convert_binary_result_type_wrapperINS9_3SumENS9_22TransformInputIteratorIb7NonZeroIsEPslEElEEEE10hipError_tPvRmT1_T2_T3_mT4_P12ihipStream_tbEUlT_E1_NS1_11comp_targetILNS1_3genE5ELNS1_11target_archE942ELNS1_3gpuE9ELNS1_3repE0EEENS1_30default_config_static_selectorELNS0_4arch9wavefront6targetE1EEEvSM_
; %bb.0:
	.section	.rodata,"a",@progbits
	.p2align	6, 0x0
	.amdhsa_kernel _ZN7rocprim17ROCPRIM_400000_NS6detail17trampoline_kernelINS0_14default_configENS1_22reduce_config_selectorIlEEZNS1_11reduce_implILb1ES3_PlS7_lN6hipcub16HIPCUB_304000_NS6detail34convert_binary_result_type_wrapperINS9_3SumENS9_22TransformInputIteratorIb7NonZeroIsEPslEElEEEE10hipError_tPvRmT1_T2_T3_mT4_P12ihipStream_tbEUlT_E1_NS1_11comp_targetILNS1_3genE5ELNS1_11target_archE942ELNS1_3gpuE9ELNS1_3repE0EEENS1_30default_config_static_selectorELNS0_4arch9wavefront6targetE1EEEvSM_
		.amdhsa_group_segment_fixed_size 0
		.amdhsa_private_segment_fixed_size 0
		.amdhsa_kernarg_size 48
		.amdhsa_user_sgpr_count 6
		.amdhsa_user_sgpr_private_segment_buffer 1
		.amdhsa_user_sgpr_dispatch_ptr 0
		.amdhsa_user_sgpr_queue_ptr 0
		.amdhsa_user_sgpr_kernarg_segment_ptr 1
		.amdhsa_user_sgpr_dispatch_id 0
		.amdhsa_user_sgpr_flat_scratch_init 0
		.amdhsa_user_sgpr_private_segment_size 0
		.amdhsa_uses_dynamic_stack 0
		.amdhsa_system_sgpr_private_segment_wavefront_offset 0
		.amdhsa_system_sgpr_workgroup_id_x 1
		.amdhsa_system_sgpr_workgroup_id_y 0
		.amdhsa_system_sgpr_workgroup_id_z 0
		.amdhsa_system_sgpr_workgroup_info 0
		.amdhsa_system_vgpr_workitem_id 0
		.amdhsa_next_free_vgpr 1
		.amdhsa_next_free_sgpr 0
		.amdhsa_reserve_vcc 0
		.amdhsa_reserve_flat_scratch 0
		.amdhsa_float_round_mode_32 0
		.amdhsa_float_round_mode_16_64 0
		.amdhsa_float_denorm_mode_32 3
		.amdhsa_float_denorm_mode_16_64 3
		.amdhsa_dx10_clamp 1
		.amdhsa_ieee_mode 1
		.amdhsa_fp16_overflow 0
		.amdhsa_exception_fp_ieee_invalid_op 0
		.amdhsa_exception_fp_denorm_src 0
		.amdhsa_exception_fp_ieee_div_zero 0
		.amdhsa_exception_fp_ieee_overflow 0
		.amdhsa_exception_fp_ieee_underflow 0
		.amdhsa_exception_fp_ieee_inexact 0
		.amdhsa_exception_int_div_zero 0
	.end_amdhsa_kernel
	.section	.text._ZN7rocprim17ROCPRIM_400000_NS6detail17trampoline_kernelINS0_14default_configENS1_22reduce_config_selectorIlEEZNS1_11reduce_implILb1ES3_PlS7_lN6hipcub16HIPCUB_304000_NS6detail34convert_binary_result_type_wrapperINS9_3SumENS9_22TransformInputIteratorIb7NonZeroIsEPslEElEEEE10hipError_tPvRmT1_T2_T3_mT4_P12ihipStream_tbEUlT_E1_NS1_11comp_targetILNS1_3genE5ELNS1_11target_archE942ELNS1_3gpuE9ELNS1_3repE0EEENS1_30default_config_static_selectorELNS0_4arch9wavefront6targetE1EEEvSM_,"axG",@progbits,_ZN7rocprim17ROCPRIM_400000_NS6detail17trampoline_kernelINS0_14default_configENS1_22reduce_config_selectorIlEEZNS1_11reduce_implILb1ES3_PlS7_lN6hipcub16HIPCUB_304000_NS6detail34convert_binary_result_type_wrapperINS9_3SumENS9_22TransformInputIteratorIb7NonZeroIsEPslEElEEEE10hipError_tPvRmT1_T2_T3_mT4_P12ihipStream_tbEUlT_E1_NS1_11comp_targetILNS1_3genE5ELNS1_11target_archE942ELNS1_3gpuE9ELNS1_3repE0EEENS1_30default_config_static_selectorELNS0_4arch9wavefront6targetE1EEEvSM_,comdat
.Lfunc_end91:
	.size	_ZN7rocprim17ROCPRIM_400000_NS6detail17trampoline_kernelINS0_14default_configENS1_22reduce_config_selectorIlEEZNS1_11reduce_implILb1ES3_PlS7_lN6hipcub16HIPCUB_304000_NS6detail34convert_binary_result_type_wrapperINS9_3SumENS9_22TransformInputIteratorIb7NonZeroIsEPslEElEEEE10hipError_tPvRmT1_T2_T3_mT4_P12ihipStream_tbEUlT_E1_NS1_11comp_targetILNS1_3genE5ELNS1_11target_archE942ELNS1_3gpuE9ELNS1_3repE0EEENS1_30default_config_static_selectorELNS0_4arch9wavefront6targetE1EEEvSM_, .Lfunc_end91-_ZN7rocprim17ROCPRIM_400000_NS6detail17trampoline_kernelINS0_14default_configENS1_22reduce_config_selectorIlEEZNS1_11reduce_implILb1ES3_PlS7_lN6hipcub16HIPCUB_304000_NS6detail34convert_binary_result_type_wrapperINS9_3SumENS9_22TransformInputIteratorIb7NonZeroIsEPslEElEEEE10hipError_tPvRmT1_T2_T3_mT4_P12ihipStream_tbEUlT_E1_NS1_11comp_targetILNS1_3genE5ELNS1_11target_archE942ELNS1_3gpuE9ELNS1_3repE0EEENS1_30default_config_static_selectorELNS0_4arch9wavefront6targetE1EEEvSM_
                                        ; -- End function
	.set _ZN7rocprim17ROCPRIM_400000_NS6detail17trampoline_kernelINS0_14default_configENS1_22reduce_config_selectorIlEEZNS1_11reduce_implILb1ES3_PlS7_lN6hipcub16HIPCUB_304000_NS6detail34convert_binary_result_type_wrapperINS9_3SumENS9_22TransformInputIteratorIb7NonZeroIsEPslEElEEEE10hipError_tPvRmT1_T2_T3_mT4_P12ihipStream_tbEUlT_E1_NS1_11comp_targetILNS1_3genE5ELNS1_11target_archE942ELNS1_3gpuE9ELNS1_3repE0EEENS1_30default_config_static_selectorELNS0_4arch9wavefront6targetE1EEEvSM_.num_vgpr, 0
	.set _ZN7rocprim17ROCPRIM_400000_NS6detail17trampoline_kernelINS0_14default_configENS1_22reduce_config_selectorIlEEZNS1_11reduce_implILb1ES3_PlS7_lN6hipcub16HIPCUB_304000_NS6detail34convert_binary_result_type_wrapperINS9_3SumENS9_22TransformInputIteratorIb7NonZeroIsEPslEElEEEE10hipError_tPvRmT1_T2_T3_mT4_P12ihipStream_tbEUlT_E1_NS1_11comp_targetILNS1_3genE5ELNS1_11target_archE942ELNS1_3gpuE9ELNS1_3repE0EEENS1_30default_config_static_selectorELNS0_4arch9wavefront6targetE1EEEvSM_.num_agpr, 0
	.set _ZN7rocprim17ROCPRIM_400000_NS6detail17trampoline_kernelINS0_14default_configENS1_22reduce_config_selectorIlEEZNS1_11reduce_implILb1ES3_PlS7_lN6hipcub16HIPCUB_304000_NS6detail34convert_binary_result_type_wrapperINS9_3SumENS9_22TransformInputIteratorIb7NonZeroIsEPslEElEEEE10hipError_tPvRmT1_T2_T3_mT4_P12ihipStream_tbEUlT_E1_NS1_11comp_targetILNS1_3genE5ELNS1_11target_archE942ELNS1_3gpuE9ELNS1_3repE0EEENS1_30default_config_static_selectorELNS0_4arch9wavefront6targetE1EEEvSM_.numbered_sgpr, 0
	.set _ZN7rocprim17ROCPRIM_400000_NS6detail17trampoline_kernelINS0_14default_configENS1_22reduce_config_selectorIlEEZNS1_11reduce_implILb1ES3_PlS7_lN6hipcub16HIPCUB_304000_NS6detail34convert_binary_result_type_wrapperINS9_3SumENS9_22TransformInputIteratorIb7NonZeroIsEPslEElEEEE10hipError_tPvRmT1_T2_T3_mT4_P12ihipStream_tbEUlT_E1_NS1_11comp_targetILNS1_3genE5ELNS1_11target_archE942ELNS1_3gpuE9ELNS1_3repE0EEENS1_30default_config_static_selectorELNS0_4arch9wavefront6targetE1EEEvSM_.num_named_barrier, 0
	.set _ZN7rocprim17ROCPRIM_400000_NS6detail17trampoline_kernelINS0_14default_configENS1_22reduce_config_selectorIlEEZNS1_11reduce_implILb1ES3_PlS7_lN6hipcub16HIPCUB_304000_NS6detail34convert_binary_result_type_wrapperINS9_3SumENS9_22TransformInputIteratorIb7NonZeroIsEPslEElEEEE10hipError_tPvRmT1_T2_T3_mT4_P12ihipStream_tbEUlT_E1_NS1_11comp_targetILNS1_3genE5ELNS1_11target_archE942ELNS1_3gpuE9ELNS1_3repE0EEENS1_30default_config_static_selectorELNS0_4arch9wavefront6targetE1EEEvSM_.private_seg_size, 0
	.set _ZN7rocprim17ROCPRIM_400000_NS6detail17trampoline_kernelINS0_14default_configENS1_22reduce_config_selectorIlEEZNS1_11reduce_implILb1ES3_PlS7_lN6hipcub16HIPCUB_304000_NS6detail34convert_binary_result_type_wrapperINS9_3SumENS9_22TransformInputIteratorIb7NonZeroIsEPslEElEEEE10hipError_tPvRmT1_T2_T3_mT4_P12ihipStream_tbEUlT_E1_NS1_11comp_targetILNS1_3genE5ELNS1_11target_archE942ELNS1_3gpuE9ELNS1_3repE0EEENS1_30default_config_static_selectorELNS0_4arch9wavefront6targetE1EEEvSM_.uses_vcc, 0
	.set _ZN7rocprim17ROCPRIM_400000_NS6detail17trampoline_kernelINS0_14default_configENS1_22reduce_config_selectorIlEEZNS1_11reduce_implILb1ES3_PlS7_lN6hipcub16HIPCUB_304000_NS6detail34convert_binary_result_type_wrapperINS9_3SumENS9_22TransformInputIteratorIb7NonZeroIsEPslEElEEEE10hipError_tPvRmT1_T2_T3_mT4_P12ihipStream_tbEUlT_E1_NS1_11comp_targetILNS1_3genE5ELNS1_11target_archE942ELNS1_3gpuE9ELNS1_3repE0EEENS1_30default_config_static_selectorELNS0_4arch9wavefront6targetE1EEEvSM_.uses_flat_scratch, 0
	.set _ZN7rocprim17ROCPRIM_400000_NS6detail17trampoline_kernelINS0_14default_configENS1_22reduce_config_selectorIlEEZNS1_11reduce_implILb1ES3_PlS7_lN6hipcub16HIPCUB_304000_NS6detail34convert_binary_result_type_wrapperINS9_3SumENS9_22TransformInputIteratorIb7NonZeroIsEPslEElEEEE10hipError_tPvRmT1_T2_T3_mT4_P12ihipStream_tbEUlT_E1_NS1_11comp_targetILNS1_3genE5ELNS1_11target_archE942ELNS1_3gpuE9ELNS1_3repE0EEENS1_30default_config_static_selectorELNS0_4arch9wavefront6targetE1EEEvSM_.has_dyn_sized_stack, 0
	.set _ZN7rocprim17ROCPRIM_400000_NS6detail17trampoline_kernelINS0_14default_configENS1_22reduce_config_selectorIlEEZNS1_11reduce_implILb1ES3_PlS7_lN6hipcub16HIPCUB_304000_NS6detail34convert_binary_result_type_wrapperINS9_3SumENS9_22TransformInputIteratorIb7NonZeroIsEPslEElEEEE10hipError_tPvRmT1_T2_T3_mT4_P12ihipStream_tbEUlT_E1_NS1_11comp_targetILNS1_3genE5ELNS1_11target_archE942ELNS1_3gpuE9ELNS1_3repE0EEENS1_30default_config_static_selectorELNS0_4arch9wavefront6targetE1EEEvSM_.has_recursion, 0
	.set _ZN7rocprim17ROCPRIM_400000_NS6detail17trampoline_kernelINS0_14default_configENS1_22reduce_config_selectorIlEEZNS1_11reduce_implILb1ES3_PlS7_lN6hipcub16HIPCUB_304000_NS6detail34convert_binary_result_type_wrapperINS9_3SumENS9_22TransformInputIteratorIb7NonZeroIsEPslEElEEEE10hipError_tPvRmT1_T2_T3_mT4_P12ihipStream_tbEUlT_E1_NS1_11comp_targetILNS1_3genE5ELNS1_11target_archE942ELNS1_3gpuE9ELNS1_3repE0EEENS1_30default_config_static_selectorELNS0_4arch9wavefront6targetE1EEEvSM_.has_indirect_call, 0
	.section	.AMDGPU.csdata,"",@progbits
; Kernel info:
; codeLenInByte = 0
; TotalNumSgprs: 4
; NumVgprs: 0
; ScratchSize: 0
; MemoryBound: 0
; FloatMode: 240
; IeeeMode: 1
; LDSByteSize: 0 bytes/workgroup (compile time only)
; SGPRBlocks: 0
; VGPRBlocks: 0
; NumSGPRsForWavesPerEU: 4
; NumVGPRsForWavesPerEU: 1
; Occupancy: 10
; WaveLimiterHint : 0
; COMPUTE_PGM_RSRC2:SCRATCH_EN: 0
; COMPUTE_PGM_RSRC2:USER_SGPR: 6
; COMPUTE_PGM_RSRC2:TRAP_HANDLER: 0
; COMPUTE_PGM_RSRC2:TGID_X_EN: 1
; COMPUTE_PGM_RSRC2:TGID_Y_EN: 0
; COMPUTE_PGM_RSRC2:TGID_Z_EN: 0
; COMPUTE_PGM_RSRC2:TIDIG_COMP_CNT: 0
	.section	.text._ZN7rocprim17ROCPRIM_400000_NS6detail17trampoline_kernelINS0_14default_configENS1_22reduce_config_selectorIlEEZNS1_11reduce_implILb1ES3_PlS7_lN6hipcub16HIPCUB_304000_NS6detail34convert_binary_result_type_wrapperINS9_3SumENS9_22TransformInputIteratorIb7NonZeroIsEPslEElEEEE10hipError_tPvRmT1_T2_T3_mT4_P12ihipStream_tbEUlT_E1_NS1_11comp_targetILNS1_3genE4ELNS1_11target_archE910ELNS1_3gpuE8ELNS1_3repE0EEENS1_30default_config_static_selectorELNS0_4arch9wavefront6targetE1EEEvSM_,"axG",@progbits,_ZN7rocprim17ROCPRIM_400000_NS6detail17trampoline_kernelINS0_14default_configENS1_22reduce_config_selectorIlEEZNS1_11reduce_implILb1ES3_PlS7_lN6hipcub16HIPCUB_304000_NS6detail34convert_binary_result_type_wrapperINS9_3SumENS9_22TransformInputIteratorIb7NonZeroIsEPslEElEEEE10hipError_tPvRmT1_T2_T3_mT4_P12ihipStream_tbEUlT_E1_NS1_11comp_targetILNS1_3genE4ELNS1_11target_archE910ELNS1_3gpuE8ELNS1_3repE0EEENS1_30default_config_static_selectorELNS0_4arch9wavefront6targetE1EEEvSM_,comdat
	.protected	_ZN7rocprim17ROCPRIM_400000_NS6detail17trampoline_kernelINS0_14default_configENS1_22reduce_config_selectorIlEEZNS1_11reduce_implILb1ES3_PlS7_lN6hipcub16HIPCUB_304000_NS6detail34convert_binary_result_type_wrapperINS9_3SumENS9_22TransformInputIteratorIb7NonZeroIsEPslEElEEEE10hipError_tPvRmT1_T2_T3_mT4_P12ihipStream_tbEUlT_E1_NS1_11comp_targetILNS1_3genE4ELNS1_11target_archE910ELNS1_3gpuE8ELNS1_3repE0EEENS1_30default_config_static_selectorELNS0_4arch9wavefront6targetE1EEEvSM_ ; -- Begin function _ZN7rocprim17ROCPRIM_400000_NS6detail17trampoline_kernelINS0_14default_configENS1_22reduce_config_selectorIlEEZNS1_11reduce_implILb1ES3_PlS7_lN6hipcub16HIPCUB_304000_NS6detail34convert_binary_result_type_wrapperINS9_3SumENS9_22TransformInputIteratorIb7NonZeroIsEPslEElEEEE10hipError_tPvRmT1_T2_T3_mT4_P12ihipStream_tbEUlT_E1_NS1_11comp_targetILNS1_3genE4ELNS1_11target_archE910ELNS1_3gpuE8ELNS1_3repE0EEENS1_30default_config_static_selectorELNS0_4arch9wavefront6targetE1EEEvSM_
	.globl	_ZN7rocprim17ROCPRIM_400000_NS6detail17trampoline_kernelINS0_14default_configENS1_22reduce_config_selectorIlEEZNS1_11reduce_implILb1ES3_PlS7_lN6hipcub16HIPCUB_304000_NS6detail34convert_binary_result_type_wrapperINS9_3SumENS9_22TransformInputIteratorIb7NonZeroIsEPslEElEEEE10hipError_tPvRmT1_T2_T3_mT4_P12ihipStream_tbEUlT_E1_NS1_11comp_targetILNS1_3genE4ELNS1_11target_archE910ELNS1_3gpuE8ELNS1_3repE0EEENS1_30default_config_static_selectorELNS0_4arch9wavefront6targetE1EEEvSM_
	.p2align	8
	.type	_ZN7rocprim17ROCPRIM_400000_NS6detail17trampoline_kernelINS0_14default_configENS1_22reduce_config_selectorIlEEZNS1_11reduce_implILb1ES3_PlS7_lN6hipcub16HIPCUB_304000_NS6detail34convert_binary_result_type_wrapperINS9_3SumENS9_22TransformInputIteratorIb7NonZeroIsEPslEElEEEE10hipError_tPvRmT1_T2_T3_mT4_P12ihipStream_tbEUlT_E1_NS1_11comp_targetILNS1_3genE4ELNS1_11target_archE910ELNS1_3gpuE8ELNS1_3repE0EEENS1_30default_config_static_selectorELNS0_4arch9wavefront6targetE1EEEvSM_,@function
_ZN7rocprim17ROCPRIM_400000_NS6detail17trampoline_kernelINS0_14default_configENS1_22reduce_config_selectorIlEEZNS1_11reduce_implILb1ES3_PlS7_lN6hipcub16HIPCUB_304000_NS6detail34convert_binary_result_type_wrapperINS9_3SumENS9_22TransformInputIteratorIb7NonZeroIsEPslEElEEEE10hipError_tPvRmT1_T2_T3_mT4_P12ihipStream_tbEUlT_E1_NS1_11comp_targetILNS1_3genE4ELNS1_11target_archE910ELNS1_3gpuE8ELNS1_3repE0EEENS1_30default_config_static_selectorELNS0_4arch9wavefront6targetE1EEEvSM_: ; @_ZN7rocprim17ROCPRIM_400000_NS6detail17trampoline_kernelINS0_14default_configENS1_22reduce_config_selectorIlEEZNS1_11reduce_implILb1ES3_PlS7_lN6hipcub16HIPCUB_304000_NS6detail34convert_binary_result_type_wrapperINS9_3SumENS9_22TransformInputIteratorIb7NonZeroIsEPslEElEEEE10hipError_tPvRmT1_T2_T3_mT4_P12ihipStream_tbEUlT_E1_NS1_11comp_targetILNS1_3genE4ELNS1_11target_archE910ELNS1_3gpuE8ELNS1_3repE0EEENS1_30default_config_static_selectorELNS0_4arch9wavefront6targetE1EEEvSM_
; %bb.0:
	.section	.rodata,"a",@progbits
	.p2align	6, 0x0
	.amdhsa_kernel _ZN7rocprim17ROCPRIM_400000_NS6detail17trampoline_kernelINS0_14default_configENS1_22reduce_config_selectorIlEEZNS1_11reduce_implILb1ES3_PlS7_lN6hipcub16HIPCUB_304000_NS6detail34convert_binary_result_type_wrapperINS9_3SumENS9_22TransformInputIteratorIb7NonZeroIsEPslEElEEEE10hipError_tPvRmT1_T2_T3_mT4_P12ihipStream_tbEUlT_E1_NS1_11comp_targetILNS1_3genE4ELNS1_11target_archE910ELNS1_3gpuE8ELNS1_3repE0EEENS1_30default_config_static_selectorELNS0_4arch9wavefront6targetE1EEEvSM_
		.amdhsa_group_segment_fixed_size 0
		.amdhsa_private_segment_fixed_size 0
		.amdhsa_kernarg_size 48
		.amdhsa_user_sgpr_count 6
		.amdhsa_user_sgpr_private_segment_buffer 1
		.amdhsa_user_sgpr_dispatch_ptr 0
		.amdhsa_user_sgpr_queue_ptr 0
		.amdhsa_user_sgpr_kernarg_segment_ptr 1
		.amdhsa_user_sgpr_dispatch_id 0
		.amdhsa_user_sgpr_flat_scratch_init 0
		.amdhsa_user_sgpr_private_segment_size 0
		.amdhsa_uses_dynamic_stack 0
		.amdhsa_system_sgpr_private_segment_wavefront_offset 0
		.amdhsa_system_sgpr_workgroup_id_x 1
		.amdhsa_system_sgpr_workgroup_id_y 0
		.amdhsa_system_sgpr_workgroup_id_z 0
		.amdhsa_system_sgpr_workgroup_info 0
		.amdhsa_system_vgpr_workitem_id 0
		.amdhsa_next_free_vgpr 1
		.amdhsa_next_free_sgpr 0
		.amdhsa_reserve_vcc 0
		.amdhsa_reserve_flat_scratch 0
		.amdhsa_float_round_mode_32 0
		.amdhsa_float_round_mode_16_64 0
		.amdhsa_float_denorm_mode_32 3
		.amdhsa_float_denorm_mode_16_64 3
		.amdhsa_dx10_clamp 1
		.amdhsa_ieee_mode 1
		.amdhsa_fp16_overflow 0
		.amdhsa_exception_fp_ieee_invalid_op 0
		.amdhsa_exception_fp_denorm_src 0
		.amdhsa_exception_fp_ieee_div_zero 0
		.amdhsa_exception_fp_ieee_overflow 0
		.amdhsa_exception_fp_ieee_underflow 0
		.amdhsa_exception_fp_ieee_inexact 0
		.amdhsa_exception_int_div_zero 0
	.end_amdhsa_kernel
	.section	.text._ZN7rocprim17ROCPRIM_400000_NS6detail17trampoline_kernelINS0_14default_configENS1_22reduce_config_selectorIlEEZNS1_11reduce_implILb1ES3_PlS7_lN6hipcub16HIPCUB_304000_NS6detail34convert_binary_result_type_wrapperINS9_3SumENS9_22TransformInputIteratorIb7NonZeroIsEPslEElEEEE10hipError_tPvRmT1_T2_T3_mT4_P12ihipStream_tbEUlT_E1_NS1_11comp_targetILNS1_3genE4ELNS1_11target_archE910ELNS1_3gpuE8ELNS1_3repE0EEENS1_30default_config_static_selectorELNS0_4arch9wavefront6targetE1EEEvSM_,"axG",@progbits,_ZN7rocprim17ROCPRIM_400000_NS6detail17trampoline_kernelINS0_14default_configENS1_22reduce_config_selectorIlEEZNS1_11reduce_implILb1ES3_PlS7_lN6hipcub16HIPCUB_304000_NS6detail34convert_binary_result_type_wrapperINS9_3SumENS9_22TransformInputIteratorIb7NonZeroIsEPslEElEEEE10hipError_tPvRmT1_T2_T3_mT4_P12ihipStream_tbEUlT_E1_NS1_11comp_targetILNS1_3genE4ELNS1_11target_archE910ELNS1_3gpuE8ELNS1_3repE0EEENS1_30default_config_static_selectorELNS0_4arch9wavefront6targetE1EEEvSM_,comdat
.Lfunc_end92:
	.size	_ZN7rocprim17ROCPRIM_400000_NS6detail17trampoline_kernelINS0_14default_configENS1_22reduce_config_selectorIlEEZNS1_11reduce_implILb1ES3_PlS7_lN6hipcub16HIPCUB_304000_NS6detail34convert_binary_result_type_wrapperINS9_3SumENS9_22TransformInputIteratorIb7NonZeroIsEPslEElEEEE10hipError_tPvRmT1_T2_T3_mT4_P12ihipStream_tbEUlT_E1_NS1_11comp_targetILNS1_3genE4ELNS1_11target_archE910ELNS1_3gpuE8ELNS1_3repE0EEENS1_30default_config_static_selectorELNS0_4arch9wavefront6targetE1EEEvSM_, .Lfunc_end92-_ZN7rocprim17ROCPRIM_400000_NS6detail17trampoline_kernelINS0_14default_configENS1_22reduce_config_selectorIlEEZNS1_11reduce_implILb1ES3_PlS7_lN6hipcub16HIPCUB_304000_NS6detail34convert_binary_result_type_wrapperINS9_3SumENS9_22TransformInputIteratorIb7NonZeroIsEPslEElEEEE10hipError_tPvRmT1_T2_T3_mT4_P12ihipStream_tbEUlT_E1_NS1_11comp_targetILNS1_3genE4ELNS1_11target_archE910ELNS1_3gpuE8ELNS1_3repE0EEENS1_30default_config_static_selectorELNS0_4arch9wavefront6targetE1EEEvSM_
                                        ; -- End function
	.set _ZN7rocprim17ROCPRIM_400000_NS6detail17trampoline_kernelINS0_14default_configENS1_22reduce_config_selectorIlEEZNS1_11reduce_implILb1ES3_PlS7_lN6hipcub16HIPCUB_304000_NS6detail34convert_binary_result_type_wrapperINS9_3SumENS9_22TransformInputIteratorIb7NonZeroIsEPslEElEEEE10hipError_tPvRmT1_T2_T3_mT4_P12ihipStream_tbEUlT_E1_NS1_11comp_targetILNS1_3genE4ELNS1_11target_archE910ELNS1_3gpuE8ELNS1_3repE0EEENS1_30default_config_static_selectorELNS0_4arch9wavefront6targetE1EEEvSM_.num_vgpr, 0
	.set _ZN7rocprim17ROCPRIM_400000_NS6detail17trampoline_kernelINS0_14default_configENS1_22reduce_config_selectorIlEEZNS1_11reduce_implILb1ES3_PlS7_lN6hipcub16HIPCUB_304000_NS6detail34convert_binary_result_type_wrapperINS9_3SumENS9_22TransformInputIteratorIb7NonZeroIsEPslEElEEEE10hipError_tPvRmT1_T2_T3_mT4_P12ihipStream_tbEUlT_E1_NS1_11comp_targetILNS1_3genE4ELNS1_11target_archE910ELNS1_3gpuE8ELNS1_3repE0EEENS1_30default_config_static_selectorELNS0_4arch9wavefront6targetE1EEEvSM_.num_agpr, 0
	.set _ZN7rocprim17ROCPRIM_400000_NS6detail17trampoline_kernelINS0_14default_configENS1_22reduce_config_selectorIlEEZNS1_11reduce_implILb1ES3_PlS7_lN6hipcub16HIPCUB_304000_NS6detail34convert_binary_result_type_wrapperINS9_3SumENS9_22TransformInputIteratorIb7NonZeroIsEPslEElEEEE10hipError_tPvRmT1_T2_T3_mT4_P12ihipStream_tbEUlT_E1_NS1_11comp_targetILNS1_3genE4ELNS1_11target_archE910ELNS1_3gpuE8ELNS1_3repE0EEENS1_30default_config_static_selectorELNS0_4arch9wavefront6targetE1EEEvSM_.numbered_sgpr, 0
	.set _ZN7rocprim17ROCPRIM_400000_NS6detail17trampoline_kernelINS0_14default_configENS1_22reduce_config_selectorIlEEZNS1_11reduce_implILb1ES3_PlS7_lN6hipcub16HIPCUB_304000_NS6detail34convert_binary_result_type_wrapperINS9_3SumENS9_22TransformInputIteratorIb7NonZeroIsEPslEElEEEE10hipError_tPvRmT1_T2_T3_mT4_P12ihipStream_tbEUlT_E1_NS1_11comp_targetILNS1_3genE4ELNS1_11target_archE910ELNS1_3gpuE8ELNS1_3repE0EEENS1_30default_config_static_selectorELNS0_4arch9wavefront6targetE1EEEvSM_.num_named_barrier, 0
	.set _ZN7rocprim17ROCPRIM_400000_NS6detail17trampoline_kernelINS0_14default_configENS1_22reduce_config_selectorIlEEZNS1_11reduce_implILb1ES3_PlS7_lN6hipcub16HIPCUB_304000_NS6detail34convert_binary_result_type_wrapperINS9_3SumENS9_22TransformInputIteratorIb7NonZeroIsEPslEElEEEE10hipError_tPvRmT1_T2_T3_mT4_P12ihipStream_tbEUlT_E1_NS1_11comp_targetILNS1_3genE4ELNS1_11target_archE910ELNS1_3gpuE8ELNS1_3repE0EEENS1_30default_config_static_selectorELNS0_4arch9wavefront6targetE1EEEvSM_.private_seg_size, 0
	.set _ZN7rocprim17ROCPRIM_400000_NS6detail17trampoline_kernelINS0_14default_configENS1_22reduce_config_selectorIlEEZNS1_11reduce_implILb1ES3_PlS7_lN6hipcub16HIPCUB_304000_NS6detail34convert_binary_result_type_wrapperINS9_3SumENS9_22TransformInputIteratorIb7NonZeroIsEPslEElEEEE10hipError_tPvRmT1_T2_T3_mT4_P12ihipStream_tbEUlT_E1_NS1_11comp_targetILNS1_3genE4ELNS1_11target_archE910ELNS1_3gpuE8ELNS1_3repE0EEENS1_30default_config_static_selectorELNS0_4arch9wavefront6targetE1EEEvSM_.uses_vcc, 0
	.set _ZN7rocprim17ROCPRIM_400000_NS6detail17trampoline_kernelINS0_14default_configENS1_22reduce_config_selectorIlEEZNS1_11reduce_implILb1ES3_PlS7_lN6hipcub16HIPCUB_304000_NS6detail34convert_binary_result_type_wrapperINS9_3SumENS9_22TransformInputIteratorIb7NonZeroIsEPslEElEEEE10hipError_tPvRmT1_T2_T3_mT4_P12ihipStream_tbEUlT_E1_NS1_11comp_targetILNS1_3genE4ELNS1_11target_archE910ELNS1_3gpuE8ELNS1_3repE0EEENS1_30default_config_static_selectorELNS0_4arch9wavefront6targetE1EEEvSM_.uses_flat_scratch, 0
	.set _ZN7rocprim17ROCPRIM_400000_NS6detail17trampoline_kernelINS0_14default_configENS1_22reduce_config_selectorIlEEZNS1_11reduce_implILb1ES3_PlS7_lN6hipcub16HIPCUB_304000_NS6detail34convert_binary_result_type_wrapperINS9_3SumENS9_22TransformInputIteratorIb7NonZeroIsEPslEElEEEE10hipError_tPvRmT1_T2_T3_mT4_P12ihipStream_tbEUlT_E1_NS1_11comp_targetILNS1_3genE4ELNS1_11target_archE910ELNS1_3gpuE8ELNS1_3repE0EEENS1_30default_config_static_selectorELNS0_4arch9wavefront6targetE1EEEvSM_.has_dyn_sized_stack, 0
	.set _ZN7rocprim17ROCPRIM_400000_NS6detail17trampoline_kernelINS0_14default_configENS1_22reduce_config_selectorIlEEZNS1_11reduce_implILb1ES3_PlS7_lN6hipcub16HIPCUB_304000_NS6detail34convert_binary_result_type_wrapperINS9_3SumENS9_22TransformInputIteratorIb7NonZeroIsEPslEElEEEE10hipError_tPvRmT1_T2_T3_mT4_P12ihipStream_tbEUlT_E1_NS1_11comp_targetILNS1_3genE4ELNS1_11target_archE910ELNS1_3gpuE8ELNS1_3repE0EEENS1_30default_config_static_selectorELNS0_4arch9wavefront6targetE1EEEvSM_.has_recursion, 0
	.set _ZN7rocprim17ROCPRIM_400000_NS6detail17trampoline_kernelINS0_14default_configENS1_22reduce_config_selectorIlEEZNS1_11reduce_implILb1ES3_PlS7_lN6hipcub16HIPCUB_304000_NS6detail34convert_binary_result_type_wrapperINS9_3SumENS9_22TransformInputIteratorIb7NonZeroIsEPslEElEEEE10hipError_tPvRmT1_T2_T3_mT4_P12ihipStream_tbEUlT_E1_NS1_11comp_targetILNS1_3genE4ELNS1_11target_archE910ELNS1_3gpuE8ELNS1_3repE0EEENS1_30default_config_static_selectorELNS0_4arch9wavefront6targetE1EEEvSM_.has_indirect_call, 0
	.section	.AMDGPU.csdata,"",@progbits
; Kernel info:
; codeLenInByte = 0
; TotalNumSgprs: 4
; NumVgprs: 0
; ScratchSize: 0
; MemoryBound: 0
; FloatMode: 240
; IeeeMode: 1
; LDSByteSize: 0 bytes/workgroup (compile time only)
; SGPRBlocks: 0
; VGPRBlocks: 0
; NumSGPRsForWavesPerEU: 4
; NumVGPRsForWavesPerEU: 1
; Occupancy: 10
; WaveLimiterHint : 0
; COMPUTE_PGM_RSRC2:SCRATCH_EN: 0
; COMPUTE_PGM_RSRC2:USER_SGPR: 6
; COMPUTE_PGM_RSRC2:TRAP_HANDLER: 0
; COMPUTE_PGM_RSRC2:TGID_X_EN: 1
; COMPUTE_PGM_RSRC2:TGID_Y_EN: 0
; COMPUTE_PGM_RSRC2:TGID_Z_EN: 0
; COMPUTE_PGM_RSRC2:TIDIG_COMP_CNT: 0
	.section	.text._ZN7rocprim17ROCPRIM_400000_NS6detail17trampoline_kernelINS0_14default_configENS1_22reduce_config_selectorIlEEZNS1_11reduce_implILb1ES3_PlS7_lN6hipcub16HIPCUB_304000_NS6detail34convert_binary_result_type_wrapperINS9_3SumENS9_22TransformInputIteratorIb7NonZeroIsEPslEElEEEE10hipError_tPvRmT1_T2_T3_mT4_P12ihipStream_tbEUlT_E1_NS1_11comp_targetILNS1_3genE3ELNS1_11target_archE908ELNS1_3gpuE7ELNS1_3repE0EEENS1_30default_config_static_selectorELNS0_4arch9wavefront6targetE1EEEvSM_,"axG",@progbits,_ZN7rocprim17ROCPRIM_400000_NS6detail17trampoline_kernelINS0_14default_configENS1_22reduce_config_selectorIlEEZNS1_11reduce_implILb1ES3_PlS7_lN6hipcub16HIPCUB_304000_NS6detail34convert_binary_result_type_wrapperINS9_3SumENS9_22TransformInputIteratorIb7NonZeroIsEPslEElEEEE10hipError_tPvRmT1_T2_T3_mT4_P12ihipStream_tbEUlT_E1_NS1_11comp_targetILNS1_3genE3ELNS1_11target_archE908ELNS1_3gpuE7ELNS1_3repE0EEENS1_30default_config_static_selectorELNS0_4arch9wavefront6targetE1EEEvSM_,comdat
	.protected	_ZN7rocprim17ROCPRIM_400000_NS6detail17trampoline_kernelINS0_14default_configENS1_22reduce_config_selectorIlEEZNS1_11reduce_implILb1ES3_PlS7_lN6hipcub16HIPCUB_304000_NS6detail34convert_binary_result_type_wrapperINS9_3SumENS9_22TransformInputIteratorIb7NonZeroIsEPslEElEEEE10hipError_tPvRmT1_T2_T3_mT4_P12ihipStream_tbEUlT_E1_NS1_11comp_targetILNS1_3genE3ELNS1_11target_archE908ELNS1_3gpuE7ELNS1_3repE0EEENS1_30default_config_static_selectorELNS0_4arch9wavefront6targetE1EEEvSM_ ; -- Begin function _ZN7rocprim17ROCPRIM_400000_NS6detail17trampoline_kernelINS0_14default_configENS1_22reduce_config_selectorIlEEZNS1_11reduce_implILb1ES3_PlS7_lN6hipcub16HIPCUB_304000_NS6detail34convert_binary_result_type_wrapperINS9_3SumENS9_22TransformInputIteratorIb7NonZeroIsEPslEElEEEE10hipError_tPvRmT1_T2_T3_mT4_P12ihipStream_tbEUlT_E1_NS1_11comp_targetILNS1_3genE3ELNS1_11target_archE908ELNS1_3gpuE7ELNS1_3repE0EEENS1_30default_config_static_selectorELNS0_4arch9wavefront6targetE1EEEvSM_
	.globl	_ZN7rocprim17ROCPRIM_400000_NS6detail17trampoline_kernelINS0_14default_configENS1_22reduce_config_selectorIlEEZNS1_11reduce_implILb1ES3_PlS7_lN6hipcub16HIPCUB_304000_NS6detail34convert_binary_result_type_wrapperINS9_3SumENS9_22TransformInputIteratorIb7NonZeroIsEPslEElEEEE10hipError_tPvRmT1_T2_T3_mT4_P12ihipStream_tbEUlT_E1_NS1_11comp_targetILNS1_3genE3ELNS1_11target_archE908ELNS1_3gpuE7ELNS1_3repE0EEENS1_30default_config_static_selectorELNS0_4arch9wavefront6targetE1EEEvSM_
	.p2align	8
	.type	_ZN7rocprim17ROCPRIM_400000_NS6detail17trampoline_kernelINS0_14default_configENS1_22reduce_config_selectorIlEEZNS1_11reduce_implILb1ES3_PlS7_lN6hipcub16HIPCUB_304000_NS6detail34convert_binary_result_type_wrapperINS9_3SumENS9_22TransformInputIteratorIb7NonZeroIsEPslEElEEEE10hipError_tPvRmT1_T2_T3_mT4_P12ihipStream_tbEUlT_E1_NS1_11comp_targetILNS1_3genE3ELNS1_11target_archE908ELNS1_3gpuE7ELNS1_3repE0EEENS1_30default_config_static_selectorELNS0_4arch9wavefront6targetE1EEEvSM_,@function
_ZN7rocprim17ROCPRIM_400000_NS6detail17trampoline_kernelINS0_14default_configENS1_22reduce_config_selectorIlEEZNS1_11reduce_implILb1ES3_PlS7_lN6hipcub16HIPCUB_304000_NS6detail34convert_binary_result_type_wrapperINS9_3SumENS9_22TransformInputIteratorIb7NonZeroIsEPslEElEEEE10hipError_tPvRmT1_T2_T3_mT4_P12ihipStream_tbEUlT_E1_NS1_11comp_targetILNS1_3genE3ELNS1_11target_archE908ELNS1_3gpuE7ELNS1_3repE0EEENS1_30default_config_static_selectorELNS0_4arch9wavefront6targetE1EEEvSM_: ; @_ZN7rocprim17ROCPRIM_400000_NS6detail17trampoline_kernelINS0_14default_configENS1_22reduce_config_selectorIlEEZNS1_11reduce_implILb1ES3_PlS7_lN6hipcub16HIPCUB_304000_NS6detail34convert_binary_result_type_wrapperINS9_3SumENS9_22TransformInputIteratorIb7NonZeroIsEPslEElEEEE10hipError_tPvRmT1_T2_T3_mT4_P12ihipStream_tbEUlT_E1_NS1_11comp_targetILNS1_3genE3ELNS1_11target_archE908ELNS1_3gpuE7ELNS1_3repE0EEENS1_30default_config_static_selectorELNS0_4arch9wavefront6targetE1EEEvSM_
; %bb.0:
	.section	.rodata,"a",@progbits
	.p2align	6, 0x0
	.amdhsa_kernel _ZN7rocprim17ROCPRIM_400000_NS6detail17trampoline_kernelINS0_14default_configENS1_22reduce_config_selectorIlEEZNS1_11reduce_implILb1ES3_PlS7_lN6hipcub16HIPCUB_304000_NS6detail34convert_binary_result_type_wrapperINS9_3SumENS9_22TransformInputIteratorIb7NonZeroIsEPslEElEEEE10hipError_tPvRmT1_T2_T3_mT4_P12ihipStream_tbEUlT_E1_NS1_11comp_targetILNS1_3genE3ELNS1_11target_archE908ELNS1_3gpuE7ELNS1_3repE0EEENS1_30default_config_static_selectorELNS0_4arch9wavefront6targetE1EEEvSM_
		.amdhsa_group_segment_fixed_size 0
		.amdhsa_private_segment_fixed_size 0
		.amdhsa_kernarg_size 48
		.amdhsa_user_sgpr_count 6
		.amdhsa_user_sgpr_private_segment_buffer 1
		.amdhsa_user_sgpr_dispatch_ptr 0
		.amdhsa_user_sgpr_queue_ptr 0
		.amdhsa_user_sgpr_kernarg_segment_ptr 1
		.amdhsa_user_sgpr_dispatch_id 0
		.amdhsa_user_sgpr_flat_scratch_init 0
		.amdhsa_user_sgpr_private_segment_size 0
		.amdhsa_uses_dynamic_stack 0
		.amdhsa_system_sgpr_private_segment_wavefront_offset 0
		.amdhsa_system_sgpr_workgroup_id_x 1
		.amdhsa_system_sgpr_workgroup_id_y 0
		.amdhsa_system_sgpr_workgroup_id_z 0
		.amdhsa_system_sgpr_workgroup_info 0
		.amdhsa_system_vgpr_workitem_id 0
		.amdhsa_next_free_vgpr 1
		.amdhsa_next_free_sgpr 0
		.amdhsa_reserve_vcc 0
		.amdhsa_reserve_flat_scratch 0
		.amdhsa_float_round_mode_32 0
		.amdhsa_float_round_mode_16_64 0
		.amdhsa_float_denorm_mode_32 3
		.amdhsa_float_denorm_mode_16_64 3
		.amdhsa_dx10_clamp 1
		.amdhsa_ieee_mode 1
		.amdhsa_fp16_overflow 0
		.amdhsa_exception_fp_ieee_invalid_op 0
		.amdhsa_exception_fp_denorm_src 0
		.amdhsa_exception_fp_ieee_div_zero 0
		.amdhsa_exception_fp_ieee_overflow 0
		.amdhsa_exception_fp_ieee_underflow 0
		.amdhsa_exception_fp_ieee_inexact 0
		.amdhsa_exception_int_div_zero 0
	.end_amdhsa_kernel
	.section	.text._ZN7rocprim17ROCPRIM_400000_NS6detail17trampoline_kernelINS0_14default_configENS1_22reduce_config_selectorIlEEZNS1_11reduce_implILb1ES3_PlS7_lN6hipcub16HIPCUB_304000_NS6detail34convert_binary_result_type_wrapperINS9_3SumENS9_22TransformInputIteratorIb7NonZeroIsEPslEElEEEE10hipError_tPvRmT1_T2_T3_mT4_P12ihipStream_tbEUlT_E1_NS1_11comp_targetILNS1_3genE3ELNS1_11target_archE908ELNS1_3gpuE7ELNS1_3repE0EEENS1_30default_config_static_selectorELNS0_4arch9wavefront6targetE1EEEvSM_,"axG",@progbits,_ZN7rocprim17ROCPRIM_400000_NS6detail17trampoline_kernelINS0_14default_configENS1_22reduce_config_selectorIlEEZNS1_11reduce_implILb1ES3_PlS7_lN6hipcub16HIPCUB_304000_NS6detail34convert_binary_result_type_wrapperINS9_3SumENS9_22TransformInputIteratorIb7NonZeroIsEPslEElEEEE10hipError_tPvRmT1_T2_T3_mT4_P12ihipStream_tbEUlT_E1_NS1_11comp_targetILNS1_3genE3ELNS1_11target_archE908ELNS1_3gpuE7ELNS1_3repE0EEENS1_30default_config_static_selectorELNS0_4arch9wavefront6targetE1EEEvSM_,comdat
.Lfunc_end93:
	.size	_ZN7rocprim17ROCPRIM_400000_NS6detail17trampoline_kernelINS0_14default_configENS1_22reduce_config_selectorIlEEZNS1_11reduce_implILb1ES3_PlS7_lN6hipcub16HIPCUB_304000_NS6detail34convert_binary_result_type_wrapperINS9_3SumENS9_22TransformInputIteratorIb7NonZeroIsEPslEElEEEE10hipError_tPvRmT1_T2_T3_mT4_P12ihipStream_tbEUlT_E1_NS1_11comp_targetILNS1_3genE3ELNS1_11target_archE908ELNS1_3gpuE7ELNS1_3repE0EEENS1_30default_config_static_selectorELNS0_4arch9wavefront6targetE1EEEvSM_, .Lfunc_end93-_ZN7rocprim17ROCPRIM_400000_NS6detail17trampoline_kernelINS0_14default_configENS1_22reduce_config_selectorIlEEZNS1_11reduce_implILb1ES3_PlS7_lN6hipcub16HIPCUB_304000_NS6detail34convert_binary_result_type_wrapperINS9_3SumENS9_22TransformInputIteratorIb7NonZeroIsEPslEElEEEE10hipError_tPvRmT1_T2_T3_mT4_P12ihipStream_tbEUlT_E1_NS1_11comp_targetILNS1_3genE3ELNS1_11target_archE908ELNS1_3gpuE7ELNS1_3repE0EEENS1_30default_config_static_selectorELNS0_4arch9wavefront6targetE1EEEvSM_
                                        ; -- End function
	.set _ZN7rocprim17ROCPRIM_400000_NS6detail17trampoline_kernelINS0_14default_configENS1_22reduce_config_selectorIlEEZNS1_11reduce_implILb1ES3_PlS7_lN6hipcub16HIPCUB_304000_NS6detail34convert_binary_result_type_wrapperINS9_3SumENS9_22TransformInputIteratorIb7NonZeroIsEPslEElEEEE10hipError_tPvRmT1_T2_T3_mT4_P12ihipStream_tbEUlT_E1_NS1_11comp_targetILNS1_3genE3ELNS1_11target_archE908ELNS1_3gpuE7ELNS1_3repE0EEENS1_30default_config_static_selectorELNS0_4arch9wavefront6targetE1EEEvSM_.num_vgpr, 0
	.set _ZN7rocprim17ROCPRIM_400000_NS6detail17trampoline_kernelINS0_14default_configENS1_22reduce_config_selectorIlEEZNS1_11reduce_implILb1ES3_PlS7_lN6hipcub16HIPCUB_304000_NS6detail34convert_binary_result_type_wrapperINS9_3SumENS9_22TransformInputIteratorIb7NonZeroIsEPslEElEEEE10hipError_tPvRmT1_T2_T3_mT4_P12ihipStream_tbEUlT_E1_NS1_11comp_targetILNS1_3genE3ELNS1_11target_archE908ELNS1_3gpuE7ELNS1_3repE0EEENS1_30default_config_static_selectorELNS0_4arch9wavefront6targetE1EEEvSM_.num_agpr, 0
	.set _ZN7rocprim17ROCPRIM_400000_NS6detail17trampoline_kernelINS0_14default_configENS1_22reduce_config_selectorIlEEZNS1_11reduce_implILb1ES3_PlS7_lN6hipcub16HIPCUB_304000_NS6detail34convert_binary_result_type_wrapperINS9_3SumENS9_22TransformInputIteratorIb7NonZeroIsEPslEElEEEE10hipError_tPvRmT1_T2_T3_mT4_P12ihipStream_tbEUlT_E1_NS1_11comp_targetILNS1_3genE3ELNS1_11target_archE908ELNS1_3gpuE7ELNS1_3repE0EEENS1_30default_config_static_selectorELNS0_4arch9wavefront6targetE1EEEvSM_.numbered_sgpr, 0
	.set _ZN7rocprim17ROCPRIM_400000_NS6detail17trampoline_kernelINS0_14default_configENS1_22reduce_config_selectorIlEEZNS1_11reduce_implILb1ES3_PlS7_lN6hipcub16HIPCUB_304000_NS6detail34convert_binary_result_type_wrapperINS9_3SumENS9_22TransformInputIteratorIb7NonZeroIsEPslEElEEEE10hipError_tPvRmT1_T2_T3_mT4_P12ihipStream_tbEUlT_E1_NS1_11comp_targetILNS1_3genE3ELNS1_11target_archE908ELNS1_3gpuE7ELNS1_3repE0EEENS1_30default_config_static_selectorELNS0_4arch9wavefront6targetE1EEEvSM_.num_named_barrier, 0
	.set _ZN7rocprim17ROCPRIM_400000_NS6detail17trampoline_kernelINS0_14default_configENS1_22reduce_config_selectorIlEEZNS1_11reduce_implILb1ES3_PlS7_lN6hipcub16HIPCUB_304000_NS6detail34convert_binary_result_type_wrapperINS9_3SumENS9_22TransformInputIteratorIb7NonZeroIsEPslEElEEEE10hipError_tPvRmT1_T2_T3_mT4_P12ihipStream_tbEUlT_E1_NS1_11comp_targetILNS1_3genE3ELNS1_11target_archE908ELNS1_3gpuE7ELNS1_3repE0EEENS1_30default_config_static_selectorELNS0_4arch9wavefront6targetE1EEEvSM_.private_seg_size, 0
	.set _ZN7rocprim17ROCPRIM_400000_NS6detail17trampoline_kernelINS0_14default_configENS1_22reduce_config_selectorIlEEZNS1_11reduce_implILb1ES3_PlS7_lN6hipcub16HIPCUB_304000_NS6detail34convert_binary_result_type_wrapperINS9_3SumENS9_22TransformInputIteratorIb7NonZeroIsEPslEElEEEE10hipError_tPvRmT1_T2_T3_mT4_P12ihipStream_tbEUlT_E1_NS1_11comp_targetILNS1_3genE3ELNS1_11target_archE908ELNS1_3gpuE7ELNS1_3repE0EEENS1_30default_config_static_selectorELNS0_4arch9wavefront6targetE1EEEvSM_.uses_vcc, 0
	.set _ZN7rocprim17ROCPRIM_400000_NS6detail17trampoline_kernelINS0_14default_configENS1_22reduce_config_selectorIlEEZNS1_11reduce_implILb1ES3_PlS7_lN6hipcub16HIPCUB_304000_NS6detail34convert_binary_result_type_wrapperINS9_3SumENS9_22TransformInputIteratorIb7NonZeroIsEPslEElEEEE10hipError_tPvRmT1_T2_T3_mT4_P12ihipStream_tbEUlT_E1_NS1_11comp_targetILNS1_3genE3ELNS1_11target_archE908ELNS1_3gpuE7ELNS1_3repE0EEENS1_30default_config_static_selectorELNS0_4arch9wavefront6targetE1EEEvSM_.uses_flat_scratch, 0
	.set _ZN7rocprim17ROCPRIM_400000_NS6detail17trampoline_kernelINS0_14default_configENS1_22reduce_config_selectorIlEEZNS1_11reduce_implILb1ES3_PlS7_lN6hipcub16HIPCUB_304000_NS6detail34convert_binary_result_type_wrapperINS9_3SumENS9_22TransformInputIteratorIb7NonZeroIsEPslEElEEEE10hipError_tPvRmT1_T2_T3_mT4_P12ihipStream_tbEUlT_E1_NS1_11comp_targetILNS1_3genE3ELNS1_11target_archE908ELNS1_3gpuE7ELNS1_3repE0EEENS1_30default_config_static_selectorELNS0_4arch9wavefront6targetE1EEEvSM_.has_dyn_sized_stack, 0
	.set _ZN7rocprim17ROCPRIM_400000_NS6detail17trampoline_kernelINS0_14default_configENS1_22reduce_config_selectorIlEEZNS1_11reduce_implILb1ES3_PlS7_lN6hipcub16HIPCUB_304000_NS6detail34convert_binary_result_type_wrapperINS9_3SumENS9_22TransformInputIteratorIb7NonZeroIsEPslEElEEEE10hipError_tPvRmT1_T2_T3_mT4_P12ihipStream_tbEUlT_E1_NS1_11comp_targetILNS1_3genE3ELNS1_11target_archE908ELNS1_3gpuE7ELNS1_3repE0EEENS1_30default_config_static_selectorELNS0_4arch9wavefront6targetE1EEEvSM_.has_recursion, 0
	.set _ZN7rocprim17ROCPRIM_400000_NS6detail17trampoline_kernelINS0_14default_configENS1_22reduce_config_selectorIlEEZNS1_11reduce_implILb1ES3_PlS7_lN6hipcub16HIPCUB_304000_NS6detail34convert_binary_result_type_wrapperINS9_3SumENS9_22TransformInputIteratorIb7NonZeroIsEPslEElEEEE10hipError_tPvRmT1_T2_T3_mT4_P12ihipStream_tbEUlT_E1_NS1_11comp_targetILNS1_3genE3ELNS1_11target_archE908ELNS1_3gpuE7ELNS1_3repE0EEENS1_30default_config_static_selectorELNS0_4arch9wavefront6targetE1EEEvSM_.has_indirect_call, 0
	.section	.AMDGPU.csdata,"",@progbits
; Kernel info:
; codeLenInByte = 0
; TotalNumSgprs: 4
; NumVgprs: 0
; ScratchSize: 0
; MemoryBound: 0
; FloatMode: 240
; IeeeMode: 1
; LDSByteSize: 0 bytes/workgroup (compile time only)
; SGPRBlocks: 0
; VGPRBlocks: 0
; NumSGPRsForWavesPerEU: 4
; NumVGPRsForWavesPerEU: 1
; Occupancy: 10
; WaveLimiterHint : 0
; COMPUTE_PGM_RSRC2:SCRATCH_EN: 0
; COMPUTE_PGM_RSRC2:USER_SGPR: 6
; COMPUTE_PGM_RSRC2:TRAP_HANDLER: 0
; COMPUTE_PGM_RSRC2:TGID_X_EN: 1
; COMPUTE_PGM_RSRC2:TGID_Y_EN: 0
; COMPUTE_PGM_RSRC2:TGID_Z_EN: 0
; COMPUTE_PGM_RSRC2:TIDIG_COMP_CNT: 0
	.section	.text._ZN7rocprim17ROCPRIM_400000_NS6detail17trampoline_kernelINS0_14default_configENS1_22reduce_config_selectorIlEEZNS1_11reduce_implILb1ES3_PlS7_lN6hipcub16HIPCUB_304000_NS6detail34convert_binary_result_type_wrapperINS9_3SumENS9_22TransformInputIteratorIb7NonZeroIsEPslEElEEEE10hipError_tPvRmT1_T2_T3_mT4_P12ihipStream_tbEUlT_E1_NS1_11comp_targetILNS1_3genE2ELNS1_11target_archE906ELNS1_3gpuE6ELNS1_3repE0EEENS1_30default_config_static_selectorELNS0_4arch9wavefront6targetE1EEEvSM_,"axG",@progbits,_ZN7rocprim17ROCPRIM_400000_NS6detail17trampoline_kernelINS0_14default_configENS1_22reduce_config_selectorIlEEZNS1_11reduce_implILb1ES3_PlS7_lN6hipcub16HIPCUB_304000_NS6detail34convert_binary_result_type_wrapperINS9_3SumENS9_22TransformInputIteratorIb7NonZeroIsEPslEElEEEE10hipError_tPvRmT1_T2_T3_mT4_P12ihipStream_tbEUlT_E1_NS1_11comp_targetILNS1_3genE2ELNS1_11target_archE906ELNS1_3gpuE6ELNS1_3repE0EEENS1_30default_config_static_selectorELNS0_4arch9wavefront6targetE1EEEvSM_,comdat
	.protected	_ZN7rocprim17ROCPRIM_400000_NS6detail17trampoline_kernelINS0_14default_configENS1_22reduce_config_selectorIlEEZNS1_11reduce_implILb1ES3_PlS7_lN6hipcub16HIPCUB_304000_NS6detail34convert_binary_result_type_wrapperINS9_3SumENS9_22TransformInputIteratorIb7NonZeroIsEPslEElEEEE10hipError_tPvRmT1_T2_T3_mT4_P12ihipStream_tbEUlT_E1_NS1_11comp_targetILNS1_3genE2ELNS1_11target_archE906ELNS1_3gpuE6ELNS1_3repE0EEENS1_30default_config_static_selectorELNS0_4arch9wavefront6targetE1EEEvSM_ ; -- Begin function _ZN7rocprim17ROCPRIM_400000_NS6detail17trampoline_kernelINS0_14default_configENS1_22reduce_config_selectorIlEEZNS1_11reduce_implILb1ES3_PlS7_lN6hipcub16HIPCUB_304000_NS6detail34convert_binary_result_type_wrapperINS9_3SumENS9_22TransformInputIteratorIb7NonZeroIsEPslEElEEEE10hipError_tPvRmT1_T2_T3_mT4_P12ihipStream_tbEUlT_E1_NS1_11comp_targetILNS1_3genE2ELNS1_11target_archE906ELNS1_3gpuE6ELNS1_3repE0EEENS1_30default_config_static_selectorELNS0_4arch9wavefront6targetE1EEEvSM_
	.globl	_ZN7rocprim17ROCPRIM_400000_NS6detail17trampoline_kernelINS0_14default_configENS1_22reduce_config_selectorIlEEZNS1_11reduce_implILb1ES3_PlS7_lN6hipcub16HIPCUB_304000_NS6detail34convert_binary_result_type_wrapperINS9_3SumENS9_22TransformInputIteratorIb7NonZeroIsEPslEElEEEE10hipError_tPvRmT1_T2_T3_mT4_P12ihipStream_tbEUlT_E1_NS1_11comp_targetILNS1_3genE2ELNS1_11target_archE906ELNS1_3gpuE6ELNS1_3repE0EEENS1_30default_config_static_selectorELNS0_4arch9wavefront6targetE1EEEvSM_
	.p2align	8
	.type	_ZN7rocprim17ROCPRIM_400000_NS6detail17trampoline_kernelINS0_14default_configENS1_22reduce_config_selectorIlEEZNS1_11reduce_implILb1ES3_PlS7_lN6hipcub16HIPCUB_304000_NS6detail34convert_binary_result_type_wrapperINS9_3SumENS9_22TransformInputIteratorIb7NonZeroIsEPslEElEEEE10hipError_tPvRmT1_T2_T3_mT4_P12ihipStream_tbEUlT_E1_NS1_11comp_targetILNS1_3genE2ELNS1_11target_archE906ELNS1_3gpuE6ELNS1_3repE0EEENS1_30default_config_static_selectorELNS0_4arch9wavefront6targetE1EEEvSM_,@function
_ZN7rocprim17ROCPRIM_400000_NS6detail17trampoline_kernelINS0_14default_configENS1_22reduce_config_selectorIlEEZNS1_11reduce_implILb1ES3_PlS7_lN6hipcub16HIPCUB_304000_NS6detail34convert_binary_result_type_wrapperINS9_3SumENS9_22TransformInputIteratorIb7NonZeroIsEPslEElEEEE10hipError_tPvRmT1_T2_T3_mT4_P12ihipStream_tbEUlT_E1_NS1_11comp_targetILNS1_3genE2ELNS1_11target_archE906ELNS1_3gpuE6ELNS1_3repE0EEENS1_30default_config_static_selectorELNS0_4arch9wavefront6targetE1EEEvSM_: ; @_ZN7rocprim17ROCPRIM_400000_NS6detail17trampoline_kernelINS0_14default_configENS1_22reduce_config_selectorIlEEZNS1_11reduce_implILb1ES3_PlS7_lN6hipcub16HIPCUB_304000_NS6detail34convert_binary_result_type_wrapperINS9_3SumENS9_22TransformInputIteratorIb7NonZeroIsEPslEElEEEE10hipError_tPvRmT1_T2_T3_mT4_P12ihipStream_tbEUlT_E1_NS1_11comp_targetILNS1_3genE2ELNS1_11target_archE906ELNS1_3gpuE6ELNS1_3repE0EEENS1_30default_config_static_selectorELNS0_4arch9wavefront6targetE1EEEvSM_
; %bb.0:
	s_load_dword s26, s[4:5], 0x4
	s_load_dwordx8 s[16:23], s[4:5], 0x8
	s_waitcnt lgkmcnt(0)
	s_cmp_lt_i32 s26, 4
	s_cbranch_scc1 .LBB94_10
; %bb.1:
	s_cmp_gt_i32 s26, 7
	s_cbranch_scc0 .LBB94_11
; %bb.2:
	s_cmp_gt_i32 s26, 15
	s_cbranch_scc0 .LBB94_12
; %bb.3:
	s_mov_b64 s[0:1], 0
	s_cmp_eq_u32 s26, 16
	s_mov_b64 s[2:3], 0
                                        ; implicit-def: $vgpr1_vgpr2
                                        ; implicit-def: $vgpr3_vgpr4
	s_cbranch_scc0 .LBB94_13
; %bb.4:
	s_mov_b32 s7, 0
	s_lshl_b32 s4, s6, 12
	s_mov_b32 s5, s7
	s_lshr_b64 s[8:9], s[18:19], 12
	s_lshl_b64 s[2:3], s[4:5], 3
	s_add_u32 s2, s16, s2
	s_addc_u32 s3, s17, s3
	s_cmp_lg_u64 s[8:9], s[6:7]
	s_cbranch_scc0 .LBB94_21
; %bb.5:
	v_lshlrev_b32_e32 v5, 3, v0
	global_load_dwordx2 v[1:2], v5, s[2:3]
	global_load_dwordx2 v[3:4], v5, s[2:3] offset:2048
	v_mov_b32_e32 v6, s3
	v_add_co_u32_e32 v29, vcc, s2, v5
	v_addc_co_u32_e32 v33, vcc, 0, v6, vcc
	v_add_co_u32_e32 v5, vcc, 0x1000, v29
	v_addc_co_u32_e32 v6, vcc, 0, v33, vcc
	;; [unrolled: 2-line block ×4, first 2 shown]
	global_load_dwordx2 v[7:8], v[5:6], off
	global_load_dwordx2 v[11:12], v[9:10], off
	;; [unrolled: 1-line block ×3, first 2 shown]
	v_add_co_u32_e32 v17, vcc, 0x4000, v29
	v_addc_co_u32_e32 v18, vcc, 0, v33, vcc
	global_load_dwordx2 v[19:20], v[17:18], off
	v_add_co_u32_e32 v21, vcc, 0x5000, v29
	global_load_dwordx2 v[5:6], v[5:6], off offset:2048
	v_addc_co_u32_e32 v22, vcc, 0, v33, vcc
	global_load_dwordx2 v[9:10], v[9:10], off offset:2048
	v_add_co_u32_e32 v23, vcc, 0x6000, v29
	global_load_dwordx2 v[13:14], v[13:14], off offset:2048
	v_addc_co_u32_e32 v24, vcc, 0, v33, vcc
	global_load_dwordx2 v[17:18], v[17:18], off offset:2048
	s_nop 0
	global_load_dwordx2 v[25:26], v[21:22], off
	global_load_dwordx2 v[27:28], v[21:22], off offset:2048
	v_add_co_u32_e32 v21, vcc, 0x7000, v29
	global_load_dwordx2 v[29:30], v[23:24], off
	global_load_dwordx2 v[31:32], v[23:24], off offset:2048
	v_addc_co_u32_e32 v22, vcc, 0, v33, vcc
	s_waitcnt vmcnt(12)
	v_add_co_u32_e32 v23, vcc, v3, v1
	v_addc_co_u32_e32 v24, vcc, v4, v2, vcc
	global_load_dwordx2 v[1:2], v[21:22], off
	global_load_dwordx2 v[3:4], v[21:22], off offset:2048
	s_waitcnt vmcnt(13)
	v_add_co_u32_e32 v7, vcc, v23, v7
	v_addc_co_u32_e32 v8, vcc, v24, v8, vcc
	s_waitcnt vmcnt(9)
	v_add_co_u32_e32 v5, vcc, v7, v5
	v_addc_co_u32_e32 v6, vcc, v8, v6, vcc
	v_add_co_u32_e32 v5, vcc, v5, v11
	v_addc_co_u32_e32 v6, vcc, v6, v12, vcc
	s_waitcnt vmcnt(8)
	v_add_co_u32_e32 v5, vcc, v5, v9
	v_addc_co_u32_e32 v6, vcc, v6, v10, vcc
	;; [unrolled: 5-line block ×4, first 2 shown]
	s_waitcnt vmcnt(5)
	v_add_co_u32_e32 v5, vcc, v5, v25
	v_addc_co_u32_e32 v6, vcc, v6, v26, vcc
	s_waitcnt vmcnt(4)
	v_add_co_u32_e32 v5, vcc, v5, v27
	v_addc_co_u32_e32 v6, vcc, v6, v28, vcc
	;; [unrolled: 3-line block ×6, first 2 shown]
	s_nop 0
	v_mov_b32_dpp v4, v1 quad_perm:[1,0,3,2] row_mask:0xf bank_mask:0xf bound_ctrl:1
	v_add_co_u32_e32 v1, vcc, v1, v4
	v_mov_b32_dpp v5, v2 quad_perm:[1,0,3,2] row_mask:0xf bank_mask:0xf bound_ctrl:1
	v_addc_co_u32_e32 v2, vcc, 0, v2, vcc
	v_add_co_u32_e32 v4, vcc, 0, v1
	v_addc_co_u32_e32 v2, vcc, v5, v2, vcc
	v_mov_b32_dpp v1, v1 quad_perm:[2,3,0,1] row_mask:0xf bank_mask:0xf bound_ctrl:1
	v_add_co_u32_e32 v1, vcc, v4, v1
	v_mov_b32_dpp v5, v2 quad_perm:[2,3,0,1] row_mask:0xf bank_mask:0xf bound_ctrl:1
	v_addc_co_u32_e32 v2, vcc, 0, v2, vcc
	v_add_co_u32_e32 v4, vcc, 0, v1
	v_addc_co_u32_e32 v2, vcc, v2, v5, vcc
	v_mov_b32_dpp v1, v1 row_ror:4 row_mask:0xf bank_mask:0xf bound_ctrl:1
	v_add_co_u32_e32 v1, vcc, v4, v1
	v_mov_b32_dpp v5, v2 row_ror:4 row_mask:0xf bank_mask:0xf bound_ctrl:1
	v_addc_co_u32_e32 v2, vcc, 0, v2, vcc
	v_add_co_u32_e32 v4, vcc, 0, v1
	v_addc_co_u32_e32 v2, vcc, v2, v5, vcc
	v_mov_b32_dpp v1, v1 row_ror:8 row_mask:0xf bank_mask:0xf bound_ctrl:1
	v_add_co_u32_e32 v1, vcc, v4, v1
	v_mov_b32_dpp v5, v2 row_ror:8 row_mask:0xf bank_mask:0xf bound_ctrl:1
	v_addc_co_u32_e32 v2, vcc, 0, v2, vcc
	v_add_co_u32_e32 v4, vcc, 0, v1
	v_addc_co_u32_e32 v2, vcc, v2, v5, vcc
	v_mov_b32_dpp v1, v1 row_bcast:15 row_mask:0xf bank_mask:0xf bound_ctrl:1
	v_add_co_u32_e32 v1, vcc, v4, v1
	v_mov_b32_dpp v5, v2 row_bcast:15 row_mask:0xf bank_mask:0xf bound_ctrl:1
	v_addc_co_u32_e32 v2, vcc, 0, v2, vcc
	v_add_co_u32_e32 v4, vcc, 0, v1
	v_addc_co_u32_e32 v2, vcc, v2, v5, vcc
	v_mov_b32_dpp v1, v1 row_bcast:31 row_mask:0xf bank_mask:0xf bound_ctrl:1
	v_mbcnt_lo_u32_b32 v3, -1, 0
	v_add_co_u32_e32 v1, vcc, v4, v1
	v_mbcnt_hi_u32_b32 v3, -1, v3
	v_addc_co_u32_e32 v4, vcc, 0, v2, vcc
	v_cmp_eq_u32_e32 vcc, 0, v3
	s_nop 0
	v_add_u32_dpp v2, v2, v4 row_bcast:31 row_mask:0xf bank_mask:0xf bound_ctrl:1
	v_lshlrev_b32_e32 v4, 2, v3
	v_or_b32_e32 v5, 0xfc, v4
	ds_bpermute_b32 v1, v5, v1
	ds_bpermute_b32 v2, v5, v2
	s_and_saveexec_b64 s[8:9], vcc
	s_cbranch_execz .LBB94_7
; %bb.6:
	v_lshrrev_b32_e32 v5, 3, v0
	v_and_b32_e32 v5, 24, v5
	s_waitcnt lgkmcnt(0)
	ds_write_b64 v5, v[1:2]
.LBB94_7:
	s_or_b64 exec, exec, s[8:9]
	v_cmp_gt_u32_e32 vcc, 64, v0
	s_waitcnt lgkmcnt(0)
	s_barrier
	s_and_saveexec_b64 s[8:9], vcc
	s_cbranch_execz .LBB94_9
; %bb.8:
	v_and_b32_e32 v5, 3, v3
	v_lshlrev_b32_e32 v1, 3, v5
	ds_read_b64 v[1:2], v1
	v_cmp_ne_u32_e32 vcc, 3, v5
	v_addc_co_u32_e32 v3, vcc, 0, v3, vcc
	v_lshlrev_b32_e32 v3, 2, v3
	s_waitcnt lgkmcnt(0)
	ds_bpermute_b32 v5, v3, v1
	ds_bpermute_b32 v3, v3, v2
	v_or_b32_e32 v4, 8, v4
	s_waitcnt lgkmcnt(1)
	v_add_co_u32_e32 v1, vcc, v1, v5
	v_addc_co_u32_e32 v2, vcc, 0, v2, vcc
	ds_bpermute_b32 v5, v4, v1
	v_add_co_u32_e32 v1, vcc, 0, v1
	s_waitcnt lgkmcnt(1)
	v_addc_co_u32_e32 v2, vcc, v3, v2, vcc
	ds_bpermute_b32 v3, v4, v2
	s_waitcnt lgkmcnt(1)
	v_add_co_u32_e32 v1, vcc, v1, v5
	v_addc_co_u32_e32 v2, vcc, 0, v2, vcc
	v_add_co_u32_e32 v1, vcc, 0, v1
	s_waitcnt lgkmcnt(0)
	v_addc_co_u32_e32 v2, vcc, v2, v3, vcc
.LBB94_9:
	s_or_b64 exec, exec, s[8:9]
	s_mov_b64 s[8:9], 0
	s_branch .LBB94_22
.LBB94_10:
	s_mov_b64 s[2:3], 0
                                        ; implicit-def: $vgpr1_vgpr2
                                        ; implicit-def: $vgpr3_vgpr4
	s_cbranch_execnz .LBB94_145
	s_branch .LBB94_206
.LBB94_11:
	s_mov_b64 s[2:3], 0
                                        ; implicit-def: $vgpr1_vgpr2
                                        ; implicit-def: $vgpr3_vgpr4
	s_cbranch_execnz .LBB94_110
	s_branch .LBB94_144
.LBB94_12:
	s_mov_b64 s[0:1], -1
	s_mov_b64 s[2:3], 0
                                        ; implicit-def: $vgpr1_vgpr2
                                        ; implicit-def: $vgpr3_vgpr4
.LBB94_13:
	s_and_b64 vcc, exec, s[0:1]
	s_cbranch_vccz .LBB94_109
.LBB94_14:
	s_cmp_eq_u32 s26, 8
                                        ; implicit-def: $vgpr1_vgpr2
                                        ; implicit-def: $vgpr3_vgpr4
	s_cbranch_scc0 .LBB94_109
; %bb.15:
	s_mov_b32 s7, 0
	s_lshl_b32 s0, s6, 11
	s_mov_b32 s1, s7
	s_lshr_b64 s[2:3], s[18:19], 11
	s_lshl_b64 s[4:5], s[0:1], 3
	s_add_u32 s14, s16, s4
	s_addc_u32 s15, s17, s5
	s_cmp_lg_u64 s[2:3], s[6:7]
	s_cbranch_scc0 .LBB94_73
; %bb.16:
	v_lshlrev_b32_e32 v3, 3, v0
	v_mov_b32_e32 v1, s15
	v_add_co_u32_e32 v16, vcc, s14, v3
	v_addc_co_u32_e32 v17, vcc, 0, v1, vcc
	global_load_dwordx2 v[1:2], v3, s[14:15]
	global_load_dwordx2 v[4:5], v3, s[14:15] offset:2048
	v_add_co_u32_e32 v6, vcc, 0x1000, v16
	v_addc_co_u32_e32 v7, vcc, 0, v17, vcc
	global_load_dwordx2 v[8:9], v[6:7], off
	global_load_dwordx2 v[10:11], v[6:7], off offset:2048
	v_add_co_u32_e32 v6, vcc, 0x2000, v16
	v_addc_co_u32_e32 v7, vcc, 0, v17, vcc
	global_load_dwordx2 v[12:13], v[6:7], off
	global_load_dwordx2 v[14:15], v[6:7], off offset:2048
	;; [unrolled: 4-line block ×3, first 2 shown]
	v_mbcnt_lo_u32_b32 v3, -1, 0
	v_mbcnt_hi_u32_b32 v3, -1, v3
	s_waitcnt vmcnt(6)
	v_add_co_u32_e32 v1, vcc, v4, v1
	v_addc_co_u32_e32 v2, vcc, v5, v2, vcc
	s_waitcnt vmcnt(5)
	v_add_co_u32_e32 v1, vcc, v1, v8
	v_addc_co_u32_e32 v2, vcc, v2, v9, vcc
	;; [unrolled: 3-line block ×7, first 2 shown]
	s_nop 0
	v_mov_b32_dpp v4, v1 quad_perm:[1,0,3,2] row_mask:0xf bank_mask:0xf bound_ctrl:1
	v_add_co_u32_e32 v1, vcc, v1, v4
	v_mov_b32_dpp v5, v2 quad_perm:[1,0,3,2] row_mask:0xf bank_mask:0xf bound_ctrl:1
	v_addc_co_u32_e32 v2, vcc, 0, v2, vcc
	v_add_co_u32_e32 v4, vcc, 0, v1
	v_addc_co_u32_e32 v2, vcc, v5, v2, vcc
	v_mov_b32_dpp v1, v1 quad_perm:[2,3,0,1] row_mask:0xf bank_mask:0xf bound_ctrl:1
	v_add_co_u32_e32 v1, vcc, v4, v1
	v_mov_b32_dpp v5, v2 quad_perm:[2,3,0,1] row_mask:0xf bank_mask:0xf bound_ctrl:1
	v_addc_co_u32_e32 v2, vcc, 0, v2, vcc
	v_add_co_u32_e32 v4, vcc, 0, v1
	v_addc_co_u32_e32 v2, vcc, v2, v5, vcc
	v_mov_b32_dpp v1, v1 row_ror:4 row_mask:0xf bank_mask:0xf bound_ctrl:1
	v_add_co_u32_e32 v1, vcc, v4, v1
	v_mov_b32_dpp v5, v2 row_ror:4 row_mask:0xf bank_mask:0xf bound_ctrl:1
	v_addc_co_u32_e32 v2, vcc, 0, v2, vcc
	v_add_co_u32_e32 v4, vcc, 0, v1
	v_addc_co_u32_e32 v2, vcc, v2, v5, vcc
	v_mov_b32_dpp v1, v1 row_ror:8 row_mask:0xf bank_mask:0xf bound_ctrl:1
	v_add_co_u32_e32 v1, vcc, v4, v1
	v_mov_b32_dpp v5, v2 row_ror:8 row_mask:0xf bank_mask:0xf bound_ctrl:1
	v_addc_co_u32_e32 v2, vcc, 0, v2, vcc
	v_add_co_u32_e32 v4, vcc, 0, v1
	v_addc_co_u32_e32 v2, vcc, v2, v5, vcc
	v_mov_b32_dpp v1, v1 row_bcast:15 row_mask:0xf bank_mask:0xf bound_ctrl:1
	v_add_co_u32_e32 v1, vcc, v4, v1
	v_mov_b32_dpp v5, v2 row_bcast:15 row_mask:0xf bank_mask:0xf bound_ctrl:1
	v_addc_co_u32_e32 v2, vcc, 0, v2, vcc
	v_add_co_u32_e32 v4, vcc, 0, v1
	v_addc_co_u32_e32 v2, vcc, v2, v5, vcc
	v_mov_b32_dpp v1, v1 row_bcast:31 row_mask:0xf bank_mask:0xf bound_ctrl:1
	v_add_co_u32_e32 v1, vcc, v4, v1
	v_addc_co_u32_e32 v4, vcc, 0, v2, vcc
	v_cmp_eq_u32_e32 vcc, 0, v3
	s_nop 0
	v_add_u32_dpp v2, v2, v4 row_bcast:31 row_mask:0xf bank_mask:0xf bound_ctrl:1
	v_lshlrev_b32_e32 v4, 2, v3
	v_or_b32_e32 v5, 0xfc, v4
	ds_bpermute_b32 v1, v5, v1
	ds_bpermute_b32 v2, v5, v2
	s_and_saveexec_b64 s[2:3], vcc
	s_cbranch_execz .LBB94_18
; %bb.17:
	v_lshrrev_b32_e32 v5, 3, v0
	v_and_b32_e32 v5, 24, v5
	s_waitcnt lgkmcnt(0)
	ds_write_b64 v5, v[1:2] offset:128
.LBB94_18:
	s_or_b64 exec, exec, s[2:3]
	v_cmp_gt_u32_e32 vcc, 64, v0
	s_waitcnt lgkmcnt(0)
	s_barrier
	s_and_saveexec_b64 s[2:3], vcc
	s_cbranch_execz .LBB94_20
; %bb.19:
	v_and_b32_e32 v5, 3, v3
	v_lshlrev_b32_e32 v1, 3, v5
	ds_read_b64 v[1:2], v1 offset:128
	v_cmp_ne_u32_e32 vcc, 3, v5
	v_addc_co_u32_e32 v3, vcc, 0, v3, vcc
	v_lshlrev_b32_e32 v3, 2, v3
	s_waitcnt lgkmcnt(0)
	ds_bpermute_b32 v5, v3, v1
	ds_bpermute_b32 v3, v3, v2
	v_or_b32_e32 v4, 8, v4
	s_waitcnt lgkmcnt(1)
	v_add_co_u32_e32 v1, vcc, v1, v5
	v_addc_co_u32_e32 v2, vcc, 0, v2, vcc
	ds_bpermute_b32 v5, v4, v1
	v_add_co_u32_e32 v1, vcc, 0, v1
	s_waitcnt lgkmcnt(1)
	v_addc_co_u32_e32 v2, vcc, v3, v2, vcc
	ds_bpermute_b32 v3, v4, v2
	s_waitcnt lgkmcnt(1)
	v_add_co_u32_e32 v1, vcc, v1, v5
	v_addc_co_u32_e32 v2, vcc, 0, v2, vcc
	v_add_co_u32_e32 v1, vcc, 0, v1
	s_waitcnt lgkmcnt(0)
	v_addc_co_u32_e32 v2, vcc, v2, v3, vcc
.LBB94_20:
	s_or_b64 exec, exec, s[2:3]
	s_mov_b64 s[2:3], 0
	s_branch .LBB94_74
.LBB94_21:
	s_mov_b64 s[8:9], -1
                                        ; implicit-def: $vgpr1_vgpr2
.LBB94_22:
	s_and_b64 vcc, exec, s[8:9]
	s_cbranch_vccz .LBB94_72
; %bb.23:
	s_sub_i32 s8, s18, s4
	v_cmp_gt_u32_e32 vcc, s8, v0
                                        ; implicit-def: $vgpr1_vgpr2
	s_and_saveexec_b64 s[4:5], vcc
	s_cbranch_execz .LBB94_25
; %bb.24:
	v_lshlrev_b32_e32 v1, 3, v0
	global_load_dwordx2 v[1:2], v1, s[2:3]
.LBB94_25:
	s_or_b64 exec, exec, s[4:5]
	v_or_b32_e32 v7, 0x100, v0
	v_mov_b32_e32 v3, 0
	v_mov_b32_e32 v5, 0
	;; [unrolled: 1-line block ×4, first 2 shown]
	v_cmp_gt_u32_e32 vcc, s8, v7
	s_and_saveexec_b64 s[4:5], vcc
	s_cbranch_execz .LBB94_27
; %bb.26:
	v_lshlrev_b32_e32 v5, 3, v0
	global_load_dwordx2 v[5:6], v5, s[2:3] offset:2048
.LBB94_27:
	s_or_b64 exec, exec, s[4:5]
	v_or_b32_e32 v7, 0x200, v0
	v_cmp_gt_u32_e32 vcc, s8, v7
	s_and_saveexec_b64 s[4:5], vcc
	s_cbranch_execz .LBB94_29
; %bb.28:
	v_lshlrev_b32_e32 v3, 3, v7
	global_load_dwordx2 v[3:4], v3, s[2:3]
.LBB94_29:
	s_or_b64 exec, exec, s[4:5]
	v_or_b32_e32 v11, 0x300, v0
	v_mov_b32_e32 v7, 0
	v_mov_b32_e32 v9, 0
	v_mov_b32_e32 v8, 0
	v_mov_b32_e32 v10, 0
	v_cmp_gt_u32_e32 vcc, s8, v11
	s_and_saveexec_b64 s[4:5], vcc
	s_cbranch_execz .LBB94_31
; %bb.30:
	v_lshlrev_b32_e32 v9, 3, v11
	global_load_dwordx2 v[9:10], v9, s[2:3]
.LBB94_31:
	s_or_b64 exec, exec, s[4:5]
	v_or_b32_e32 v11, 0x400, v0
	v_cmp_gt_u32_e32 vcc, s8, v11
	s_and_saveexec_b64 s[4:5], vcc
	s_cbranch_execz .LBB94_33
; %bb.32:
	v_lshlrev_b32_e32 v7, 3, v11
	global_load_dwordx2 v[7:8], v7, s[2:3]
.LBB94_33:
	s_or_b64 exec, exec, s[4:5]
	v_or_b32_e32 v15, 0x500, v0
	v_mov_b32_e32 v11, 0
	v_mov_b32_e32 v13, 0
	v_mov_b32_e32 v12, 0
	v_mov_b32_e32 v14, 0
	v_cmp_gt_u32_e32 vcc, s8, v15
	s_and_saveexec_b64 s[4:5], vcc
	s_cbranch_execz .LBB94_35
; %bb.34:
	v_lshlrev_b32_e32 v13, 3, v15
	global_load_dwordx2 v[13:14], v13, s[2:3]
.LBB94_35:
	;; [unrolled: 22-line block ×6, first 2 shown]
	s_or_b64 exec, exec, s[4:5]
	v_or_b32_e32 v31, 0xe00, v0
	v_cmp_gt_u32_e32 vcc, s8, v31
	s_and_saveexec_b64 s[4:5], vcc
	s_cbranch_execz .LBB94_53
; %bb.52:
	v_lshlrev_b32_e32 v27, 3, v31
	global_load_dwordx2 v[27:28], v27, s[2:3]
.LBB94_53:
	s_or_b64 exec, exec, s[4:5]
	v_or_b32_e32 v33, 0xf00, v0
	v_mov_b32_e32 v31, 0
	v_mov_b32_e32 v32, 0
	v_cmp_gt_u32_e32 vcc, s8, v33
	s_and_saveexec_b64 s[4:5], vcc
	s_cbranch_execz .LBB94_55
; %bb.54:
	v_lshlrev_b32_e32 v31, 3, v33
	global_load_dwordx2 v[31:32], v31, s[2:3]
.LBB94_55:
	s_or_b64 exec, exec, s[4:5]
	s_waitcnt vmcnt(0)
	v_add_co_u32_e32 v1, vcc, v5, v1
	v_addc_co_u32_e32 v2, vcc, v6, v2, vcc
	v_add_co_u32_e32 v1, vcc, v1, v3
	v_addc_co_u32_e32 v2, vcc, v2, v4, vcc
	;; [unrolled: 2-line block ×14, first 2 shown]
	v_mbcnt_lo_u32_b32 v3, -1, 0
	v_add_co_u32_e32 v1, vcc, v1, v31
	v_mbcnt_hi_u32_b32 v3, -1, v3
	v_addc_co_u32_e32 v2, vcc, v2, v32, vcc
	v_and_b32_e32 v4, 63, v3
	v_cmp_ne_u32_e32 vcc, 63, v4
	v_addc_co_u32_e32 v6, vcc, 0, v3, vcc
	v_lshlrev_b32_e32 v6, 2, v6
	ds_bpermute_b32 v8, v6, v1
	ds_bpermute_b32 v7, v6, v2
	s_min_u32 s4, s8, 0x100
	v_and_b32_e32 v5, 0xc0, v0
	v_sub_u32_e64 v5, s4, v5 clamp
	v_add_u32_e32 v6, 1, v4
	v_cmp_lt_u32_e32 vcc, v6, v5
	v_mov_b32_e32 v6, v1
	s_and_saveexec_b64 s[2:3], vcc
	s_cbranch_execz .LBB94_57
; %bb.56:
	s_waitcnt lgkmcnt(1)
	v_add_co_u32_e32 v6, vcc, v1, v8
	v_addc_co_u32_e32 v2, vcc, 0, v2, vcc
	v_add_co_u32_e32 v1, vcc, 0, v6
	s_waitcnt lgkmcnt(0)
	v_addc_co_u32_e32 v2, vcc, v7, v2, vcc
.LBB94_57:
	s_or_b64 exec, exec, s[2:3]
	v_cmp_gt_u32_e32 vcc, 62, v4
	s_waitcnt lgkmcnt(0)
	v_cndmask_b32_e64 v7, 0, 2, vcc
	v_add_lshl_u32 v7, v7, v3, 2
	ds_bpermute_b32 v8, v7, v6
	ds_bpermute_b32 v7, v7, v2
	v_add_u32_e32 v9, 2, v4
	v_cmp_lt_u32_e32 vcc, v9, v5
	s_and_saveexec_b64 s[2:3], vcc
	s_cbranch_execz .LBB94_59
; %bb.58:
	s_waitcnt lgkmcnt(1)
	v_add_co_u32_e32 v6, vcc, v1, v8
	v_addc_co_u32_e32 v2, vcc, 0, v2, vcc
	v_add_co_u32_e32 v1, vcc, 0, v6
	s_waitcnt lgkmcnt(0)
	v_addc_co_u32_e32 v2, vcc, v7, v2, vcc
.LBB94_59:
	s_or_b64 exec, exec, s[2:3]
	v_cmp_gt_u32_e32 vcc, 60, v4
	s_waitcnt lgkmcnt(0)
	v_cndmask_b32_e64 v7, 0, 4, vcc
	v_add_lshl_u32 v7, v7, v3, 2
	ds_bpermute_b32 v8, v7, v6
	ds_bpermute_b32 v7, v7, v2
	v_add_u32_e32 v9, 4, v4
	v_cmp_lt_u32_e32 vcc, v9, v5
	;; [unrolled: 19-line block ×4, first 2 shown]
	s_and_saveexec_b64 s[2:3], vcc
	s_cbranch_execz .LBB94_65
; %bb.64:
	s_waitcnt lgkmcnt(1)
	v_add_co_u32_e32 v6, vcc, v1, v8
	v_addc_co_u32_e32 v2, vcc, 0, v2, vcc
	v_add_co_u32_e32 v1, vcc, 0, v6
	s_waitcnt lgkmcnt(0)
	v_addc_co_u32_e32 v2, vcc, v7, v2, vcc
.LBB94_65:
	s_or_b64 exec, exec, s[2:3]
	s_waitcnt lgkmcnt(0)
	v_lshlrev_b32_e32 v7, 2, v3
	v_or_b32_e32 v8, 0x80, v7
	ds_bpermute_b32 v6, v8, v6
	ds_bpermute_b32 v8, v8, v2
	v_add_u32_e32 v4, 32, v4
	s_waitcnt lgkmcnt(1)
	v_add_co_u32_e32 v6, vcc, v1, v6
	v_addc_co_u32_e32 v9, vcc, 0, v2, vcc
	v_add_co_u32_e32 v6, vcc, 0, v6
	s_waitcnt lgkmcnt(0)
	v_addc_co_u32_e32 v8, vcc, v9, v8, vcc
	v_cmp_lt_u32_e32 vcc, v4, v5
	v_cndmask_b32_e32 v2, v2, v8, vcc
	v_cndmask_b32_e32 v1, v1, v6, vcc
	v_cmp_eq_u32_e32 vcc, 0, v3
	s_and_saveexec_b64 s[2:3], vcc
; %bb.66:
	v_lshrrev_b32_e32 v4, 3, v0
	v_and_b32_e32 v4, 24, v4
	ds_write_b64 v4, v[1:2] offset:160
; %bb.67:
	s_or_b64 exec, exec, s[2:3]
	v_cmp_gt_u32_e32 vcc, 4, v0
	s_waitcnt lgkmcnt(0)
	s_barrier
	s_and_saveexec_b64 s[2:3], vcc
	s_cbranch_execz .LBB94_71
; %bb.68:
	v_lshlrev_b32_e32 v1, 3, v3
	ds_read_b64 v[1:2], v1 offset:160
	v_and_b32_e32 v4, 3, v3
	v_cmp_ne_u32_e32 vcc, 3, v4
	v_addc_co_u32_e32 v3, vcc, 0, v3, vcc
	v_lshlrev_b32_e32 v3, 2, v3
	s_waitcnt lgkmcnt(0)
	ds_bpermute_b32 v6, v3, v1
	ds_bpermute_b32 v5, v3, v2
	s_add_i32 s4, s4, 63
	s_lshr_b32 s8, s4, 6
	v_add_u32_e32 v3, 1, v4
	v_cmp_gt_u32_e32 vcc, s8, v3
	v_mov_b32_e32 v3, v1
	s_and_saveexec_b64 s[4:5], vcc
	s_cbranch_execz .LBB94_70
; %bb.69:
	s_waitcnt lgkmcnt(1)
	v_add_co_u32_e32 v3, vcc, v1, v6
	v_addc_co_u32_e32 v2, vcc, 0, v2, vcc
	v_add_co_u32_e32 v1, vcc, 0, v3
	s_waitcnt lgkmcnt(0)
	v_addc_co_u32_e32 v2, vcc, v5, v2, vcc
.LBB94_70:
	s_or_b64 exec, exec, s[4:5]
	s_waitcnt lgkmcnt(0)
	v_or_b32_e32 v5, 8, v7
	ds_bpermute_b32 v3, v5, v3
	ds_bpermute_b32 v5, v5, v2
	v_add_u32_e32 v4, 2, v4
	s_waitcnt lgkmcnt(1)
	v_add_co_u32_e32 v3, vcc, v1, v3
	v_addc_co_u32_e32 v6, vcc, 0, v2, vcc
	v_add_co_u32_e32 v3, vcc, 0, v3
	s_waitcnt lgkmcnt(0)
	v_addc_co_u32_e32 v5, vcc, v6, v5, vcc
	v_cmp_gt_u32_e32 vcc, s8, v4
	v_cndmask_b32_e32 v2, v2, v5, vcc
	v_cndmask_b32_e32 v1, v1, v3, vcc
.LBB94_71:
	s_or_b64 exec, exec, s[2:3]
.LBB94_72:
	v_mov_b32_e32 v3, s6
	v_cmp_eq_u32_e64 s[2:3], 0, v0
	v_mov_b32_e32 v4, s7
	s_and_b64 vcc, exec, s[0:1]
	s_cbranch_vccnz .LBB94_14
	s_branch .LBB94_109
.LBB94_73:
	s_mov_b64 s[2:3], -1
                                        ; implicit-def: $vgpr1_vgpr2
.LBB94_74:
	s_and_b64 vcc, exec, s[2:3]
	s_cbranch_vccz .LBB94_108
; %bb.75:
	s_sub_i32 s27, s18, s0
	v_mov_b32_e32 v1, 0
	v_cmp_gt_u32_e32 vcc, s27, v0
	v_mov_b32_e32 v2, v1
	v_mov_b32_e32 v3, v1
	v_mov_b32_e32 v4, v1
	v_mov_b32_e32 v5, v1
	v_mov_b32_e32 v6, v1
	v_mov_b32_e32 v7, v1
	v_mov_b32_e32 v8, v1
	v_mov_b32_e32 v9, v1
	v_mov_b32_e32 v10, v1
	v_mov_b32_e32 v11, v1
	v_mov_b32_e32 v12, v1
	v_mov_b32_e32 v13, v1
	v_mov_b32_e32 v14, v1
	v_mov_b32_e32 v15, v1
	v_mov_b32_e32 v16, v1
	s_and_saveexec_b64 s[0:1], vcc
	s_cbranch_execz .LBB94_77
; %bb.76:
	v_mov_b32_e32 v3, v1
	v_mov_b32_e32 v4, v1
	;; [unrolled: 1-line block ×14, first 2 shown]
	v_lshlrev_b32_e32 v1, 3, v0
	global_load_dwordx2 v[1:2], v1, s[14:15]
.LBB94_77:
	s_or_b64 exec, exec, s[0:1]
	v_or_b32_e32 v17, 0x100, v0
	v_cmp_gt_u32_e32 vcc, s27, v17
	s_and_saveexec_b64 s[0:1], vcc
	s_cbranch_execz .LBB94_79
; %bb.78:
	v_lshlrev_b32_e32 v3, 3, v0
	global_load_dwordx2 v[3:4], v3, s[14:15] offset:2048
.LBB94_79:
	s_or_b64 exec, exec, s[0:1]
	v_or_b32_e32 v17, 0x200, v0
	v_cmp_gt_u32_e64 s[0:1], s27, v17
	s_and_saveexec_b64 s[2:3], s[0:1]
	s_cbranch_execz .LBB94_81
; %bb.80:
	v_lshlrev_b32_e32 v5, 3, v17
	global_load_dwordx2 v[5:6], v5, s[14:15]
.LBB94_81:
	s_or_b64 exec, exec, s[2:3]
	v_or_b32_e32 v17, 0x300, v0
	v_cmp_gt_u32_e64 s[2:3], s27, v17
	s_and_saveexec_b64 s[4:5], s[2:3]
	s_cbranch_execz .LBB94_83
; %bb.82:
	v_lshlrev_b32_e32 v7, 3, v17
	global_load_dwordx2 v[7:8], v7, s[14:15]
.LBB94_83:
	;; [unrolled: 9-line block ×6, first 2 shown]
	s_or_b64 exec, exec, s[24:25]
	s_waitcnt vmcnt(0)
	v_cndmask_b32_e32 v3, 0, v3, vcc
	v_cndmask_b32_e32 v4, 0, v4, vcc
	v_add_co_u32_e32 v1, vcc, v3, v1
	v_addc_co_u32_e32 v2, vcc, v4, v2, vcc
	v_cndmask_b32_e64 v4, 0, v5, s[0:1]
	v_cndmask_b32_e64 v3, 0, v6, s[0:1]
	v_add_co_u32_e32 v1, vcc, v1, v4
	v_addc_co_u32_e32 v2, vcc, v2, v3, vcc
	v_cndmask_b32_e64 v4, 0, v7, s[2:3]
	v_cndmask_b32_e64 v3, 0, v8, s[2:3]
	;; [unrolled: 4-line block ×6, first 2 shown]
	v_add_co_u32_e32 v1, vcc, v1, v4
	v_addc_co_u32_e32 v2, vcc, v2, v3, vcc
	v_mbcnt_lo_u32_b32 v3, -1, 0
	v_mbcnt_hi_u32_b32 v3, -1, v3
	v_and_b32_e32 v4, 63, v3
	v_cmp_ne_u32_e32 vcc, 63, v4
	v_addc_co_u32_e32 v6, vcc, 0, v3, vcc
	v_lshlrev_b32_e32 v6, 2, v6
	ds_bpermute_b32 v8, v6, v1
	ds_bpermute_b32 v7, v6, v2
	s_min_u32 s2, s27, 0x100
	v_and_b32_e32 v5, 0xc0, v0
	v_sub_u32_e64 v5, s2, v5 clamp
	v_add_u32_e32 v6, 1, v4
	v_cmp_lt_u32_e32 vcc, v6, v5
	v_mov_b32_e32 v6, v1
	s_and_saveexec_b64 s[0:1], vcc
	s_cbranch_execz .LBB94_93
; %bb.92:
	s_waitcnt lgkmcnt(1)
	v_add_co_u32_e32 v6, vcc, v1, v8
	v_addc_co_u32_e32 v2, vcc, 0, v2, vcc
	v_add_co_u32_e32 v1, vcc, 0, v6
	s_waitcnt lgkmcnt(0)
	v_addc_co_u32_e32 v2, vcc, v2, v7, vcc
.LBB94_93:
	s_or_b64 exec, exec, s[0:1]
	v_cmp_gt_u32_e32 vcc, 62, v4
	s_waitcnt lgkmcnt(0)
	v_cndmask_b32_e64 v7, 0, 2, vcc
	v_add_lshl_u32 v7, v7, v3, 2
	ds_bpermute_b32 v8, v7, v6
	ds_bpermute_b32 v7, v7, v2
	v_add_u32_e32 v9, 2, v4
	v_cmp_lt_u32_e32 vcc, v9, v5
	s_and_saveexec_b64 s[0:1], vcc
	s_cbranch_execz .LBB94_95
; %bb.94:
	s_waitcnt lgkmcnt(1)
	v_add_co_u32_e32 v6, vcc, v1, v8
	v_addc_co_u32_e32 v2, vcc, 0, v2, vcc
	v_add_co_u32_e32 v1, vcc, 0, v6
	s_waitcnt lgkmcnt(0)
	v_addc_co_u32_e32 v2, vcc, v7, v2, vcc
.LBB94_95:
	s_or_b64 exec, exec, s[0:1]
	v_cmp_gt_u32_e32 vcc, 60, v4
	s_waitcnt lgkmcnt(0)
	v_cndmask_b32_e64 v7, 0, 4, vcc
	v_add_lshl_u32 v7, v7, v3, 2
	ds_bpermute_b32 v8, v7, v6
	ds_bpermute_b32 v7, v7, v2
	v_add_u32_e32 v9, 4, v4
	v_cmp_lt_u32_e32 vcc, v9, v5
	s_and_saveexec_b64 s[0:1], vcc
	s_cbranch_execz .LBB94_97
; %bb.96:
	s_waitcnt lgkmcnt(1)
	v_add_co_u32_e32 v6, vcc, v1, v8
	v_addc_co_u32_e32 v2, vcc, 0, v2, vcc
	v_add_co_u32_e32 v1, vcc, 0, v6
	s_waitcnt lgkmcnt(0)
	v_addc_co_u32_e32 v2, vcc, v7, v2, vcc
.LBB94_97:
	s_or_b64 exec, exec, s[0:1]
	v_cmp_gt_u32_e32 vcc, 56, v4
	s_waitcnt lgkmcnt(0)
	v_cndmask_b32_e64 v7, 0, 8, vcc
	v_add_lshl_u32 v7, v7, v3, 2
	ds_bpermute_b32 v8, v7, v6
	ds_bpermute_b32 v7, v7, v2
	v_add_u32_e32 v9, 8, v4
	v_cmp_lt_u32_e32 vcc, v9, v5
	s_and_saveexec_b64 s[0:1], vcc
	s_cbranch_execz .LBB94_99
; %bb.98:
	s_waitcnt lgkmcnt(1)
	v_add_co_u32_e32 v6, vcc, v1, v8
	v_addc_co_u32_e32 v2, vcc, 0, v2, vcc
	v_add_co_u32_e32 v1, vcc, 0, v6
	s_waitcnt lgkmcnt(0)
	v_addc_co_u32_e32 v2, vcc, v7, v2, vcc
.LBB94_99:
	s_or_b64 exec, exec, s[0:1]
	v_cmp_gt_u32_e32 vcc, 48, v4
	s_waitcnt lgkmcnt(0)
	v_cndmask_b32_e64 v7, 0, 16, vcc
	v_add_lshl_u32 v7, v7, v3, 2
	ds_bpermute_b32 v8, v7, v6
	ds_bpermute_b32 v7, v7, v2
	v_add_u32_e32 v9, 16, v4
	v_cmp_lt_u32_e32 vcc, v9, v5
	s_and_saveexec_b64 s[0:1], vcc
	s_cbranch_execz .LBB94_101
; %bb.100:
	s_waitcnt lgkmcnt(1)
	v_add_co_u32_e32 v6, vcc, v1, v8
	v_addc_co_u32_e32 v2, vcc, 0, v2, vcc
	v_add_co_u32_e32 v1, vcc, 0, v6
	s_waitcnt lgkmcnt(0)
	v_addc_co_u32_e32 v2, vcc, v7, v2, vcc
.LBB94_101:
	s_or_b64 exec, exec, s[0:1]
	s_waitcnt lgkmcnt(0)
	v_lshlrev_b32_e32 v7, 2, v3
	v_or_b32_e32 v8, 0x80, v7
	ds_bpermute_b32 v6, v8, v6
	ds_bpermute_b32 v8, v8, v2
	v_add_u32_e32 v4, 32, v4
	s_waitcnt lgkmcnt(1)
	v_add_co_u32_e32 v6, vcc, v1, v6
	v_addc_co_u32_e32 v9, vcc, 0, v2, vcc
	v_add_co_u32_e32 v6, vcc, 0, v6
	s_waitcnt lgkmcnt(0)
	v_addc_co_u32_e32 v8, vcc, v9, v8, vcc
	v_cmp_lt_u32_e32 vcc, v4, v5
	v_cndmask_b32_e32 v2, v2, v8, vcc
	v_cndmask_b32_e32 v1, v1, v6, vcc
	v_cmp_eq_u32_e32 vcc, 0, v3
	s_and_saveexec_b64 s[0:1], vcc
; %bb.102:
	v_lshrrev_b32_e32 v4, 3, v0
	v_and_b32_e32 v4, 24, v4
	ds_write_b64 v4, v[1:2] offset:160
; %bb.103:
	s_or_b64 exec, exec, s[0:1]
	v_cmp_gt_u32_e32 vcc, 4, v0
	s_waitcnt lgkmcnt(0)
	s_barrier
	s_and_saveexec_b64 s[0:1], vcc
	s_cbranch_execz .LBB94_107
; %bb.104:
	v_lshlrev_b32_e32 v1, 3, v3
	ds_read_b64 v[1:2], v1 offset:160
	v_and_b32_e32 v4, 3, v3
	v_cmp_ne_u32_e32 vcc, 3, v4
	v_addc_co_u32_e32 v3, vcc, 0, v3, vcc
	v_lshlrev_b32_e32 v3, 2, v3
	s_waitcnt lgkmcnt(0)
	ds_bpermute_b32 v6, v3, v1
	ds_bpermute_b32 v5, v3, v2
	s_add_i32 s2, s2, 63
	s_lshr_b32 s4, s2, 6
	v_add_u32_e32 v3, 1, v4
	v_cmp_gt_u32_e32 vcc, s4, v3
	v_mov_b32_e32 v3, v1
	s_and_saveexec_b64 s[2:3], vcc
	s_cbranch_execz .LBB94_106
; %bb.105:
	s_waitcnt lgkmcnt(1)
	v_add_co_u32_e32 v3, vcc, v1, v6
	v_addc_co_u32_e32 v2, vcc, 0, v2, vcc
	v_add_co_u32_e32 v1, vcc, 0, v3
	s_waitcnt lgkmcnt(0)
	v_addc_co_u32_e32 v2, vcc, v5, v2, vcc
.LBB94_106:
	s_or_b64 exec, exec, s[2:3]
	s_waitcnt lgkmcnt(0)
	v_or_b32_e32 v5, 8, v7
	ds_bpermute_b32 v3, v5, v3
	ds_bpermute_b32 v5, v5, v2
	v_add_u32_e32 v4, 2, v4
	s_waitcnt lgkmcnt(1)
	v_add_co_u32_e32 v3, vcc, v1, v3
	v_addc_co_u32_e32 v6, vcc, 0, v2, vcc
	v_add_co_u32_e32 v3, vcc, 0, v3
	s_waitcnt lgkmcnt(0)
	v_addc_co_u32_e32 v5, vcc, v6, v5, vcc
	v_cmp_gt_u32_e32 vcc, s4, v4
	v_cndmask_b32_e32 v2, v2, v5, vcc
	v_cndmask_b32_e32 v1, v1, v3, vcc
.LBB94_107:
	s_or_b64 exec, exec, s[0:1]
.LBB94_108:
	v_mov_b32_e32 v3, s6
	v_cmp_eq_u32_e64 s[2:3], 0, v0
	v_mov_b32_e32 v4, s7
.LBB94_109:
	s_branch .LBB94_144
.LBB94_110:
	s_cmp_eq_u32 s26, 4
                                        ; implicit-def: $vgpr1_vgpr2
                                        ; implicit-def: $vgpr3_vgpr4
	s_cbranch_scc0 .LBB94_144
; %bb.111:
	s_mov_b32 s7, 0
	s_lshl_b32 s0, s6, 10
	s_mov_b32 s1, s7
	s_lshr_b64 s[2:3], s[18:19], 10
	s_lshl_b64 s[4:5], s[0:1], 3
	s_add_u32 s4, s16, s4
	s_addc_u32 s5, s17, s5
	s_cmp_lg_u64 s[2:3], s[6:7]
	s_cbranch_scc0 .LBB94_117
; %bb.112:
	v_lshlrev_b32_e32 v3, 3, v0
	v_mov_b32_e32 v1, s5
	v_add_co_u32_e32 v4, vcc, s4, v3
	v_addc_co_u32_e32 v7, vcc, 0, v1, vcc
	global_load_dwordx2 v[1:2], v3, s[4:5]
	global_load_dwordx2 v[5:6], v3, s[4:5] offset:2048
	v_add_co_u32_e32 v3, vcc, 0x1000, v4
	v_addc_co_u32_e32 v4, vcc, 0, v7, vcc
	global_load_dwordx2 v[7:8], v[3:4], off
	global_load_dwordx2 v[9:10], v[3:4], off offset:2048
	v_mbcnt_lo_u32_b32 v3, -1, 0
	v_mbcnt_hi_u32_b32 v3, -1, v3
	v_lshlrev_b32_e32 v4, 2, v3
	v_or_b32_e32 v11, 0xfc, v4
	s_waitcnt vmcnt(2)
	v_add_co_u32_e32 v1, vcc, v5, v1
	v_addc_co_u32_e32 v2, vcc, v6, v2, vcc
	s_waitcnt vmcnt(1)
	v_add_co_u32_e32 v1, vcc, v1, v7
	v_addc_co_u32_e32 v2, vcc, v2, v8, vcc
	;; [unrolled: 3-line block ×3, first 2 shown]
	s_nop 0
	v_mov_b32_dpp v5, v1 quad_perm:[1,0,3,2] row_mask:0xf bank_mask:0xf bound_ctrl:1
	v_add_co_u32_e32 v1, vcc, v1, v5
	v_mov_b32_dpp v6, v2 quad_perm:[1,0,3,2] row_mask:0xf bank_mask:0xf bound_ctrl:1
	v_addc_co_u32_e32 v2, vcc, 0, v2, vcc
	v_add_co_u32_e32 v5, vcc, 0, v1
	v_addc_co_u32_e32 v2, vcc, v6, v2, vcc
	v_mov_b32_dpp v1, v1 quad_perm:[2,3,0,1] row_mask:0xf bank_mask:0xf bound_ctrl:1
	v_add_co_u32_e32 v1, vcc, v5, v1
	v_mov_b32_dpp v6, v2 quad_perm:[2,3,0,1] row_mask:0xf bank_mask:0xf bound_ctrl:1
	v_addc_co_u32_e32 v2, vcc, 0, v2, vcc
	v_add_co_u32_e32 v5, vcc, 0, v1
	v_addc_co_u32_e32 v2, vcc, v2, v6, vcc
	v_mov_b32_dpp v1, v1 row_ror:4 row_mask:0xf bank_mask:0xf bound_ctrl:1
	v_add_co_u32_e32 v1, vcc, v5, v1
	v_mov_b32_dpp v6, v2 row_ror:4 row_mask:0xf bank_mask:0xf bound_ctrl:1
	v_addc_co_u32_e32 v2, vcc, 0, v2, vcc
	v_add_co_u32_e32 v5, vcc, 0, v1
	v_addc_co_u32_e32 v2, vcc, v2, v6, vcc
	v_mov_b32_dpp v1, v1 row_ror:8 row_mask:0xf bank_mask:0xf bound_ctrl:1
	v_add_co_u32_e32 v1, vcc, v5, v1
	v_mov_b32_dpp v6, v2 row_ror:8 row_mask:0xf bank_mask:0xf bound_ctrl:1
	v_addc_co_u32_e32 v2, vcc, 0, v2, vcc
	v_add_co_u32_e32 v5, vcc, 0, v1
	v_addc_co_u32_e32 v2, vcc, v2, v6, vcc
	v_mov_b32_dpp v1, v1 row_bcast:15 row_mask:0xf bank_mask:0xf bound_ctrl:1
	v_add_co_u32_e32 v1, vcc, v5, v1
	v_mov_b32_dpp v6, v2 row_bcast:15 row_mask:0xf bank_mask:0xf bound_ctrl:1
	v_addc_co_u32_e32 v2, vcc, 0, v2, vcc
	v_add_co_u32_e32 v5, vcc, 0, v1
	v_addc_co_u32_e32 v2, vcc, v2, v6, vcc
	v_mov_b32_dpp v1, v1 row_bcast:31 row_mask:0xf bank_mask:0xf bound_ctrl:1
	v_add_co_u32_e32 v1, vcc, v5, v1
	v_addc_co_u32_e32 v5, vcc, 0, v2, vcc
	ds_bpermute_b32 v1, v11, v1
	s_nop 0
	v_add_u32_dpp v2, v2, v5 row_bcast:31 row_mask:0xf bank_mask:0xf bound_ctrl:1
	ds_bpermute_b32 v2, v11, v2
	v_cmp_eq_u32_e32 vcc, 0, v3
	s_and_saveexec_b64 s[2:3], vcc
	s_cbranch_execz .LBB94_114
; %bb.113:
	v_lshrrev_b32_e32 v5, 3, v0
	v_and_b32_e32 v5, 24, v5
	s_waitcnt lgkmcnt(0)
	ds_write_b64 v5, v[1:2] offset:96
.LBB94_114:
	s_or_b64 exec, exec, s[2:3]
	v_cmp_gt_u32_e32 vcc, 64, v0
	s_waitcnt lgkmcnt(0)
	s_barrier
	s_and_saveexec_b64 s[2:3], vcc
	s_cbranch_execz .LBB94_116
; %bb.115:
	v_and_b32_e32 v5, 3, v3
	v_lshlrev_b32_e32 v1, 3, v5
	ds_read_b64 v[1:2], v1 offset:96
	v_cmp_ne_u32_e32 vcc, 3, v5
	v_addc_co_u32_e32 v3, vcc, 0, v3, vcc
	v_lshlrev_b32_e32 v3, 2, v3
	s_waitcnt lgkmcnt(0)
	ds_bpermute_b32 v5, v3, v1
	ds_bpermute_b32 v3, v3, v2
	v_or_b32_e32 v4, 8, v4
	s_waitcnt lgkmcnt(1)
	v_add_co_u32_e32 v1, vcc, v1, v5
	v_addc_co_u32_e32 v2, vcc, 0, v2, vcc
	ds_bpermute_b32 v5, v4, v1
	v_add_co_u32_e32 v1, vcc, 0, v1
	s_waitcnt lgkmcnt(1)
	v_addc_co_u32_e32 v2, vcc, v3, v2, vcc
	ds_bpermute_b32 v3, v4, v2
	s_waitcnt lgkmcnt(1)
	v_add_co_u32_e32 v1, vcc, v1, v5
	v_addc_co_u32_e32 v2, vcc, 0, v2, vcc
	v_add_co_u32_e32 v1, vcc, 0, v1
	s_waitcnt lgkmcnt(0)
	v_addc_co_u32_e32 v2, vcc, v2, v3, vcc
.LBB94_116:
	s_or_b64 exec, exec, s[2:3]
	s_branch .LBB94_143
.LBB94_117:
                                        ; implicit-def: $vgpr1_vgpr2
	s_cbranch_execz .LBB94_143
; %bb.118:
	s_sub_i32 s10, s18, s0
	v_mov_b32_e32 v1, 0
	v_cmp_gt_u32_e32 vcc, s10, v0
	v_mov_b32_e32 v2, v1
	v_mov_b32_e32 v3, v1
	;; [unrolled: 1-line block ×7, first 2 shown]
	s_and_saveexec_b64 s[0:1], vcc
	s_cbranch_execz .LBB94_120
; %bb.119:
	v_lshlrev_b32_e32 v2, 3, v0
	global_load_dwordx2 v[2:3], v2, s[4:5]
	v_mov_b32_e32 v4, v1
	v_mov_b32_e32 v5, v1
	;; [unrolled: 1-line block ×6, first 2 shown]
	s_waitcnt vmcnt(0)
	v_mov_b32_e32 v1, v2
	v_mov_b32_e32 v2, v3
	;; [unrolled: 1-line block ×8, first 2 shown]
.LBB94_120:
	s_or_b64 exec, exec, s[0:1]
	v_or_b32_e32 v9, 0x100, v0
	v_cmp_gt_u32_e32 vcc, s10, v9
	s_and_saveexec_b64 s[0:1], vcc
	s_cbranch_execz .LBB94_122
; %bb.121:
	v_lshlrev_b32_e32 v3, 3, v0
	global_load_dwordx2 v[3:4], v3, s[4:5] offset:2048
.LBB94_122:
	s_or_b64 exec, exec, s[0:1]
	v_or_b32_e32 v9, 0x200, v0
	v_cmp_gt_u32_e64 s[0:1], s10, v9
	s_and_saveexec_b64 s[2:3], s[0:1]
	s_cbranch_execz .LBB94_124
; %bb.123:
	v_lshlrev_b32_e32 v5, 3, v9
	global_load_dwordx2 v[5:6], v5, s[4:5]
.LBB94_124:
	s_or_b64 exec, exec, s[2:3]
	v_or_b32_e32 v9, 0x300, v0
	v_cmp_gt_u32_e64 s[2:3], s10, v9
	s_and_saveexec_b64 s[8:9], s[2:3]
	s_cbranch_execz .LBB94_126
; %bb.125:
	v_lshlrev_b32_e32 v7, 3, v9
	global_load_dwordx2 v[7:8], v7, s[4:5]
.LBB94_126:
	s_or_b64 exec, exec, s[8:9]
	s_waitcnt vmcnt(0)
	v_cndmask_b32_e32 v3, 0, v3, vcc
	v_cndmask_b32_e32 v4, 0, v4, vcc
	v_add_co_u32_e32 v1, vcc, v3, v1
	v_addc_co_u32_e32 v2, vcc, v4, v2, vcc
	v_cndmask_b32_e64 v4, 0, v5, s[0:1]
	v_cndmask_b32_e64 v3, 0, v6, s[0:1]
	v_add_co_u32_e32 v1, vcc, v1, v4
	v_addc_co_u32_e32 v2, vcc, v2, v3, vcc
	v_cndmask_b32_e64 v4, 0, v7, s[2:3]
	v_cndmask_b32_e64 v3, 0, v8, s[2:3]
	v_add_co_u32_e32 v1, vcc, v1, v4
	v_addc_co_u32_e32 v2, vcc, v2, v3, vcc
	v_mbcnt_lo_u32_b32 v3, -1, 0
	v_mbcnt_hi_u32_b32 v3, -1, v3
	v_and_b32_e32 v4, 63, v3
	v_cmp_ne_u32_e32 vcc, 63, v4
	v_addc_co_u32_e32 v6, vcc, 0, v3, vcc
	v_lshlrev_b32_e32 v6, 2, v6
	ds_bpermute_b32 v8, v6, v1
	ds_bpermute_b32 v7, v6, v2
	s_min_u32 s2, s10, 0x100
	v_and_b32_e32 v5, 0xc0, v0
	v_sub_u32_e64 v5, s2, v5 clamp
	v_add_u32_e32 v6, 1, v4
	v_cmp_lt_u32_e32 vcc, v6, v5
	v_mov_b32_e32 v6, v1
	s_and_saveexec_b64 s[0:1], vcc
	s_cbranch_execz .LBB94_128
; %bb.127:
	s_waitcnt lgkmcnt(1)
	v_add_co_u32_e32 v6, vcc, v1, v8
	v_addc_co_u32_e32 v2, vcc, 0, v2, vcc
	v_add_co_u32_e32 v1, vcc, 0, v6
	s_waitcnt lgkmcnt(0)
	v_addc_co_u32_e32 v2, vcc, v7, v2, vcc
.LBB94_128:
	s_or_b64 exec, exec, s[0:1]
	v_cmp_gt_u32_e32 vcc, 62, v4
	s_waitcnt lgkmcnt(0)
	v_cndmask_b32_e64 v7, 0, 2, vcc
	v_add_lshl_u32 v7, v7, v3, 2
	ds_bpermute_b32 v8, v7, v6
	ds_bpermute_b32 v7, v7, v2
	v_add_u32_e32 v9, 2, v4
	v_cmp_lt_u32_e32 vcc, v9, v5
	s_and_saveexec_b64 s[0:1], vcc
	s_cbranch_execz .LBB94_130
; %bb.129:
	s_waitcnt lgkmcnt(1)
	v_add_co_u32_e32 v6, vcc, v1, v8
	v_addc_co_u32_e32 v2, vcc, 0, v2, vcc
	v_add_co_u32_e32 v1, vcc, 0, v6
	s_waitcnt lgkmcnt(0)
	v_addc_co_u32_e32 v2, vcc, v7, v2, vcc
.LBB94_130:
	s_or_b64 exec, exec, s[0:1]
	v_cmp_gt_u32_e32 vcc, 60, v4
	s_waitcnt lgkmcnt(0)
	v_cndmask_b32_e64 v7, 0, 4, vcc
	v_add_lshl_u32 v7, v7, v3, 2
	ds_bpermute_b32 v8, v7, v6
	ds_bpermute_b32 v7, v7, v2
	v_add_u32_e32 v9, 4, v4
	v_cmp_lt_u32_e32 vcc, v9, v5
	;; [unrolled: 19-line block ×4, first 2 shown]
	s_and_saveexec_b64 s[0:1], vcc
	s_cbranch_execz .LBB94_136
; %bb.135:
	s_waitcnt lgkmcnt(1)
	v_add_co_u32_e32 v6, vcc, v1, v8
	v_addc_co_u32_e32 v2, vcc, 0, v2, vcc
	v_add_co_u32_e32 v1, vcc, 0, v6
	s_waitcnt lgkmcnt(0)
	v_addc_co_u32_e32 v2, vcc, v7, v2, vcc
.LBB94_136:
	s_or_b64 exec, exec, s[0:1]
	s_waitcnt lgkmcnt(0)
	v_lshlrev_b32_e32 v7, 2, v3
	v_or_b32_e32 v8, 0x80, v7
	ds_bpermute_b32 v6, v8, v6
	ds_bpermute_b32 v8, v8, v2
	v_add_u32_e32 v4, 32, v4
	s_waitcnt lgkmcnt(1)
	v_add_co_u32_e32 v6, vcc, v1, v6
	v_addc_co_u32_e32 v9, vcc, 0, v2, vcc
	v_add_co_u32_e32 v6, vcc, 0, v6
	s_waitcnt lgkmcnt(0)
	v_addc_co_u32_e32 v8, vcc, v9, v8, vcc
	v_cmp_lt_u32_e32 vcc, v4, v5
	v_cndmask_b32_e32 v2, v2, v8, vcc
	v_cndmask_b32_e32 v1, v1, v6, vcc
	v_cmp_eq_u32_e32 vcc, 0, v3
	s_and_saveexec_b64 s[0:1], vcc
; %bb.137:
	v_lshrrev_b32_e32 v4, 3, v0
	v_and_b32_e32 v4, 24, v4
	ds_write_b64 v4, v[1:2] offset:160
; %bb.138:
	s_or_b64 exec, exec, s[0:1]
	v_cmp_gt_u32_e32 vcc, 4, v0
	s_waitcnt lgkmcnt(0)
	s_barrier
	s_and_saveexec_b64 s[0:1], vcc
	s_cbranch_execz .LBB94_142
; %bb.139:
	v_lshlrev_b32_e32 v1, 3, v3
	ds_read_b64 v[1:2], v1 offset:160
	v_and_b32_e32 v4, 3, v3
	v_cmp_ne_u32_e32 vcc, 3, v4
	v_addc_co_u32_e32 v3, vcc, 0, v3, vcc
	v_lshlrev_b32_e32 v3, 2, v3
	s_waitcnt lgkmcnt(0)
	ds_bpermute_b32 v6, v3, v1
	ds_bpermute_b32 v5, v3, v2
	s_add_i32 s2, s2, 63
	s_lshr_b32 s4, s2, 6
	v_add_u32_e32 v3, 1, v4
	v_cmp_gt_u32_e32 vcc, s4, v3
	v_mov_b32_e32 v3, v1
	s_and_saveexec_b64 s[2:3], vcc
	s_cbranch_execz .LBB94_141
; %bb.140:
	s_waitcnt lgkmcnt(1)
	v_add_co_u32_e32 v3, vcc, v1, v6
	v_addc_co_u32_e32 v2, vcc, 0, v2, vcc
	v_add_co_u32_e32 v1, vcc, 0, v3
	s_waitcnt lgkmcnt(0)
	v_addc_co_u32_e32 v2, vcc, v5, v2, vcc
.LBB94_141:
	s_or_b64 exec, exec, s[2:3]
	s_waitcnt lgkmcnt(0)
	v_or_b32_e32 v5, 8, v7
	ds_bpermute_b32 v3, v5, v3
	ds_bpermute_b32 v5, v5, v2
	v_add_u32_e32 v4, 2, v4
	s_waitcnt lgkmcnt(1)
	v_add_co_u32_e32 v3, vcc, v1, v3
	v_addc_co_u32_e32 v6, vcc, 0, v2, vcc
	v_add_co_u32_e32 v3, vcc, 0, v3
	s_waitcnt lgkmcnt(0)
	v_addc_co_u32_e32 v5, vcc, v6, v5, vcc
	v_cmp_gt_u32_e32 vcc, s4, v4
	v_cndmask_b32_e32 v2, v2, v5, vcc
	v_cndmask_b32_e32 v1, v1, v3, vcc
.LBB94_142:
	s_or_b64 exec, exec, s[0:1]
.LBB94_143:
	v_mov_b32_e32 v3, s6
	v_cmp_eq_u32_e64 s[2:3], 0, v0
	v_mov_b32_e32 v4, s7
.LBB94_144:
	s_branch .LBB94_206
.LBB94_145:
	s_cmp_gt_i32 s26, 1
	s_cbranch_scc0 .LBB94_153
; %bb.146:
	s_cmp_eq_u32 s26, 2
                                        ; implicit-def: $vgpr1_vgpr2
                                        ; implicit-def: $vgpr3_vgpr4
	s_cbranch_scc0 .LBB94_154
; %bb.147:
	s_mov_b32 s7, 0
	s_lshl_b32 s2, s6, 9
	s_mov_b32 s3, s7
	s_lshr_b64 s[4:5], s[18:19], 9
	s_lshl_b64 s[0:1], s[2:3], 3
	s_add_u32 s0, s16, s0
	s_addc_u32 s1, s17, s1
	s_cmp_lg_u64 s[4:5], s[6:7]
	s_cbranch_scc0 .LBB94_155
; %bb.148:
	v_lshlrev_b32_e32 v3, 3, v0
	global_load_dwordx2 v[1:2], v3, s[0:1]
	global_load_dwordx2 v[5:6], v3, s[0:1] offset:2048
	v_mbcnt_lo_u32_b32 v3, -1, 0
	v_mbcnt_hi_u32_b32 v3, -1, v3
	v_lshlrev_b32_e32 v4, 2, v3
	v_or_b32_e32 v7, 0xfc, v4
	s_waitcnt vmcnt(0)
	v_add_co_u32_e32 v1, vcc, v5, v1
	v_addc_co_u32_e32 v2, vcc, v6, v2, vcc
	s_nop 0
	v_mov_b32_dpp v5, v1 quad_perm:[1,0,3,2] row_mask:0xf bank_mask:0xf bound_ctrl:1
	v_add_co_u32_e32 v1, vcc, v1, v5
	v_mov_b32_dpp v6, v2 quad_perm:[1,0,3,2] row_mask:0xf bank_mask:0xf bound_ctrl:1
	v_addc_co_u32_e32 v2, vcc, 0, v2, vcc
	v_add_co_u32_e32 v5, vcc, 0, v1
	v_addc_co_u32_e32 v2, vcc, v6, v2, vcc
	v_mov_b32_dpp v1, v1 quad_perm:[2,3,0,1] row_mask:0xf bank_mask:0xf bound_ctrl:1
	v_add_co_u32_e32 v1, vcc, v5, v1
	v_mov_b32_dpp v6, v2 quad_perm:[2,3,0,1] row_mask:0xf bank_mask:0xf bound_ctrl:1
	v_addc_co_u32_e32 v2, vcc, 0, v2, vcc
	v_add_co_u32_e32 v5, vcc, 0, v1
	v_addc_co_u32_e32 v2, vcc, v2, v6, vcc
	v_mov_b32_dpp v1, v1 row_ror:4 row_mask:0xf bank_mask:0xf bound_ctrl:1
	v_add_co_u32_e32 v1, vcc, v5, v1
	v_mov_b32_dpp v6, v2 row_ror:4 row_mask:0xf bank_mask:0xf bound_ctrl:1
	v_addc_co_u32_e32 v2, vcc, 0, v2, vcc
	v_add_co_u32_e32 v5, vcc, 0, v1
	v_addc_co_u32_e32 v2, vcc, v2, v6, vcc
	v_mov_b32_dpp v1, v1 row_ror:8 row_mask:0xf bank_mask:0xf bound_ctrl:1
	v_add_co_u32_e32 v1, vcc, v5, v1
	v_mov_b32_dpp v6, v2 row_ror:8 row_mask:0xf bank_mask:0xf bound_ctrl:1
	v_addc_co_u32_e32 v2, vcc, 0, v2, vcc
	v_add_co_u32_e32 v5, vcc, 0, v1
	v_addc_co_u32_e32 v2, vcc, v2, v6, vcc
	v_mov_b32_dpp v1, v1 row_bcast:15 row_mask:0xf bank_mask:0xf bound_ctrl:1
	v_add_co_u32_e32 v1, vcc, v5, v1
	v_mov_b32_dpp v6, v2 row_bcast:15 row_mask:0xf bank_mask:0xf bound_ctrl:1
	v_addc_co_u32_e32 v2, vcc, 0, v2, vcc
	v_add_co_u32_e32 v5, vcc, 0, v1
	v_addc_co_u32_e32 v2, vcc, v2, v6, vcc
	v_mov_b32_dpp v1, v1 row_bcast:31 row_mask:0xf bank_mask:0xf bound_ctrl:1
	v_add_co_u32_e32 v1, vcc, v5, v1
	v_addc_co_u32_e32 v5, vcc, 0, v2, vcc
	ds_bpermute_b32 v1, v7, v1
	s_nop 0
	v_add_u32_dpp v2, v2, v5 row_bcast:31 row_mask:0xf bank_mask:0xf bound_ctrl:1
	ds_bpermute_b32 v2, v7, v2
	v_cmp_eq_u32_e32 vcc, 0, v3
	s_and_saveexec_b64 s[4:5], vcc
	s_cbranch_execz .LBB94_150
; %bb.149:
	v_lshrrev_b32_e32 v5, 3, v0
	v_and_b32_e32 v5, 24, v5
	s_waitcnt lgkmcnt(0)
	ds_write_b64 v5, v[1:2] offset:64
.LBB94_150:
	s_or_b64 exec, exec, s[4:5]
	v_cmp_gt_u32_e32 vcc, 64, v0
	s_waitcnt lgkmcnt(0)
	s_barrier
	s_and_saveexec_b64 s[4:5], vcc
	s_cbranch_execz .LBB94_152
; %bb.151:
	v_and_b32_e32 v5, 3, v3
	v_lshlrev_b32_e32 v1, 3, v5
	ds_read_b64 v[1:2], v1 offset:64
	v_cmp_ne_u32_e32 vcc, 3, v5
	v_addc_co_u32_e32 v3, vcc, 0, v3, vcc
	v_lshlrev_b32_e32 v3, 2, v3
	s_waitcnt lgkmcnt(0)
	ds_bpermute_b32 v5, v3, v1
	ds_bpermute_b32 v3, v3, v2
	v_or_b32_e32 v4, 8, v4
	s_waitcnt lgkmcnt(1)
	v_add_co_u32_e32 v1, vcc, v1, v5
	v_addc_co_u32_e32 v2, vcc, 0, v2, vcc
	ds_bpermute_b32 v5, v4, v1
	v_add_co_u32_e32 v1, vcc, 0, v1
	s_waitcnt lgkmcnt(1)
	v_addc_co_u32_e32 v2, vcc, v3, v2, vcc
	ds_bpermute_b32 v3, v4, v2
	s_waitcnt lgkmcnt(1)
	v_add_co_u32_e32 v1, vcc, v1, v5
	v_addc_co_u32_e32 v2, vcc, 0, v2, vcc
	v_add_co_u32_e32 v1, vcc, 0, v1
	s_waitcnt lgkmcnt(0)
	v_addc_co_u32_e32 v2, vcc, v2, v3, vcc
.LBB94_152:
	s_or_b64 exec, exec, s[4:5]
	s_branch .LBB94_177
.LBB94_153:
                                        ; implicit-def: $vgpr1_vgpr2
                                        ; implicit-def: $vgpr3_vgpr4
	s_cbranch_execnz .LBB94_178
	s_branch .LBB94_206
.LBB94_154:
	s_branch .LBB94_206
.LBB94_155:
                                        ; implicit-def: $vgpr1_vgpr2
	s_cbranch_execz .LBB94_177
; %bb.156:
	s_sub_i32 s4, s18, s2
	v_mov_b32_e32 v1, 0
	v_cmp_gt_u32_e32 vcc, s4, v0
	v_mov_b32_e32 v2, v1
	v_mov_b32_e32 v3, v1
	;; [unrolled: 1-line block ×3, first 2 shown]
	s_and_saveexec_b64 s[2:3], vcc
	s_cbranch_execz .LBB94_158
; %bb.157:
	v_lshlrev_b32_e32 v2, 3, v0
	global_load_dwordx2 v[2:3], v2, s[0:1]
	v_mov_b32_e32 v4, v1
	v_mov_b32_e32 v5, v1
	s_waitcnt vmcnt(0)
	v_mov_b32_e32 v1, v2
	v_mov_b32_e32 v2, v3
	;; [unrolled: 1-line block ×4, first 2 shown]
.LBB94_158:
	s_or_b64 exec, exec, s[2:3]
	v_or_b32_e32 v5, 0x100, v0
	v_cmp_gt_u32_e32 vcc, s4, v5
	s_and_saveexec_b64 s[2:3], vcc
	s_cbranch_execz .LBB94_160
; %bb.159:
	v_lshlrev_b32_e32 v3, 3, v0
	global_load_dwordx2 v[3:4], v3, s[0:1] offset:2048
.LBB94_160:
	s_or_b64 exec, exec, s[2:3]
	s_waitcnt vmcnt(0)
	v_cndmask_b32_e32 v3, 0, v3, vcc
	v_cndmask_b32_e32 v4, 0, v4, vcc
	v_add_co_u32_e32 v1, vcc, v3, v1
	v_mbcnt_lo_u32_b32 v3, -1, 0
	v_mbcnt_hi_u32_b32 v3, -1, v3
	v_addc_co_u32_e32 v2, vcc, v4, v2, vcc
	v_and_b32_e32 v4, 63, v3
	v_cmp_ne_u32_e32 vcc, 63, v4
	v_addc_co_u32_e32 v6, vcc, 0, v3, vcc
	v_lshlrev_b32_e32 v6, 2, v6
	ds_bpermute_b32 v8, v6, v1
	ds_bpermute_b32 v7, v6, v2
	s_min_u32 s2, s4, 0x100
	v_and_b32_e32 v5, 0xc0, v0
	v_sub_u32_e64 v5, s2, v5 clamp
	v_add_u32_e32 v6, 1, v4
	v_cmp_lt_u32_e32 vcc, v6, v5
	v_mov_b32_e32 v6, v1
	s_and_saveexec_b64 s[0:1], vcc
	s_cbranch_execz .LBB94_162
; %bb.161:
	s_waitcnt lgkmcnt(1)
	v_add_co_u32_e32 v6, vcc, v1, v8
	v_addc_co_u32_e32 v2, vcc, 0, v2, vcc
	v_add_co_u32_e32 v1, vcc, 0, v6
	s_waitcnt lgkmcnt(0)
	v_addc_co_u32_e32 v2, vcc, v7, v2, vcc
.LBB94_162:
	s_or_b64 exec, exec, s[0:1]
	v_cmp_gt_u32_e32 vcc, 62, v4
	s_waitcnt lgkmcnt(0)
	v_cndmask_b32_e64 v7, 0, 2, vcc
	v_add_lshl_u32 v7, v7, v3, 2
	ds_bpermute_b32 v8, v7, v6
	ds_bpermute_b32 v7, v7, v2
	v_add_u32_e32 v9, 2, v4
	v_cmp_lt_u32_e32 vcc, v9, v5
	s_and_saveexec_b64 s[0:1], vcc
	s_cbranch_execz .LBB94_164
; %bb.163:
	s_waitcnt lgkmcnt(1)
	v_add_co_u32_e32 v6, vcc, v1, v8
	v_addc_co_u32_e32 v2, vcc, 0, v2, vcc
	v_add_co_u32_e32 v1, vcc, 0, v6
	s_waitcnt lgkmcnt(0)
	v_addc_co_u32_e32 v2, vcc, v7, v2, vcc
.LBB94_164:
	s_or_b64 exec, exec, s[0:1]
	v_cmp_gt_u32_e32 vcc, 60, v4
	s_waitcnt lgkmcnt(0)
	v_cndmask_b32_e64 v7, 0, 4, vcc
	v_add_lshl_u32 v7, v7, v3, 2
	ds_bpermute_b32 v8, v7, v6
	ds_bpermute_b32 v7, v7, v2
	v_add_u32_e32 v9, 4, v4
	v_cmp_lt_u32_e32 vcc, v9, v5
	;; [unrolled: 19-line block ×4, first 2 shown]
	s_and_saveexec_b64 s[0:1], vcc
	s_cbranch_execz .LBB94_170
; %bb.169:
	s_waitcnt lgkmcnt(1)
	v_add_co_u32_e32 v6, vcc, v1, v8
	v_addc_co_u32_e32 v2, vcc, 0, v2, vcc
	v_add_co_u32_e32 v1, vcc, 0, v6
	s_waitcnt lgkmcnt(0)
	v_addc_co_u32_e32 v2, vcc, v7, v2, vcc
.LBB94_170:
	s_or_b64 exec, exec, s[0:1]
	s_waitcnt lgkmcnt(0)
	v_lshlrev_b32_e32 v7, 2, v3
	v_or_b32_e32 v8, 0x80, v7
	ds_bpermute_b32 v6, v8, v6
	ds_bpermute_b32 v8, v8, v2
	v_add_u32_e32 v4, 32, v4
	s_waitcnt lgkmcnt(1)
	v_add_co_u32_e32 v6, vcc, v1, v6
	v_addc_co_u32_e32 v9, vcc, 0, v2, vcc
	v_add_co_u32_e32 v6, vcc, 0, v6
	s_waitcnt lgkmcnt(0)
	v_addc_co_u32_e32 v8, vcc, v9, v8, vcc
	v_cmp_lt_u32_e32 vcc, v4, v5
	v_cndmask_b32_e32 v2, v2, v8, vcc
	v_cndmask_b32_e32 v1, v1, v6, vcc
	v_cmp_eq_u32_e32 vcc, 0, v3
	s_and_saveexec_b64 s[0:1], vcc
; %bb.171:
	v_lshrrev_b32_e32 v4, 3, v0
	v_and_b32_e32 v4, 24, v4
	ds_write_b64 v4, v[1:2] offset:160
; %bb.172:
	s_or_b64 exec, exec, s[0:1]
	v_cmp_gt_u32_e32 vcc, 4, v0
	s_waitcnt lgkmcnt(0)
	s_barrier
	s_and_saveexec_b64 s[0:1], vcc
	s_cbranch_execz .LBB94_176
; %bb.173:
	v_lshlrev_b32_e32 v1, 3, v3
	ds_read_b64 v[1:2], v1 offset:160
	v_and_b32_e32 v4, 3, v3
	v_cmp_ne_u32_e32 vcc, 3, v4
	v_addc_co_u32_e32 v3, vcc, 0, v3, vcc
	v_lshlrev_b32_e32 v3, 2, v3
	s_waitcnt lgkmcnt(0)
	ds_bpermute_b32 v6, v3, v1
	ds_bpermute_b32 v5, v3, v2
	s_add_i32 s2, s2, 63
	s_lshr_b32 s4, s2, 6
	v_add_u32_e32 v3, 1, v4
	v_cmp_gt_u32_e32 vcc, s4, v3
	v_mov_b32_e32 v3, v1
	s_and_saveexec_b64 s[2:3], vcc
	s_cbranch_execz .LBB94_175
; %bb.174:
	s_waitcnt lgkmcnt(1)
	v_add_co_u32_e32 v3, vcc, v1, v6
	v_addc_co_u32_e32 v2, vcc, 0, v2, vcc
	v_add_co_u32_e32 v1, vcc, 0, v3
	s_waitcnt lgkmcnt(0)
	v_addc_co_u32_e32 v2, vcc, v5, v2, vcc
.LBB94_175:
	s_or_b64 exec, exec, s[2:3]
	s_waitcnt lgkmcnt(0)
	v_or_b32_e32 v5, 8, v7
	ds_bpermute_b32 v3, v5, v3
	ds_bpermute_b32 v5, v5, v2
	v_add_u32_e32 v4, 2, v4
	s_waitcnt lgkmcnt(1)
	v_add_co_u32_e32 v3, vcc, v1, v3
	v_addc_co_u32_e32 v6, vcc, 0, v2, vcc
	v_add_co_u32_e32 v3, vcc, 0, v3
	s_waitcnt lgkmcnt(0)
	v_addc_co_u32_e32 v5, vcc, v6, v5, vcc
	v_cmp_gt_u32_e32 vcc, s4, v4
	v_cndmask_b32_e32 v2, v2, v5, vcc
	v_cndmask_b32_e32 v1, v1, v3, vcc
.LBB94_176:
	s_or_b64 exec, exec, s[0:1]
.LBB94_177:
	v_mov_b32_e32 v3, s6
	v_cmp_eq_u32_e64 s[2:3], 0, v0
	v_mov_b32_e32 v4, s7
	s_branch .LBB94_206
.LBB94_178:
	s_cmp_eq_u32 s26, 1
                                        ; implicit-def: $vgpr1_vgpr2
                                        ; implicit-def: $vgpr3_vgpr4
	s_cbranch_scc0 .LBB94_206
; %bb.179:
	s_mov_b32 s1, 0
	s_lshl_b32 s0, s6, 8
	s_mov_b32 s7, s1
	s_lshr_b64 s[2:3], s[18:19], 8
	s_cmp_lg_u64 s[2:3], s[6:7]
	v_mbcnt_lo_u32_b32 v3, -1, 0
	s_cbranch_scc0 .LBB94_185
; %bb.180:
	s_lshl_b64 s[2:3], s[0:1], 3
	s_add_u32 s2, s16, s2
	s_addc_u32 s3, s17, s3
	v_lshlrev_b32_e32 v1, 3, v0
	global_load_dwordx2 v[1:2], v1, s[2:3]
	v_mbcnt_hi_u32_b32 v4, -1, v3
	v_lshlrev_b32_e32 v5, 2, v4
	v_or_b32_e32 v6, 0xfc, v5
	s_waitcnt vmcnt(0)
	v_mov_b32_dpp v7, v1 quad_perm:[1,0,3,2] row_mask:0xf bank_mask:0xf bound_ctrl:1
	v_add_co_u32_e32 v1, vcc, v1, v7
	v_mov_b32_dpp v8, v2 quad_perm:[1,0,3,2] row_mask:0xf bank_mask:0xf bound_ctrl:1
	v_addc_co_u32_e32 v2, vcc, 0, v2, vcc
	v_add_co_u32_e32 v7, vcc, 0, v1
	v_addc_co_u32_e32 v2, vcc, v8, v2, vcc
	v_mov_b32_dpp v1, v1 quad_perm:[2,3,0,1] row_mask:0xf bank_mask:0xf bound_ctrl:1
	v_add_co_u32_e32 v1, vcc, v7, v1
	v_mov_b32_dpp v8, v2 quad_perm:[2,3,0,1] row_mask:0xf bank_mask:0xf bound_ctrl:1
	v_addc_co_u32_e32 v2, vcc, 0, v2, vcc
	v_add_co_u32_e32 v7, vcc, 0, v1
	v_addc_co_u32_e32 v2, vcc, v2, v8, vcc
	v_mov_b32_dpp v1, v1 row_ror:4 row_mask:0xf bank_mask:0xf bound_ctrl:1
	v_add_co_u32_e32 v1, vcc, v7, v1
	v_mov_b32_dpp v8, v2 row_ror:4 row_mask:0xf bank_mask:0xf bound_ctrl:1
	v_addc_co_u32_e32 v2, vcc, 0, v2, vcc
	v_add_co_u32_e32 v7, vcc, 0, v1
	v_addc_co_u32_e32 v2, vcc, v2, v8, vcc
	v_mov_b32_dpp v1, v1 row_ror:8 row_mask:0xf bank_mask:0xf bound_ctrl:1
	v_add_co_u32_e32 v1, vcc, v7, v1
	v_mov_b32_dpp v8, v2 row_ror:8 row_mask:0xf bank_mask:0xf bound_ctrl:1
	v_addc_co_u32_e32 v2, vcc, 0, v2, vcc
	v_add_co_u32_e32 v7, vcc, 0, v1
	v_addc_co_u32_e32 v2, vcc, v2, v8, vcc
	v_mov_b32_dpp v1, v1 row_bcast:15 row_mask:0xf bank_mask:0xf bound_ctrl:1
	v_add_co_u32_e32 v1, vcc, v7, v1
	v_mov_b32_dpp v8, v2 row_bcast:15 row_mask:0xf bank_mask:0xf bound_ctrl:1
	v_addc_co_u32_e32 v2, vcc, 0, v2, vcc
	v_add_co_u32_e32 v7, vcc, 0, v1
	v_addc_co_u32_e32 v2, vcc, v2, v8, vcc
	v_mov_b32_dpp v1, v1 row_bcast:31 row_mask:0xf bank_mask:0xf bound_ctrl:1
	v_add_co_u32_e32 v1, vcc, v7, v1
	v_addc_co_u32_e32 v7, vcc, 0, v2, vcc
	ds_bpermute_b32 v1, v6, v1
	s_nop 0
	v_add_u32_dpp v2, v2, v7 row_bcast:31 row_mask:0xf bank_mask:0xf bound_ctrl:1
	ds_bpermute_b32 v2, v6, v2
	v_cmp_eq_u32_e32 vcc, 0, v4
	s_and_saveexec_b64 s[2:3], vcc
	s_cbranch_execz .LBB94_182
; %bb.181:
	v_lshrrev_b32_e32 v6, 3, v0
	v_and_b32_e32 v6, 24, v6
	s_waitcnt lgkmcnt(0)
	ds_write_b64 v6, v[1:2] offset:32
.LBB94_182:
	s_or_b64 exec, exec, s[2:3]
	v_cmp_gt_u32_e32 vcc, 64, v0
	s_waitcnt lgkmcnt(0)
	s_barrier
	s_and_saveexec_b64 s[2:3], vcc
	s_cbranch_execz .LBB94_184
; %bb.183:
	v_and_b32_e32 v6, 3, v4
	v_lshlrev_b32_e32 v1, 3, v6
	ds_read_b64 v[1:2], v1 offset:32
	v_cmp_ne_u32_e32 vcc, 3, v6
	v_addc_co_u32_e32 v4, vcc, 0, v4, vcc
	v_lshlrev_b32_e32 v4, 2, v4
	s_waitcnt lgkmcnt(0)
	ds_bpermute_b32 v6, v4, v1
	ds_bpermute_b32 v4, v4, v2
	v_or_b32_e32 v5, 8, v5
	s_waitcnt lgkmcnt(1)
	v_add_co_u32_e32 v1, vcc, v1, v6
	v_addc_co_u32_e32 v2, vcc, 0, v2, vcc
	ds_bpermute_b32 v6, v5, v1
	v_add_co_u32_e32 v1, vcc, 0, v1
	s_waitcnt lgkmcnt(1)
	v_addc_co_u32_e32 v2, vcc, v4, v2, vcc
	ds_bpermute_b32 v4, v5, v2
	s_waitcnt lgkmcnt(1)
	v_add_co_u32_e32 v1, vcc, v1, v6
	v_addc_co_u32_e32 v2, vcc, 0, v2, vcc
	v_add_co_u32_e32 v1, vcc, 0, v1
	s_waitcnt lgkmcnt(0)
	v_addc_co_u32_e32 v2, vcc, v2, v4, vcc
.LBB94_184:
	s_or_b64 exec, exec, s[2:3]
	s_branch .LBB94_205
.LBB94_185:
                                        ; implicit-def: $vgpr1_vgpr2
	s_cbranch_execz .LBB94_205
; %bb.186:
	s_sub_i32 s4, s18, s0
	v_cmp_gt_u32_e32 vcc, s4, v0
                                        ; implicit-def: $vgpr1_vgpr2
	s_and_saveexec_b64 s[2:3], vcc
	s_cbranch_execz .LBB94_188
; %bb.187:
	s_lshl_b64 s[0:1], s[0:1], 3
	s_add_u32 s0, s16, s0
	s_addc_u32 s1, s17, s1
	v_lshlrev_b32_e32 v1, 3, v0
	global_load_dwordx2 v[1:2], v1, s[0:1]
.LBB94_188:
	s_or_b64 exec, exec, s[2:3]
	v_mbcnt_hi_u32_b32 v3, -1, v3
	v_and_b32_e32 v4, 63, v3
	v_cmp_ne_u32_e32 vcc, 63, v4
	v_addc_co_u32_e32 v6, vcc, 0, v3, vcc
	v_lshlrev_b32_e32 v6, 2, v6
	s_waitcnt vmcnt(0)
	ds_bpermute_b32 v8, v6, v1
	ds_bpermute_b32 v7, v6, v2
	s_min_u32 s2, s4, 0x100
	v_and_b32_e32 v5, 0xc0, v0
	v_sub_u32_e64 v5, s2, v5 clamp
	v_add_u32_e32 v6, 1, v4
	v_cmp_lt_u32_e32 vcc, v6, v5
	v_mov_b32_e32 v6, v1
	s_and_saveexec_b64 s[0:1], vcc
	s_cbranch_execz .LBB94_190
; %bb.189:
	s_waitcnt lgkmcnt(1)
	v_add_co_u32_e32 v6, vcc, v1, v8
	v_addc_co_u32_e32 v2, vcc, 0, v2, vcc
	v_add_co_u32_e32 v1, vcc, 0, v6
	s_waitcnt lgkmcnt(0)
	v_addc_co_u32_e32 v2, vcc, v7, v2, vcc
.LBB94_190:
	s_or_b64 exec, exec, s[0:1]
	v_cmp_gt_u32_e32 vcc, 62, v4
	s_waitcnt lgkmcnt(0)
	v_cndmask_b32_e64 v7, 0, 2, vcc
	v_add_lshl_u32 v7, v7, v3, 2
	ds_bpermute_b32 v8, v7, v6
	ds_bpermute_b32 v7, v7, v2
	v_add_u32_e32 v9, 2, v4
	v_cmp_lt_u32_e32 vcc, v9, v5
	s_and_saveexec_b64 s[0:1], vcc
	s_cbranch_execz .LBB94_192
; %bb.191:
	s_waitcnt lgkmcnt(1)
	v_add_co_u32_e32 v6, vcc, v1, v8
	v_addc_co_u32_e32 v2, vcc, 0, v2, vcc
	v_add_co_u32_e32 v1, vcc, 0, v6
	s_waitcnt lgkmcnt(0)
	v_addc_co_u32_e32 v2, vcc, v7, v2, vcc
.LBB94_192:
	s_or_b64 exec, exec, s[0:1]
	v_cmp_gt_u32_e32 vcc, 60, v4
	s_waitcnt lgkmcnt(0)
	v_cndmask_b32_e64 v7, 0, 4, vcc
	v_add_lshl_u32 v7, v7, v3, 2
	ds_bpermute_b32 v8, v7, v6
	ds_bpermute_b32 v7, v7, v2
	v_add_u32_e32 v9, 4, v4
	v_cmp_lt_u32_e32 vcc, v9, v5
	;; [unrolled: 19-line block ×4, first 2 shown]
	s_and_saveexec_b64 s[0:1], vcc
	s_cbranch_execz .LBB94_198
; %bb.197:
	s_waitcnt lgkmcnt(1)
	v_add_co_u32_e32 v6, vcc, v1, v8
	v_addc_co_u32_e32 v2, vcc, 0, v2, vcc
	v_add_co_u32_e32 v1, vcc, 0, v6
	s_waitcnt lgkmcnt(0)
	v_addc_co_u32_e32 v2, vcc, v7, v2, vcc
.LBB94_198:
	s_or_b64 exec, exec, s[0:1]
	s_waitcnt lgkmcnt(0)
	v_lshlrev_b32_e32 v7, 2, v3
	v_or_b32_e32 v8, 0x80, v7
	ds_bpermute_b32 v6, v8, v6
	ds_bpermute_b32 v8, v8, v2
	v_add_u32_e32 v4, 32, v4
	s_waitcnt lgkmcnt(1)
	v_add_co_u32_e32 v6, vcc, v1, v6
	v_addc_co_u32_e32 v9, vcc, 0, v2, vcc
	v_add_co_u32_e32 v6, vcc, 0, v6
	s_waitcnt lgkmcnt(0)
	v_addc_co_u32_e32 v8, vcc, v9, v8, vcc
	v_cmp_lt_u32_e32 vcc, v4, v5
	v_cndmask_b32_e32 v2, v2, v8, vcc
	v_cndmask_b32_e32 v1, v1, v6, vcc
	v_cmp_eq_u32_e32 vcc, 0, v3
	s_and_saveexec_b64 s[0:1], vcc
; %bb.199:
	v_lshrrev_b32_e32 v4, 3, v0
	v_and_b32_e32 v4, 24, v4
	ds_write_b64 v4, v[1:2] offset:160
; %bb.200:
	s_or_b64 exec, exec, s[0:1]
	v_cmp_gt_u32_e32 vcc, 4, v0
	s_waitcnt lgkmcnt(0)
	s_barrier
	s_and_saveexec_b64 s[0:1], vcc
	s_cbranch_execz .LBB94_204
; %bb.201:
	v_lshlrev_b32_e32 v1, 3, v3
	ds_read_b64 v[1:2], v1 offset:160
	v_and_b32_e32 v4, 3, v3
	v_cmp_ne_u32_e32 vcc, 3, v4
	v_addc_co_u32_e32 v3, vcc, 0, v3, vcc
	v_lshlrev_b32_e32 v3, 2, v3
	s_waitcnt lgkmcnt(0)
	ds_bpermute_b32 v6, v3, v1
	ds_bpermute_b32 v5, v3, v2
	s_add_i32 s2, s2, 63
	s_lshr_b32 s4, s2, 6
	v_add_u32_e32 v3, 1, v4
	v_cmp_gt_u32_e32 vcc, s4, v3
	v_mov_b32_e32 v3, v1
	s_and_saveexec_b64 s[2:3], vcc
	s_cbranch_execz .LBB94_203
; %bb.202:
	s_waitcnt lgkmcnt(1)
	v_add_co_u32_e32 v3, vcc, v1, v6
	v_addc_co_u32_e32 v2, vcc, 0, v2, vcc
	v_add_co_u32_e32 v1, vcc, 0, v3
	s_waitcnt lgkmcnt(0)
	v_addc_co_u32_e32 v2, vcc, v5, v2, vcc
.LBB94_203:
	s_or_b64 exec, exec, s[2:3]
	s_waitcnt lgkmcnt(0)
	v_or_b32_e32 v5, 8, v7
	ds_bpermute_b32 v3, v5, v3
	ds_bpermute_b32 v5, v5, v2
	v_add_u32_e32 v4, 2, v4
	s_waitcnt lgkmcnt(1)
	v_add_co_u32_e32 v3, vcc, v1, v3
	v_addc_co_u32_e32 v6, vcc, 0, v2, vcc
	v_add_co_u32_e32 v3, vcc, 0, v3
	s_waitcnt lgkmcnt(0)
	v_addc_co_u32_e32 v5, vcc, v6, v5, vcc
	v_cmp_gt_u32_e32 vcc, s4, v4
	v_cndmask_b32_e32 v2, v2, v5, vcc
	v_cndmask_b32_e32 v1, v1, v3, vcc
.LBB94_204:
	s_or_b64 exec, exec, s[0:1]
.LBB94_205:
	v_mov_b32_e32 v3, s6
	v_cmp_eq_u32_e64 s[2:3], 0, v0
	v_mov_b32_e32 v4, s7
.LBB94_206:
	s_and_saveexec_b64 s[0:1], s[2:3]
	s_cbranch_execz .LBB94_208
; %bb.207:
	v_lshlrev_b64 v[3:4], 3, v[3:4]
	v_mov_b32_e32 v0, s21
	v_add_co_u32_e32 v3, vcc, s20, v3
	v_addc_co_u32_e32 v4, vcc, v0, v4, vcc
	s_cmp_lg_u64 s[18:19], 0
	s_cselect_b64 vcc, -1, 0
	v_cndmask_b32_e32 v0, 0, v1, vcc
	v_cndmask_b32_e32 v2, 0, v2, vcc
	v_mov_b32_e32 v1, s23
	v_add_co_u32_e32 v0, vcc, s22, v0
	v_addc_co_u32_e32 v1, vcc, v2, v1, vcc
	global_store_dwordx2 v[3:4], v[0:1], off
.LBB94_208:
	s_endpgm
	.section	.rodata,"a",@progbits
	.p2align	6, 0x0
	.amdhsa_kernel _ZN7rocprim17ROCPRIM_400000_NS6detail17trampoline_kernelINS0_14default_configENS1_22reduce_config_selectorIlEEZNS1_11reduce_implILb1ES3_PlS7_lN6hipcub16HIPCUB_304000_NS6detail34convert_binary_result_type_wrapperINS9_3SumENS9_22TransformInputIteratorIb7NonZeroIsEPslEElEEEE10hipError_tPvRmT1_T2_T3_mT4_P12ihipStream_tbEUlT_E1_NS1_11comp_targetILNS1_3genE2ELNS1_11target_archE906ELNS1_3gpuE6ELNS1_3repE0EEENS1_30default_config_static_selectorELNS0_4arch9wavefront6targetE1EEEvSM_
		.amdhsa_group_segment_fixed_size 192
		.amdhsa_private_segment_fixed_size 0
		.amdhsa_kernarg_size 48
		.amdhsa_user_sgpr_count 6
		.amdhsa_user_sgpr_private_segment_buffer 1
		.amdhsa_user_sgpr_dispatch_ptr 0
		.amdhsa_user_sgpr_queue_ptr 0
		.amdhsa_user_sgpr_kernarg_segment_ptr 1
		.amdhsa_user_sgpr_dispatch_id 0
		.amdhsa_user_sgpr_flat_scratch_init 0
		.amdhsa_user_sgpr_private_segment_size 0
		.amdhsa_uses_dynamic_stack 0
		.amdhsa_system_sgpr_private_segment_wavefront_offset 0
		.amdhsa_system_sgpr_workgroup_id_x 1
		.amdhsa_system_sgpr_workgroup_id_y 0
		.amdhsa_system_sgpr_workgroup_id_z 0
		.amdhsa_system_sgpr_workgroup_info 0
		.amdhsa_system_vgpr_workitem_id 0
		.amdhsa_next_free_vgpr 34
		.amdhsa_next_free_sgpr 28
		.amdhsa_reserve_vcc 1
		.amdhsa_reserve_flat_scratch 0
		.amdhsa_float_round_mode_32 0
		.amdhsa_float_round_mode_16_64 0
		.amdhsa_float_denorm_mode_32 3
		.amdhsa_float_denorm_mode_16_64 3
		.amdhsa_dx10_clamp 1
		.amdhsa_ieee_mode 1
		.amdhsa_fp16_overflow 0
		.amdhsa_exception_fp_ieee_invalid_op 0
		.amdhsa_exception_fp_denorm_src 0
		.amdhsa_exception_fp_ieee_div_zero 0
		.amdhsa_exception_fp_ieee_overflow 0
		.amdhsa_exception_fp_ieee_underflow 0
		.amdhsa_exception_fp_ieee_inexact 0
		.amdhsa_exception_int_div_zero 0
	.end_amdhsa_kernel
	.section	.text._ZN7rocprim17ROCPRIM_400000_NS6detail17trampoline_kernelINS0_14default_configENS1_22reduce_config_selectorIlEEZNS1_11reduce_implILb1ES3_PlS7_lN6hipcub16HIPCUB_304000_NS6detail34convert_binary_result_type_wrapperINS9_3SumENS9_22TransformInputIteratorIb7NonZeroIsEPslEElEEEE10hipError_tPvRmT1_T2_T3_mT4_P12ihipStream_tbEUlT_E1_NS1_11comp_targetILNS1_3genE2ELNS1_11target_archE906ELNS1_3gpuE6ELNS1_3repE0EEENS1_30default_config_static_selectorELNS0_4arch9wavefront6targetE1EEEvSM_,"axG",@progbits,_ZN7rocprim17ROCPRIM_400000_NS6detail17trampoline_kernelINS0_14default_configENS1_22reduce_config_selectorIlEEZNS1_11reduce_implILb1ES3_PlS7_lN6hipcub16HIPCUB_304000_NS6detail34convert_binary_result_type_wrapperINS9_3SumENS9_22TransformInputIteratorIb7NonZeroIsEPslEElEEEE10hipError_tPvRmT1_T2_T3_mT4_P12ihipStream_tbEUlT_E1_NS1_11comp_targetILNS1_3genE2ELNS1_11target_archE906ELNS1_3gpuE6ELNS1_3repE0EEENS1_30default_config_static_selectorELNS0_4arch9wavefront6targetE1EEEvSM_,comdat
.Lfunc_end94:
	.size	_ZN7rocprim17ROCPRIM_400000_NS6detail17trampoline_kernelINS0_14default_configENS1_22reduce_config_selectorIlEEZNS1_11reduce_implILb1ES3_PlS7_lN6hipcub16HIPCUB_304000_NS6detail34convert_binary_result_type_wrapperINS9_3SumENS9_22TransformInputIteratorIb7NonZeroIsEPslEElEEEE10hipError_tPvRmT1_T2_T3_mT4_P12ihipStream_tbEUlT_E1_NS1_11comp_targetILNS1_3genE2ELNS1_11target_archE906ELNS1_3gpuE6ELNS1_3repE0EEENS1_30default_config_static_selectorELNS0_4arch9wavefront6targetE1EEEvSM_, .Lfunc_end94-_ZN7rocprim17ROCPRIM_400000_NS6detail17trampoline_kernelINS0_14default_configENS1_22reduce_config_selectorIlEEZNS1_11reduce_implILb1ES3_PlS7_lN6hipcub16HIPCUB_304000_NS6detail34convert_binary_result_type_wrapperINS9_3SumENS9_22TransformInputIteratorIb7NonZeroIsEPslEElEEEE10hipError_tPvRmT1_T2_T3_mT4_P12ihipStream_tbEUlT_E1_NS1_11comp_targetILNS1_3genE2ELNS1_11target_archE906ELNS1_3gpuE6ELNS1_3repE0EEENS1_30default_config_static_selectorELNS0_4arch9wavefront6targetE1EEEvSM_
                                        ; -- End function
	.set _ZN7rocprim17ROCPRIM_400000_NS6detail17trampoline_kernelINS0_14default_configENS1_22reduce_config_selectorIlEEZNS1_11reduce_implILb1ES3_PlS7_lN6hipcub16HIPCUB_304000_NS6detail34convert_binary_result_type_wrapperINS9_3SumENS9_22TransformInputIteratorIb7NonZeroIsEPslEElEEEE10hipError_tPvRmT1_T2_T3_mT4_P12ihipStream_tbEUlT_E1_NS1_11comp_targetILNS1_3genE2ELNS1_11target_archE906ELNS1_3gpuE6ELNS1_3repE0EEENS1_30default_config_static_selectorELNS0_4arch9wavefront6targetE1EEEvSM_.num_vgpr, 34
	.set _ZN7rocprim17ROCPRIM_400000_NS6detail17trampoline_kernelINS0_14default_configENS1_22reduce_config_selectorIlEEZNS1_11reduce_implILb1ES3_PlS7_lN6hipcub16HIPCUB_304000_NS6detail34convert_binary_result_type_wrapperINS9_3SumENS9_22TransformInputIteratorIb7NonZeroIsEPslEElEEEE10hipError_tPvRmT1_T2_T3_mT4_P12ihipStream_tbEUlT_E1_NS1_11comp_targetILNS1_3genE2ELNS1_11target_archE906ELNS1_3gpuE6ELNS1_3repE0EEENS1_30default_config_static_selectorELNS0_4arch9wavefront6targetE1EEEvSM_.num_agpr, 0
	.set _ZN7rocprim17ROCPRIM_400000_NS6detail17trampoline_kernelINS0_14default_configENS1_22reduce_config_selectorIlEEZNS1_11reduce_implILb1ES3_PlS7_lN6hipcub16HIPCUB_304000_NS6detail34convert_binary_result_type_wrapperINS9_3SumENS9_22TransformInputIteratorIb7NonZeroIsEPslEElEEEE10hipError_tPvRmT1_T2_T3_mT4_P12ihipStream_tbEUlT_E1_NS1_11comp_targetILNS1_3genE2ELNS1_11target_archE906ELNS1_3gpuE6ELNS1_3repE0EEENS1_30default_config_static_selectorELNS0_4arch9wavefront6targetE1EEEvSM_.numbered_sgpr, 28
	.set _ZN7rocprim17ROCPRIM_400000_NS6detail17trampoline_kernelINS0_14default_configENS1_22reduce_config_selectorIlEEZNS1_11reduce_implILb1ES3_PlS7_lN6hipcub16HIPCUB_304000_NS6detail34convert_binary_result_type_wrapperINS9_3SumENS9_22TransformInputIteratorIb7NonZeroIsEPslEElEEEE10hipError_tPvRmT1_T2_T3_mT4_P12ihipStream_tbEUlT_E1_NS1_11comp_targetILNS1_3genE2ELNS1_11target_archE906ELNS1_3gpuE6ELNS1_3repE0EEENS1_30default_config_static_selectorELNS0_4arch9wavefront6targetE1EEEvSM_.num_named_barrier, 0
	.set _ZN7rocprim17ROCPRIM_400000_NS6detail17trampoline_kernelINS0_14default_configENS1_22reduce_config_selectorIlEEZNS1_11reduce_implILb1ES3_PlS7_lN6hipcub16HIPCUB_304000_NS6detail34convert_binary_result_type_wrapperINS9_3SumENS9_22TransformInputIteratorIb7NonZeroIsEPslEElEEEE10hipError_tPvRmT1_T2_T3_mT4_P12ihipStream_tbEUlT_E1_NS1_11comp_targetILNS1_3genE2ELNS1_11target_archE906ELNS1_3gpuE6ELNS1_3repE0EEENS1_30default_config_static_selectorELNS0_4arch9wavefront6targetE1EEEvSM_.private_seg_size, 0
	.set _ZN7rocprim17ROCPRIM_400000_NS6detail17trampoline_kernelINS0_14default_configENS1_22reduce_config_selectorIlEEZNS1_11reduce_implILb1ES3_PlS7_lN6hipcub16HIPCUB_304000_NS6detail34convert_binary_result_type_wrapperINS9_3SumENS9_22TransformInputIteratorIb7NonZeroIsEPslEElEEEE10hipError_tPvRmT1_T2_T3_mT4_P12ihipStream_tbEUlT_E1_NS1_11comp_targetILNS1_3genE2ELNS1_11target_archE906ELNS1_3gpuE6ELNS1_3repE0EEENS1_30default_config_static_selectorELNS0_4arch9wavefront6targetE1EEEvSM_.uses_vcc, 1
	.set _ZN7rocprim17ROCPRIM_400000_NS6detail17trampoline_kernelINS0_14default_configENS1_22reduce_config_selectorIlEEZNS1_11reduce_implILb1ES3_PlS7_lN6hipcub16HIPCUB_304000_NS6detail34convert_binary_result_type_wrapperINS9_3SumENS9_22TransformInputIteratorIb7NonZeroIsEPslEElEEEE10hipError_tPvRmT1_T2_T3_mT4_P12ihipStream_tbEUlT_E1_NS1_11comp_targetILNS1_3genE2ELNS1_11target_archE906ELNS1_3gpuE6ELNS1_3repE0EEENS1_30default_config_static_selectorELNS0_4arch9wavefront6targetE1EEEvSM_.uses_flat_scratch, 0
	.set _ZN7rocprim17ROCPRIM_400000_NS6detail17trampoline_kernelINS0_14default_configENS1_22reduce_config_selectorIlEEZNS1_11reduce_implILb1ES3_PlS7_lN6hipcub16HIPCUB_304000_NS6detail34convert_binary_result_type_wrapperINS9_3SumENS9_22TransformInputIteratorIb7NonZeroIsEPslEElEEEE10hipError_tPvRmT1_T2_T3_mT4_P12ihipStream_tbEUlT_E1_NS1_11comp_targetILNS1_3genE2ELNS1_11target_archE906ELNS1_3gpuE6ELNS1_3repE0EEENS1_30default_config_static_selectorELNS0_4arch9wavefront6targetE1EEEvSM_.has_dyn_sized_stack, 0
	.set _ZN7rocprim17ROCPRIM_400000_NS6detail17trampoline_kernelINS0_14default_configENS1_22reduce_config_selectorIlEEZNS1_11reduce_implILb1ES3_PlS7_lN6hipcub16HIPCUB_304000_NS6detail34convert_binary_result_type_wrapperINS9_3SumENS9_22TransformInputIteratorIb7NonZeroIsEPslEElEEEE10hipError_tPvRmT1_T2_T3_mT4_P12ihipStream_tbEUlT_E1_NS1_11comp_targetILNS1_3genE2ELNS1_11target_archE906ELNS1_3gpuE6ELNS1_3repE0EEENS1_30default_config_static_selectorELNS0_4arch9wavefront6targetE1EEEvSM_.has_recursion, 0
	.set _ZN7rocprim17ROCPRIM_400000_NS6detail17trampoline_kernelINS0_14default_configENS1_22reduce_config_selectorIlEEZNS1_11reduce_implILb1ES3_PlS7_lN6hipcub16HIPCUB_304000_NS6detail34convert_binary_result_type_wrapperINS9_3SumENS9_22TransformInputIteratorIb7NonZeroIsEPslEElEEEE10hipError_tPvRmT1_T2_T3_mT4_P12ihipStream_tbEUlT_E1_NS1_11comp_targetILNS1_3genE2ELNS1_11target_archE906ELNS1_3gpuE6ELNS1_3repE0EEENS1_30default_config_static_selectorELNS0_4arch9wavefront6targetE1EEEvSM_.has_indirect_call, 0
	.section	.AMDGPU.csdata,"",@progbits
; Kernel info:
; codeLenInByte = 8996
; TotalNumSgprs: 32
; NumVgprs: 34
; ScratchSize: 0
; MemoryBound: 0
; FloatMode: 240
; IeeeMode: 1
; LDSByteSize: 192 bytes/workgroup (compile time only)
; SGPRBlocks: 3
; VGPRBlocks: 8
; NumSGPRsForWavesPerEU: 32
; NumVGPRsForWavesPerEU: 34
; Occupancy: 7
; WaveLimiterHint : 1
; COMPUTE_PGM_RSRC2:SCRATCH_EN: 0
; COMPUTE_PGM_RSRC2:USER_SGPR: 6
; COMPUTE_PGM_RSRC2:TRAP_HANDLER: 0
; COMPUTE_PGM_RSRC2:TGID_X_EN: 1
; COMPUTE_PGM_RSRC2:TGID_Y_EN: 0
; COMPUTE_PGM_RSRC2:TGID_Z_EN: 0
; COMPUTE_PGM_RSRC2:TIDIG_COMP_CNT: 0
	.section	.text._ZN7rocprim17ROCPRIM_400000_NS6detail17trampoline_kernelINS0_14default_configENS1_22reduce_config_selectorIlEEZNS1_11reduce_implILb1ES3_PlS7_lN6hipcub16HIPCUB_304000_NS6detail34convert_binary_result_type_wrapperINS9_3SumENS9_22TransformInputIteratorIb7NonZeroIsEPslEElEEEE10hipError_tPvRmT1_T2_T3_mT4_P12ihipStream_tbEUlT_E1_NS1_11comp_targetILNS1_3genE10ELNS1_11target_archE1201ELNS1_3gpuE5ELNS1_3repE0EEENS1_30default_config_static_selectorELNS0_4arch9wavefront6targetE1EEEvSM_,"axG",@progbits,_ZN7rocprim17ROCPRIM_400000_NS6detail17trampoline_kernelINS0_14default_configENS1_22reduce_config_selectorIlEEZNS1_11reduce_implILb1ES3_PlS7_lN6hipcub16HIPCUB_304000_NS6detail34convert_binary_result_type_wrapperINS9_3SumENS9_22TransformInputIteratorIb7NonZeroIsEPslEElEEEE10hipError_tPvRmT1_T2_T3_mT4_P12ihipStream_tbEUlT_E1_NS1_11comp_targetILNS1_3genE10ELNS1_11target_archE1201ELNS1_3gpuE5ELNS1_3repE0EEENS1_30default_config_static_selectorELNS0_4arch9wavefront6targetE1EEEvSM_,comdat
	.protected	_ZN7rocprim17ROCPRIM_400000_NS6detail17trampoline_kernelINS0_14default_configENS1_22reduce_config_selectorIlEEZNS1_11reduce_implILb1ES3_PlS7_lN6hipcub16HIPCUB_304000_NS6detail34convert_binary_result_type_wrapperINS9_3SumENS9_22TransformInputIteratorIb7NonZeroIsEPslEElEEEE10hipError_tPvRmT1_T2_T3_mT4_P12ihipStream_tbEUlT_E1_NS1_11comp_targetILNS1_3genE10ELNS1_11target_archE1201ELNS1_3gpuE5ELNS1_3repE0EEENS1_30default_config_static_selectorELNS0_4arch9wavefront6targetE1EEEvSM_ ; -- Begin function _ZN7rocprim17ROCPRIM_400000_NS6detail17trampoline_kernelINS0_14default_configENS1_22reduce_config_selectorIlEEZNS1_11reduce_implILb1ES3_PlS7_lN6hipcub16HIPCUB_304000_NS6detail34convert_binary_result_type_wrapperINS9_3SumENS9_22TransformInputIteratorIb7NonZeroIsEPslEElEEEE10hipError_tPvRmT1_T2_T3_mT4_P12ihipStream_tbEUlT_E1_NS1_11comp_targetILNS1_3genE10ELNS1_11target_archE1201ELNS1_3gpuE5ELNS1_3repE0EEENS1_30default_config_static_selectorELNS0_4arch9wavefront6targetE1EEEvSM_
	.globl	_ZN7rocprim17ROCPRIM_400000_NS6detail17trampoline_kernelINS0_14default_configENS1_22reduce_config_selectorIlEEZNS1_11reduce_implILb1ES3_PlS7_lN6hipcub16HIPCUB_304000_NS6detail34convert_binary_result_type_wrapperINS9_3SumENS9_22TransformInputIteratorIb7NonZeroIsEPslEElEEEE10hipError_tPvRmT1_T2_T3_mT4_P12ihipStream_tbEUlT_E1_NS1_11comp_targetILNS1_3genE10ELNS1_11target_archE1201ELNS1_3gpuE5ELNS1_3repE0EEENS1_30default_config_static_selectorELNS0_4arch9wavefront6targetE1EEEvSM_
	.p2align	8
	.type	_ZN7rocprim17ROCPRIM_400000_NS6detail17trampoline_kernelINS0_14default_configENS1_22reduce_config_selectorIlEEZNS1_11reduce_implILb1ES3_PlS7_lN6hipcub16HIPCUB_304000_NS6detail34convert_binary_result_type_wrapperINS9_3SumENS9_22TransformInputIteratorIb7NonZeroIsEPslEElEEEE10hipError_tPvRmT1_T2_T3_mT4_P12ihipStream_tbEUlT_E1_NS1_11comp_targetILNS1_3genE10ELNS1_11target_archE1201ELNS1_3gpuE5ELNS1_3repE0EEENS1_30default_config_static_selectorELNS0_4arch9wavefront6targetE1EEEvSM_,@function
_ZN7rocprim17ROCPRIM_400000_NS6detail17trampoline_kernelINS0_14default_configENS1_22reduce_config_selectorIlEEZNS1_11reduce_implILb1ES3_PlS7_lN6hipcub16HIPCUB_304000_NS6detail34convert_binary_result_type_wrapperINS9_3SumENS9_22TransformInputIteratorIb7NonZeroIsEPslEElEEEE10hipError_tPvRmT1_T2_T3_mT4_P12ihipStream_tbEUlT_E1_NS1_11comp_targetILNS1_3genE10ELNS1_11target_archE1201ELNS1_3gpuE5ELNS1_3repE0EEENS1_30default_config_static_selectorELNS0_4arch9wavefront6targetE1EEEvSM_: ; @_ZN7rocprim17ROCPRIM_400000_NS6detail17trampoline_kernelINS0_14default_configENS1_22reduce_config_selectorIlEEZNS1_11reduce_implILb1ES3_PlS7_lN6hipcub16HIPCUB_304000_NS6detail34convert_binary_result_type_wrapperINS9_3SumENS9_22TransformInputIteratorIb7NonZeroIsEPslEElEEEE10hipError_tPvRmT1_T2_T3_mT4_P12ihipStream_tbEUlT_E1_NS1_11comp_targetILNS1_3genE10ELNS1_11target_archE1201ELNS1_3gpuE5ELNS1_3repE0EEENS1_30default_config_static_selectorELNS0_4arch9wavefront6targetE1EEEvSM_
; %bb.0:
	.section	.rodata,"a",@progbits
	.p2align	6, 0x0
	.amdhsa_kernel _ZN7rocprim17ROCPRIM_400000_NS6detail17trampoline_kernelINS0_14default_configENS1_22reduce_config_selectorIlEEZNS1_11reduce_implILb1ES3_PlS7_lN6hipcub16HIPCUB_304000_NS6detail34convert_binary_result_type_wrapperINS9_3SumENS9_22TransformInputIteratorIb7NonZeroIsEPslEElEEEE10hipError_tPvRmT1_T2_T3_mT4_P12ihipStream_tbEUlT_E1_NS1_11comp_targetILNS1_3genE10ELNS1_11target_archE1201ELNS1_3gpuE5ELNS1_3repE0EEENS1_30default_config_static_selectorELNS0_4arch9wavefront6targetE1EEEvSM_
		.amdhsa_group_segment_fixed_size 0
		.amdhsa_private_segment_fixed_size 0
		.amdhsa_kernarg_size 48
		.amdhsa_user_sgpr_count 6
		.amdhsa_user_sgpr_private_segment_buffer 1
		.amdhsa_user_sgpr_dispatch_ptr 0
		.amdhsa_user_sgpr_queue_ptr 0
		.amdhsa_user_sgpr_kernarg_segment_ptr 1
		.amdhsa_user_sgpr_dispatch_id 0
		.amdhsa_user_sgpr_flat_scratch_init 0
		.amdhsa_user_sgpr_private_segment_size 0
		.amdhsa_uses_dynamic_stack 0
		.amdhsa_system_sgpr_private_segment_wavefront_offset 0
		.amdhsa_system_sgpr_workgroup_id_x 1
		.amdhsa_system_sgpr_workgroup_id_y 0
		.amdhsa_system_sgpr_workgroup_id_z 0
		.amdhsa_system_sgpr_workgroup_info 0
		.amdhsa_system_vgpr_workitem_id 0
		.amdhsa_next_free_vgpr 1
		.amdhsa_next_free_sgpr 0
		.amdhsa_reserve_vcc 0
		.amdhsa_reserve_flat_scratch 0
		.amdhsa_float_round_mode_32 0
		.amdhsa_float_round_mode_16_64 0
		.amdhsa_float_denorm_mode_32 3
		.amdhsa_float_denorm_mode_16_64 3
		.amdhsa_dx10_clamp 1
		.amdhsa_ieee_mode 1
		.amdhsa_fp16_overflow 0
		.amdhsa_exception_fp_ieee_invalid_op 0
		.amdhsa_exception_fp_denorm_src 0
		.amdhsa_exception_fp_ieee_div_zero 0
		.amdhsa_exception_fp_ieee_overflow 0
		.amdhsa_exception_fp_ieee_underflow 0
		.amdhsa_exception_fp_ieee_inexact 0
		.amdhsa_exception_int_div_zero 0
	.end_amdhsa_kernel
	.section	.text._ZN7rocprim17ROCPRIM_400000_NS6detail17trampoline_kernelINS0_14default_configENS1_22reduce_config_selectorIlEEZNS1_11reduce_implILb1ES3_PlS7_lN6hipcub16HIPCUB_304000_NS6detail34convert_binary_result_type_wrapperINS9_3SumENS9_22TransformInputIteratorIb7NonZeroIsEPslEElEEEE10hipError_tPvRmT1_T2_T3_mT4_P12ihipStream_tbEUlT_E1_NS1_11comp_targetILNS1_3genE10ELNS1_11target_archE1201ELNS1_3gpuE5ELNS1_3repE0EEENS1_30default_config_static_selectorELNS0_4arch9wavefront6targetE1EEEvSM_,"axG",@progbits,_ZN7rocprim17ROCPRIM_400000_NS6detail17trampoline_kernelINS0_14default_configENS1_22reduce_config_selectorIlEEZNS1_11reduce_implILb1ES3_PlS7_lN6hipcub16HIPCUB_304000_NS6detail34convert_binary_result_type_wrapperINS9_3SumENS9_22TransformInputIteratorIb7NonZeroIsEPslEElEEEE10hipError_tPvRmT1_T2_T3_mT4_P12ihipStream_tbEUlT_E1_NS1_11comp_targetILNS1_3genE10ELNS1_11target_archE1201ELNS1_3gpuE5ELNS1_3repE0EEENS1_30default_config_static_selectorELNS0_4arch9wavefront6targetE1EEEvSM_,comdat
.Lfunc_end95:
	.size	_ZN7rocprim17ROCPRIM_400000_NS6detail17trampoline_kernelINS0_14default_configENS1_22reduce_config_selectorIlEEZNS1_11reduce_implILb1ES3_PlS7_lN6hipcub16HIPCUB_304000_NS6detail34convert_binary_result_type_wrapperINS9_3SumENS9_22TransformInputIteratorIb7NonZeroIsEPslEElEEEE10hipError_tPvRmT1_T2_T3_mT4_P12ihipStream_tbEUlT_E1_NS1_11comp_targetILNS1_3genE10ELNS1_11target_archE1201ELNS1_3gpuE5ELNS1_3repE0EEENS1_30default_config_static_selectorELNS0_4arch9wavefront6targetE1EEEvSM_, .Lfunc_end95-_ZN7rocprim17ROCPRIM_400000_NS6detail17trampoline_kernelINS0_14default_configENS1_22reduce_config_selectorIlEEZNS1_11reduce_implILb1ES3_PlS7_lN6hipcub16HIPCUB_304000_NS6detail34convert_binary_result_type_wrapperINS9_3SumENS9_22TransformInputIteratorIb7NonZeroIsEPslEElEEEE10hipError_tPvRmT1_T2_T3_mT4_P12ihipStream_tbEUlT_E1_NS1_11comp_targetILNS1_3genE10ELNS1_11target_archE1201ELNS1_3gpuE5ELNS1_3repE0EEENS1_30default_config_static_selectorELNS0_4arch9wavefront6targetE1EEEvSM_
                                        ; -- End function
	.set _ZN7rocprim17ROCPRIM_400000_NS6detail17trampoline_kernelINS0_14default_configENS1_22reduce_config_selectorIlEEZNS1_11reduce_implILb1ES3_PlS7_lN6hipcub16HIPCUB_304000_NS6detail34convert_binary_result_type_wrapperINS9_3SumENS9_22TransformInputIteratorIb7NonZeroIsEPslEElEEEE10hipError_tPvRmT1_T2_T3_mT4_P12ihipStream_tbEUlT_E1_NS1_11comp_targetILNS1_3genE10ELNS1_11target_archE1201ELNS1_3gpuE5ELNS1_3repE0EEENS1_30default_config_static_selectorELNS0_4arch9wavefront6targetE1EEEvSM_.num_vgpr, 0
	.set _ZN7rocprim17ROCPRIM_400000_NS6detail17trampoline_kernelINS0_14default_configENS1_22reduce_config_selectorIlEEZNS1_11reduce_implILb1ES3_PlS7_lN6hipcub16HIPCUB_304000_NS6detail34convert_binary_result_type_wrapperINS9_3SumENS9_22TransformInputIteratorIb7NonZeroIsEPslEElEEEE10hipError_tPvRmT1_T2_T3_mT4_P12ihipStream_tbEUlT_E1_NS1_11comp_targetILNS1_3genE10ELNS1_11target_archE1201ELNS1_3gpuE5ELNS1_3repE0EEENS1_30default_config_static_selectorELNS0_4arch9wavefront6targetE1EEEvSM_.num_agpr, 0
	.set _ZN7rocprim17ROCPRIM_400000_NS6detail17trampoline_kernelINS0_14default_configENS1_22reduce_config_selectorIlEEZNS1_11reduce_implILb1ES3_PlS7_lN6hipcub16HIPCUB_304000_NS6detail34convert_binary_result_type_wrapperINS9_3SumENS9_22TransformInputIteratorIb7NonZeroIsEPslEElEEEE10hipError_tPvRmT1_T2_T3_mT4_P12ihipStream_tbEUlT_E1_NS1_11comp_targetILNS1_3genE10ELNS1_11target_archE1201ELNS1_3gpuE5ELNS1_3repE0EEENS1_30default_config_static_selectorELNS0_4arch9wavefront6targetE1EEEvSM_.numbered_sgpr, 0
	.set _ZN7rocprim17ROCPRIM_400000_NS6detail17trampoline_kernelINS0_14default_configENS1_22reduce_config_selectorIlEEZNS1_11reduce_implILb1ES3_PlS7_lN6hipcub16HIPCUB_304000_NS6detail34convert_binary_result_type_wrapperINS9_3SumENS9_22TransformInputIteratorIb7NonZeroIsEPslEElEEEE10hipError_tPvRmT1_T2_T3_mT4_P12ihipStream_tbEUlT_E1_NS1_11comp_targetILNS1_3genE10ELNS1_11target_archE1201ELNS1_3gpuE5ELNS1_3repE0EEENS1_30default_config_static_selectorELNS0_4arch9wavefront6targetE1EEEvSM_.num_named_barrier, 0
	.set _ZN7rocprim17ROCPRIM_400000_NS6detail17trampoline_kernelINS0_14default_configENS1_22reduce_config_selectorIlEEZNS1_11reduce_implILb1ES3_PlS7_lN6hipcub16HIPCUB_304000_NS6detail34convert_binary_result_type_wrapperINS9_3SumENS9_22TransformInputIteratorIb7NonZeroIsEPslEElEEEE10hipError_tPvRmT1_T2_T3_mT4_P12ihipStream_tbEUlT_E1_NS1_11comp_targetILNS1_3genE10ELNS1_11target_archE1201ELNS1_3gpuE5ELNS1_3repE0EEENS1_30default_config_static_selectorELNS0_4arch9wavefront6targetE1EEEvSM_.private_seg_size, 0
	.set _ZN7rocprim17ROCPRIM_400000_NS6detail17trampoline_kernelINS0_14default_configENS1_22reduce_config_selectorIlEEZNS1_11reduce_implILb1ES3_PlS7_lN6hipcub16HIPCUB_304000_NS6detail34convert_binary_result_type_wrapperINS9_3SumENS9_22TransformInputIteratorIb7NonZeroIsEPslEElEEEE10hipError_tPvRmT1_T2_T3_mT4_P12ihipStream_tbEUlT_E1_NS1_11comp_targetILNS1_3genE10ELNS1_11target_archE1201ELNS1_3gpuE5ELNS1_3repE0EEENS1_30default_config_static_selectorELNS0_4arch9wavefront6targetE1EEEvSM_.uses_vcc, 0
	.set _ZN7rocprim17ROCPRIM_400000_NS6detail17trampoline_kernelINS0_14default_configENS1_22reduce_config_selectorIlEEZNS1_11reduce_implILb1ES3_PlS7_lN6hipcub16HIPCUB_304000_NS6detail34convert_binary_result_type_wrapperINS9_3SumENS9_22TransformInputIteratorIb7NonZeroIsEPslEElEEEE10hipError_tPvRmT1_T2_T3_mT4_P12ihipStream_tbEUlT_E1_NS1_11comp_targetILNS1_3genE10ELNS1_11target_archE1201ELNS1_3gpuE5ELNS1_3repE0EEENS1_30default_config_static_selectorELNS0_4arch9wavefront6targetE1EEEvSM_.uses_flat_scratch, 0
	.set _ZN7rocprim17ROCPRIM_400000_NS6detail17trampoline_kernelINS0_14default_configENS1_22reduce_config_selectorIlEEZNS1_11reduce_implILb1ES3_PlS7_lN6hipcub16HIPCUB_304000_NS6detail34convert_binary_result_type_wrapperINS9_3SumENS9_22TransformInputIteratorIb7NonZeroIsEPslEElEEEE10hipError_tPvRmT1_T2_T3_mT4_P12ihipStream_tbEUlT_E1_NS1_11comp_targetILNS1_3genE10ELNS1_11target_archE1201ELNS1_3gpuE5ELNS1_3repE0EEENS1_30default_config_static_selectorELNS0_4arch9wavefront6targetE1EEEvSM_.has_dyn_sized_stack, 0
	.set _ZN7rocprim17ROCPRIM_400000_NS6detail17trampoline_kernelINS0_14default_configENS1_22reduce_config_selectorIlEEZNS1_11reduce_implILb1ES3_PlS7_lN6hipcub16HIPCUB_304000_NS6detail34convert_binary_result_type_wrapperINS9_3SumENS9_22TransformInputIteratorIb7NonZeroIsEPslEElEEEE10hipError_tPvRmT1_T2_T3_mT4_P12ihipStream_tbEUlT_E1_NS1_11comp_targetILNS1_3genE10ELNS1_11target_archE1201ELNS1_3gpuE5ELNS1_3repE0EEENS1_30default_config_static_selectorELNS0_4arch9wavefront6targetE1EEEvSM_.has_recursion, 0
	.set _ZN7rocprim17ROCPRIM_400000_NS6detail17trampoline_kernelINS0_14default_configENS1_22reduce_config_selectorIlEEZNS1_11reduce_implILb1ES3_PlS7_lN6hipcub16HIPCUB_304000_NS6detail34convert_binary_result_type_wrapperINS9_3SumENS9_22TransformInputIteratorIb7NonZeroIsEPslEElEEEE10hipError_tPvRmT1_T2_T3_mT4_P12ihipStream_tbEUlT_E1_NS1_11comp_targetILNS1_3genE10ELNS1_11target_archE1201ELNS1_3gpuE5ELNS1_3repE0EEENS1_30default_config_static_selectorELNS0_4arch9wavefront6targetE1EEEvSM_.has_indirect_call, 0
	.section	.AMDGPU.csdata,"",@progbits
; Kernel info:
; codeLenInByte = 0
; TotalNumSgprs: 4
; NumVgprs: 0
; ScratchSize: 0
; MemoryBound: 0
; FloatMode: 240
; IeeeMode: 1
; LDSByteSize: 0 bytes/workgroup (compile time only)
; SGPRBlocks: 0
; VGPRBlocks: 0
; NumSGPRsForWavesPerEU: 4
; NumVGPRsForWavesPerEU: 1
; Occupancy: 10
; WaveLimiterHint : 0
; COMPUTE_PGM_RSRC2:SCRATCH_EN: 0
; COMPUTE_PGM_RSRC2:USER_SGPR: 6
; COMPUTE_PGM_RSRC2:TRAP_HANDLER: 0
; COMPUTE_PGM_RSRC2:TGID_X_EN: 1
; COMPUTE_PGM_RSRC2:TGID_Y_EN: 0
; COMPUTE_PGM_RSRC2:TGID_Z_EN: 0
; COMPUTE_PGM_RSRC2:TIDIG_COMP_CNT: 0
	.section	.text._ZN7rocprim17ROCPRIM_400000_NS6detail17trampoline_kernelINS0_14default_configENS1_22reduce_config_selectorIlEEZNS1_11reduce_implILb1ES3_PlS7_lN6hipcub16HIPCUB_304000_NS6detail34convert_binary_result_type_wrapperINS9_3SumENS9_22TransformInputIteratorIb7NonZeroIsEPslEElEEEE10hipError_tPvRmT1_T2_T3_mT4_P12ihipStream_tbEUlT_E1_NS1_11comp_targetILNS1_3genE10ELNS1_11target_archE1200ELNS1_3gpuE4ELNS1_3repE0EEENS1_30default_config_static_selectorELNS0_4arch9wavefront6targetE1EEEvSM_,"axG",@progbits,_ZN7rocprim17ROCPRIM_400000_NS6detail17trampoline_kernelINS0_14default_configENS1_22reduce_config_selectorIlEEZNS1_11reduce_implILb1ES3_PlS7_lN6hipcub16HIPCUB_304000_NS6detail34convert_binary_result_type_wrapperINS9_3SumENS9_22TransformInputIteratorIb7NonZeroIsEPslEElEEEE10hipError_tPvRmT1_T2_T3_mT4_P12ihipStream_tbEUlT_E1_NS1_11comp_targetILNS1_3genE10ELNS1_11target_archE1200ELNS1_3gpuE4ELNS1_3repE0EEENS1_30default_config_static_selectorELNS0_4arch9wavefront6targetE1EEEvSM_,comdat
	.protected	_ZN7rocprim17ROCPRIM_400000_NS6detail17trampoline_kernelINS0_14default_configENS1_22reduce_config_selectorIlEEZNS1_11reduce_implILb1ES3_PlS7_lN6hipcub16HIPCUB_304000_NS6detail34convert_binary_result_type_wrapperINS9_3SumENS9_22TransformInputIteratorIb7NonZeroIsEPslEElEEEE10hipError_tPvRmT1_T2_T3_mT4_P12ihipStream_tbEUlT_E1_NS1_11comp_targetILNS1_3genE10ELNS1_11target_archE1200ELNS1_3gpuE4ELNS1_3repE0EEENS1_30default_config_static_selectorELNS0_4arch9wavefront6targetE1EEEvSM_ ; -- Begin function _ZN7rocprim17ROCPRIM_400000_NS6detail17trampoline_kernelINS0_14default_configENS1_22reduce_config_selectorIlEEZNS1_11reduce_implILb1ES3_PlS7_lN6hipcub16HIPCUB_304000_NS6detail34convert_binary_result_type_wrapperINS9_3SumENS9_22TransformInputIteratorIb7NonZeroIsEPslEElEEEE10hipError_tPvRmT1_T2_T3_mT4_P12ihipStream_tbEUlT_E1_NS1_11comp_targetILNS1_3genE10ELNS1_11target_archE1200ELNS1_3gpuE4ELNS1_3repE0EEENS1_30default_config_static_selectorELNS0_4arch9wavefront6targetE1EEEvSM_
	.globl	_ZN7rocprim17ROCPRIM_400000_NS6detail17trampoline_kernelINS0_14default_configENS1_22reduce_config_selectorIlEEZNS1_11reduce_implILb1ES3_PlS7_lN6hipcub16HIPCUB_304000_NS6detail34convert_binary_result_type_wrapperINS9_3SumENS9_22TransformInputIteratorIb7NonZeroIsEPslEElEEEE10hipError_tPvRmT1_T2_T3_mT4_P12ihipStream_tbEUlT_E1_NS1_11comp_targetILNS1_3genE10ELNS1_11target_archE1200ELNS1_3gpuE4ELNS1_3repE0EEENS1_30default_config_static_selectorELNS0_4arch9wavefront6targetE1EEEvSM_
	.p2align	8
	.type	_ZN7rocprim17ROCPRIM_400000_NS6detail17trampoline_kernelINS0_14default_configENS1_22reduce_config_selectorIlEEZNS1_11reduce_implILb1ES3_PlS7_lN6hipcub16HIPCUB_304000_NS6detail34convert_binary_result_type_wrapperINS9_3SumENS9_22TransformInputIteratorIb7NonZeroIsEPslEElEEEE10hipError_tPvRmT1_T2_T3_mT4_P12ihipStream_tbEUlT_E1_NS1_11comp_targetILNS1_3genE10ELNS1_11target_archE1200ELNS1_3gpuE4ELNS1_3repE0EEENS1_30default_config_static_selectorELNS0_4arch9wavefront6targetE1EEEvSM_,@function
_ZN7rocprim17ROCPRIM_400000_NS6detail17trampoline_kernelINS0_14default_configENS1_22reduce_config_selectorIlEEZNS1_11reduce_implILb1ES3_PlS7_lN6hipcub16HIPCUB_304000_NS6detail34convert_binary_result_type_wrapperINS9_3SumENS9_22TransformInputIteratorIb7NonZeroIsEPslEElEEEE10hipError_tPvRmT1_T2_T3_mT4_P12ihipStream_tbEUlT_E1_NS1_11comp_targetILNS1_3genE10ELNS1_11target_archE1200ELNS1_3gpuE4ELNS1_3repE0EEENS1_30default_config_static_selectorELNS0_4arch9wavefront6targetE1EEEvSM_: ; @_ZN7rocprim17ROCPRIM_400000_NS6detail17trampoline_kernelINS0_14default_configENS1_22reduce_config_selectorIlEEZNS1_11reduce_implILb1ES3_PlS7_lN6hipcub16HIPCUB_304000_NS6detail34convert_binary_result_type_wrapperINS9_3SumENS9_22TransformInputIteratorIb7NonZeroIsEPslEElEEEE10hipError_tPvRmT1_T2_T3_mT4_P12ihipStream_tbEUlT_E1_NS1_11comp_targetILNS1_3genE10ELNS1_11target_archE1200ELNS1_3gpuE4ELNS1_3repE0EEENS1_30default_config_static_selectorELNS0_4arch9wavefront6targetE1EEEvSM_
; %bb.0:
	.section	.rodata,"a",@progbits
	.p2align	6, 0x0
	.amdhsa_kernel _ZN7rocprim17ROCPRIM_400000_NS6detail17trampoline_kernelINS0_14default_configENS1_22reduce_config_selectorIlEEZNS1_11reduce_implILb1ES3_PlS7_lN6hipcub16HIPCUB_304000_NS6detail34convert_binary_result_type_wrapperINS9_3SumENS9_22TransformInputIteratorIb7NonZeroIsEPslEElEEEE10hipError_tPvRmT1_T2_T3_mT4_P12ihipStream_tbEUlT_E1_NS1_11comp_targetILNS1_3genE10ELNS1_11target_archE1200ELNS1_3gpuE4ELNS1_3repE0EEENS1_30default_config_static_selectorELNS0_4arch9wavefront6targetE1EEEvSM_
		.amdhsa_group_segment_fixed_size 0
		.amdhsa_private_segment_fixed_size 0
		.amdhsa_kernarg_size 48
		.amdhsa_user_sgpr_count 6
		.amdhsa_user_sgpr_private_segment_buffer 1
		.amdhsa_user_sgpr_dispatch_ptr 0
		.amdhsa_user_sgpr_queue_ptr 0
		.amdhsa_user_sgpr_kernarg_segment_ptr 1
		.amdhsa_user_sgpr_dispatch_id 0
		.amdhsa_user_sgpr_flat_scratch_init 0
		.amdhsa_user_sgpr_private_segment_size 0
		.amdhsa_uses_dynamic_stack 0
		.amdhsa_system_sgpr_private_segment_wavefront_offset 0
		.amdhsa_system_sgpr_workgroup_id_x 1
		.amdhsa_system_sgpr_workgroup_id_y 0
		.amdhsa_system_sgpr_workgroup_id_z 0
		.amdhsa_system_sgpr_workgroup_info 0
		.amdhsa_system_vgpr_workitem_id 0
		.amdhsa_next_free_vgpr 1
		.amdhsa_next_free_sgpr 0
		.amdhsa_reserve_vcc 0
		.amdhsa_reserve_flat_scratch 0
		.amdhsa_float_round_mode_32 0
		.amdhsa_float_round_mode_16_64 0
		.amdhsa_float_denorm_mode_32 3
		.amdhsa_float_denorm_mode_16_64 3
		.amdhsa_dx10_clamp 1
		.amdhsa_ieee_mode 1
		.amdhsa_fp16_overflow 0
		.amdhsa_exception_fp_ieee_invalid_op 0
		.amdhsa_exception_fp_denorm_src 0
		.amdhsa_exception_fp_ieee_div_zero 0
		.amdhsa_exception_fp_ieee_overflow 0
		.amdhsa_exception_fp_ieee_underflow 0
		.amdhsa_exception_fp_ieee_inexact 0
		.amdhsa_exception_int_div_zero 0
	.end_amdhsa_kernel
	.section	.text._ZN7rocprim17ROCPRIM_400000_NS6detail17trampoline_kernelINS0_14default_configENS1_22reduce_config_selectorIlEEZNS1_11reduce_implILb1ES3_PlS7_lN6hipcub16HIPCUB_304000_NS6detail34convert_binary_result_type_wrapperINS9_3SumENS9_22TransformInputIteratorIb7NonZeroIsEPslEElEEEE10hipError_tPvRmT1_T2_T3_mT4_P12ihipStream_tbEUlT_E1_NS1_11comp_targetILNS1_3genE10ELNS1_11target_archE1200ELNS1_3gpuE4ELNS1_3repE0EEENS1_30default_config_static_selectorELNS0_4arch9wavefront6targetE1EEEvSM_,"axG",@progbits,_ZN7rocprim17ROCPRIM_400000_NS6detail17trampoline_kernelINS0_14default_configENS1_22reduce_config_selectorIlEEZNS1_11reduce_implILb1ES3_PlS7_lN6hipcub16HIPCUB_304000_NS6detail34convert_binary_result_type_wrapperINS9_3SumENS9_22TransformInputIteratorIb7NonZeroIsEPslEElEEEE10hipError_tPvRmT1_T2_T3_mT4_P12ihipStream_tbEUlT_E1_NS1_11comp_targetILNS1_3genE10ELNS1_11target_archE1200ELNS1_3gpuE4ELNS1_3repE0EEENS1_30default_config_static_selectorELNS0_4arch9wavefront6targetE1EEEvSM_,comdat
.Lfunc_end96:
	.size	_ZN7rocprim17ROCPRIM_400000_NS6detail17trampoline_kernelINS0_14default_configENS1_22reduce_config_selectorIlEEZNS1_11reduce_implILb1ES3_PlS7_lN6hipcub16HIPCUB_304000_NS6detail34convert_binary_result_type_wrapperINS9_3SumENS9_22TransformInputIteratorIb7NonZeroIsEPslEElEEEE10hipError_tPvRmT1_T2_T3_mT4_P12ihipStream_tbEUlT_E1_NS1_11comp_targetILNS1_3genE10ELNS1_11target_archE1200ELNS1_3gpuE4ELNS1_3repE0EEENS1_30default_config_static_selectorELNS0_4arch9wavefront6targetE1EEEvSM_, .Lfunc_end96-_ZN7rocprim17ROCPRIM_400000_NS6detail17trampoline_kernelINS0_14default_configENS1_22reduce_config_selectorIlEEZNS1_11reduce_implILb1ES3_PlS7_lN6hipcub16HIPCUB_304000_NS6detail34convert_binary_result_type_wrapperINS9_3SumENS9_22TransformInputIteratorIb7NonZeroIsEPslEElEEEE10hipError_tPvRmT1_T2_T3_mT4_P12ihipStream_tbEUlT_E1_NS1_11comp_targetILNS1_3genE10ELNS1_11target_archE1200ELNS1_3gpuE4ELNS1_3repE0EEENS1_30default_config_static_selectorELNS0_4arch9wavefront6targetE1EEEvSM_
                                        ; -- End function
	.set _ZN7rocprim17ROCPRIM_400000_NS6detail17trampoline_kernelINS0_14default_configENS1_22reduce_config_selectorIlEEZNS1_11reduce_implILb1ES3_PlS7_lN6hipcub16HIPCUB_304000_NS6detail34convert_binary_result_type_wrapperINS9_3SumENS9_22TransformInputIteratorIb7NonZeroIsEPslEElEEEE10hipError_tPvRmT1_T2_T3_mT4_P12ihipStream_tbEUlT_E1_NS1_11comp_targetILNS1_3genE10ELNS1_11target_archE1200ELNS1_3gpuE4ELNS1_3repE0EEENS1_30default_config_static_selectorELNS0_4arch9wavefront6targetE1EEEvSM_.num_vgpr, 0
	.set _ZN7rocprim17ROCPRIM_400000_NS6detail17trampoline_kernelINS0_14default_configENS1_22reduce_config_selectorIlEEZNS1_11reduce_implILb1ES3_PlS7_lN6hipcub16HIPCUB_304000_NS6detail34convert_binary_result_type_wrapperINS9_3SumENS9_22TransformInputIteratorIb7NonZeroIsEPslEElEEEE10hipError_tPvRmT1_T2_T3_mT4_P12ihipStream_tbEUlT_E1_NS1_11comp_targetILNS1_3genE10ELNS1_11target_archE1200ELNS1_3gpuE4ELNS1_3repE0EEENS1_30default_config_static_selectorELNS0_4arch9wavefront6targetE1EEEvSM_.num_agpr, 0
	.set _ZN7rocprim17ROCPRIM_400000_NS6detail17trampoline_kernelINS0_14default_configENS1_22reduce_config_selectorIlEEZNS1_11reduce_implILb1ES3_PlS7_lN6hipcub16HIPCUB_304000_NS6detail34convert_binary_result_type_wrapperINS9_3SumENS9_22TransformInputIteratorIb7NonZeroIsEPslEElEEEE10hipError_tPvRmT1_T2_T3_mT4_P12ihipStream_tbEUlT_E1_NS1_11comp_targetILNS1_3genE10ELNS1_11target_archE1200ELNS1_3gpuE4ELNS1_3repE0EEENS1_30default_config_static_selectorELNS0_4arch9wavefront6targetE1EEEvSM_.numbered_sgpr, 0
	.set _ZN7rocprim17ROCPRIM_400000_NS6detail17trampoline_kernelINS0_14default_configENS1_22reduce_config_selectorIlEEZNS1_11reduce_implILb1ES3_PlS7_lN6hipcub16HIPCUB_304000_NS6detail34convert_binary_result_type_wrapperINS9_3SumENS9_22TransformInputIteratorIb7NonZeroIsEPslEElEEEE10hipError_tPvRmT1_T2_T3_mT4_P12ihipStream_tbEUlT_E1_NS1_11comp_targetILNS1_3genE10ELNS1_11target_archE1200ELNS1_3gpuE4ELNS1_3repE0EEENS1_30default_config_static_selectorELNS0_4arch9wavefront6targetE1EEEvSM_.num_named_barrier, 0
	.set _ZN7rocprim17ROCPRIM_400000_NS6detail17trampoline_kernelINS0_14default_configENS1_22reduce_config_selectorIlEEZNS1_11reduce_implILb1ES3_PlS7_lN6hipcub16HIPCUB_304000_NS6detail34convert_binary_result_type_wrapperINS9_3SumENS9_22TransformInputIteratorIb7NonZeroIsEPslEElEEEE10hipError_tPvRmT1_T2_T3_mT4_P12ihipStream_tbEUlT_E1_NS1_11comp_targetILNS1_3genE10ELNS1_11target_archE1200ELNS1_3gpuE4ELNS1_3repE0EEENS1_30default_config_static_selectorELNS0_4arch9wavefront6targetE1EEEvSM_.private_seg_size, 0
	.set _ZN7rocprim17ROCPRIM_400000_NS6detail17trampoline_kernelINS0_14default_configENS1_22reduce_config_selectorIlEEZNS1_11reduce_implILb1ES3_PlS7_lN6hipcub16HIPCUB_304000_NS6detail34convert_binary_result_type_wrapperINS9_3SumENS9_22TransformInputIteratorIb7NonZeroIsEPslEElEEEE10hipError_tPvRmT1_T2_T3_mT4_P12ihipStream_tbEUlT_E1_NS1_11comp_targetILNS1_3genE10ELNS1_11target_archE1200ELNS1_3gpuE4ELNS1_3repE0EEENS1_30default_config_static_selectorELNS0_4arch9wavefront6targetE1EEEvSM_.uses_vcc, 0
	.set _ZN7rocprim17ROCPRIM_400000_NS6detail17trampoline_kernelINS0_14default_configENS1_22reduce_config_selectorIlEEZNS1_11reduce_implILb1ES3_PlS7_lN6hipcub16HIPCUB_304000_NS6detail34convert_binary_result_type_wrapperINS9_3SumENS9_22TransformInputIteratorIb7NonZeroIsEPslEElEEEE10hipError_tPvRmT1_T2_T3_mT4_P12ihipStream_tbEUlT_E1_NS1_11comp_targetILNS1_3genE10ELNS1_11target_archE1200ELNS1_3gpuE4ELNS1_3repE0EEENS1_30default_config_static_selectorELNS0_4arch9wavefront6targetE1EEEvSM_.uses_flat_scratch, 0
	.set _ZN7rocprim17ROCPRIM_400000_NS6detail17trampoline_kernelINS0_14default_configENS1_22reduce_config_selectorIlEEZNS1_11reduce_implILb1ES3_PlS7_lN6hipcub16HIPCUB_304000_NS6detail34convert_binary_result_type_wrapperINS9_3SumENS9_22TransformInputIteratorIb7NonZeroIsEPslEElEEEE10hipError_tPvRmT1_T2_T3_mT4_P12ihipStream_tbEUlT_E1_NS1_11comp_targetILNS1_3genE10ELNS1_11target_archE1200ELNS1_3gpuE4ELNS1_3repE0EEENS1_30default_config_static_selectorELNS0_4arch9wavefront6targetE1EEEvSM_.has_dyn_sized_stack, 0
	.set _ZN7rocprim17ROCPRIM_400000_NS6detail17trampoline_kernelINS0_14default_configENS1_22reduce_config_selectorIlEEZNS1_11reduce_implILb1ES3_PlS7_lN6hipcub16HIPCUB_304000_NS6detail34convert_binary_result_type_wrapperINS9_3SumENS9_22TransformInputIteratorIb7NonZeroIsEPslEElEEEE10hipError_tPvRmT1_T2_T3_mT4_P12ihipStream_tbEUlT_E1_NS1_11comp_targetILNS1_3genE10ELNS1_11target_archE1200ELNS1_3gpuE4ELNS1_3repE0EEENS1_30default_config_static_selectorELNS0_4arch9wavefront6targetE1EEEvSM_.has_recursion, 0
	.set _ZN7rocprim17ROCPRIM_400000_NS6detail17trampoline_kernelINS0_14default_configENS1_22reduce_config_selectorIlEEZNS1_11reduce_implILb1ES3_PlS7_lN6hipcub16HIPCUB_304000_NS6detail34convert_binary_result_type_wrapperINS9_3SumENS9_22TransformInputIteratorIb7NonZeroIsEPslEElEEEE10hipError_tPvRmT1_T2_T3_mT4_P12ihipStream_tbEUlT_E1_NS1_11comp_targetILNS1_3genE10ELNS1_11target_archE1200ELNS1_3gpuE4ELNS1_3repE0EEENS1_30default_config_static_selectorELNS0_4arch9wavefront6targetE1EEEvSM_.has_indirect_call, 0
	.section	.AMDGPU.csdata,"",@progbits
; Kernel info:
; codeLenInByte = 0
; TotalNumSgprs: 4
; NumVgprs: 0
; ScratchSize: 0
; MemoryBound: 0
; FloatMode: 240
; IeeeMode: 1
; LDSByteSize: 0 bytes/workgroup (compile time only)
; SGPRBlocks: 0
; VGPRBlocks: 0
; NumSGPRsForWavesPerEU: 4
; NumVGPRsForWavesPerEU: 1
; Occupancy: 10
; WaveLimiterHint : 0
; COMPUTE_PGM_RSRC2:SCRATCH_EN: 0
; COMPUTE_PGM_RSRC2:USER_SGPR: 6
; COMPUTE_PGM_RSRC2:TRAP_HANDLER: 0
; COMPUTE_PGM_RSRC2:TGID_X_EN: 1
; COMPUTE_PGM_RSRC2:TGID_Y_EN: 0
; COMPUTE_PGM_RSRC2:TGID_Z_EN: 0
; COMPUTE_PGM_RSRC2:TIDIG_COMP_CNT: 0
	.section	.text._ZN7rocprim17ROCPRIM_400000_NS6detail17trampoline_kernelINS0_14default_configENS1_22reduce_config_selectorIlEEZNS1_11reduce_implILb1ES3_PlS7_lN6hipcub16HIPCUB_304000_NS6detail34convert_binary_result_type_wrapperINS9_3SumENS9_22TransformInputIteratorIb7NonZeroIsEPslEElEEEE10hipError_tPvRmT1_T2_T3_mT4_P12ihipStream_tbEUlT_E1_NS1_11comp_targetILNS1_3genE9ELNS1_11target_archE1100ELNS1_3gpuE3ELNS1_3repE0EEENS1_30default_config_static_selectorELNS0_4arch9wavefront6targetE1EEEvSM_,"axG",@progbits,_ZN7rocprim17ROCPRIM_400000_NS6detail17trampoline_kernelINS0_14default_configENS1_22reduce_config_selectorIlEEZNS1_11reduce_implILb1ES3_PlS7_lN6hipcub16HIPCUB_304000_NS6detail34convert_binary_result_type_wrapperINS9_3SumENS9_22TransformInputIteratorIb7NonZeroIsEPslEElEEEE10hipError_tPvRmT1_T2_T3_mT4_P12ihipStream_tbEUlT_E1_NS1_11comp_targetILNS1_3genE9ELNS1_11target_archE1100ELNS1_3gpuE3ELNS1_3repE0EEENS1_30default_config_static_selectorELNS0_4arch9wavefront6targetE1EEEvSM_,comdat
	.protected	_ZN7rocprim17ROCPRIM_400000_NS6detail17trampoline_kernelINS0_14default_configENS1_22reduce_config_selectorIlEEZNS1_11reduce_implILb1ES3_PlS7_lN6hipcub16HIPCUB_304000_NS6detail34convert_binary_result_type_wrapperINS9_3SumENS9_22TransformInputIteratorIb7NonZeroIsEPslEElEEEE10hipError_tPvRmT1_T2_T3_mT4_P12ihipStream_tbEUlT_E1_NS1_11comp_targetILNS1_3genE9ELNS1_11target_archE1100ELNS1_3gpuE3ELNS1_3repE0EEENS1_30default_config_static_selectorELNS0_4arch9wavefront6targetE1EEEvSM_ ; -- Begin function _ZN7rocprim17ROCPRIM_400000_NS6detail17trampoline_kernelINS0_14default_configENS1_22reduce_config_selectorIlEEZNS1_11reduce_implILb1ES3_PlS7_lN6hipcub16HIPCUB_304000_NS6detail34convert_binary_result_type_wrapperINS9_3SumENS9_22TransformInputIteratorIb7NonZeroIsEPslEElEEEE10hipError_tPvRmT1_T2_T3_mT4_P12ihipStream_tbEUlT_E1_NS1_11comp_targetILNS1_3genE9ELNS1_11target_archE1100ELNS1_3gpuE3ELNS1_3repE0EEENS1_30default_config_static_selectorELNS0_4arch9wavefront6targetE1EEEvSM_
	.globl	_ZN7rocprim17ROCPRIM_400000_NS6detail17trampoline_kernelINS0_14default_configENS1_22reduce_config_selectorIlEEZNS1_11reduce_implILb1ES3_PlS7_lN6hipcub16HIPCUB_304000_NS6detail34convert_binary_result_type_wrapperINS9_3SumENS9_22TransformInputIteratorIb7NonZeroIsEPslEElEEEE10hipError_tPvRmT1_T2_T3_mT4_P12ihipStream_tbEUlT_E1_NS1_11comp_targetILNS1_3genE9ELNS1_11target_archE1100ELNS1_3gpuE3ELNS1_3repE0EEENS1_30default_config_static_selectorELNS0_4arch9wavefront6targetE1EEEvSM_
	.p2align	8
	.type	_ZN7rocprim17ROCPRIM_400000_NS6detail17trampoline_kernelINS0_14default_configENS1_22reduce_config_selectorIlEEZNS1_11reduce_implILb1ES3_PlS7_lN6hipcub16HIPCUB_304000_NS6detail34convert_binary_result_type_wrapperINS9_3SumENS9_22TransformInputIteratorIb7NonZeroIsEPslEElEEEE10hipError_tPvRmT1_T2_T3_mT4_P12ihipStream_tbEUlT_E1_NS1_11comp_targetILNS1_3genE9ELNS1_11target_archE1100ELNS1_3gpuE3ELNS1_3repE0EEENS1_30default_config_static_selectorELNS0_4arch9wavefront6targetE1EEEvSM_,@function
_ZN7rocprim17ROCPRIM_400000_NS6detail17trampoline_kernelINS0_14default_configENS1_22reduce_config_selectorIlEEZNS1_11reduce_implILb1ES3_PlS7_lN6hipcub16HIPCUB_304000_NS6detail34convert_binary_result_type_wrapperINS9_3SumENS9_22TransformInputIteratorIb7NonZeroIsEPslEElEEEE10hipError_tPvRmT1_T2_T3_mT4_P12ihipStream_tbEUlT_E1_NS1_11comp_targetILNS1_3genE9ELNS1_11target_archE1100ELNS1_3gpuE3ELNS1_3repE0EEENS1_30default_config_static_selectorELNS0_4arch9wavefront6targetE1EEEvSM_: ; @_ZN7rocprim17ROCPRIM_400000_NS6detail17trampoline_kernelINS0_14default_configENS1_22reduce_config_selectorIlEEZNS1_11reduce_implILb1ES3_PlS7_lN6hipcub16HIPCUB_304000_NS6detail34convert_binary_result_type_wrapperINS9_3SumENS9_22TransformInputIteratorIb7NonZeroIsEPslEElEEEE10hipError_tPvRmT1_T2_T3_mT4_P12ihipStream_tbEUlT_E1_NS1_11comp_targetILNS1_3genE9ELNS1_11target_archE1100ELNS1_3gpuE3ELNS1_3repE0EEENS1_30default_config_static_selectorELNS0_4arch9wavefront6targetE1EEEvSM_
; %bb.0:
	.section	.rodata,"a",@progbits
	.p2align	6, 0x0
	.amdhsa_kernel _ZN7rocprim17ROCPRIM_400000_NS6detail17trampoline_kernelINS0_14default_configENS1_22reduce_config_selectorIlEEZNS1_11reduce_implILb1ES3_PlS7_lN6hipcub16HIPCUB_304000_NS6detail34convert_binary_result_type_wrapperINS9_3SumENS9_22TransformInputIteratorIb7NonZeroIsEPslEElEEEE10hipError_tPvRmT1_T2_T3_mT4_P12ihipStream_tbEUlT_E1_NS1_11comp_targetILNS1_3genE9ELNS1_11target_archE1100ELNS1_3gpuE3ELNS1_3repE0EEENS1_30default_config_static_selectorELNS0_4arch9wavefront6targetE1EEEvSM_
		.amdhsa_group_segment_fixed_size 0
		.amdhsa_private_segment_fixed_size 0
		.amdhsa_kernarg_size 48
		.amdhsa_user_sgpr_count 6
		.amdhsa_user_sgpr_private_segment_buffer 1
		.amdhsa_user_sgpr_dispatch_ptr 0
		.amdhsa_user_sgpr_queue_ptr 0
		.amdhsa_user_sgpr_kernarg_segment_ptr 1
		.amdhsa_user_sgpr_dispatch_id 0
		.amdhsa_user_sgpr_flat_scratch_init 0
		.amdhsa_user_sgpr_private_segment_size 0
		.amdhsa_uses_dynamic_stack 0
		.amdhsa_system_sgpr_private_segment_wavefront_offset 0
		.amdhsa_system_sgpr_workgroup_id_x 1
		.amdhsa_system_sgpr_workgroup_id_y 0
		.amdhsa_system_sgpr_workgroup_id_z 0
		.amdhsa_system_sgpr_workgroup_info 0
		.amdhsa_system_vgpr_workitem_id 0
		.amdhsa_next_free_vgpr 1
		.amdhsa_next_free_sgpr 0
		.amdhsa_reserve_vcc 0
		.amdhsa_reserve_flat_scratch 0
		.amdhsa_float_round_mode_32 0
		.amdhsa_float_round_mode_16_64 0
		.amdhsa_float_denorm_mode_32 3
		.amdhsa_float_denorm_mode_16_64 3
		.amdhsa_dx10_clamp 1
		.amdhsa_ieee_mode 1
		.amdhsa_fp16_overflow 0
		.amdhsa_exception_fp_ieee_invalid_op 0
		.amdhsa_exception_fp_denorm_src 0
		.amdhsa_exception_fp_ieee_div_zero 0
		.amdhsa_exception_fp_ieee_overflow 0
		.amdhsa_exception_fp_ieee_underflow 0
		.amdhsa_exception_fp_ieee_inexact 0
		.amdhsa_exception_int_div_zero 0
	.end_amdhsa_kernel
	.section	.text._ZN7rocprim17ROCPRIM_400000_NS6detail17trampoline_kernelINS0_14default_configENS1_22reduce_config_selectorIlEEZNS1_11reduce_implILb1ES3_PlS7_lN6hipcub16HIPCUB_304000_NS6detail34convert_binary_result_type_wrapperINS9_3SumENS9_22TransformInputIteratorIb7NonZeroIsEPslEElEEEE10hipError_tPvRmT1_T2_T3_mT4_P12ihipStream_tbEUlT_E1_NS1_11comp_targetILNS1_3genE9ELNS1_11target_archE1100ELNS1_3gpuE3ELNS1_3repE0EEENS1_30default_config_static_selectorELNS0_4arch9wavefront6targetE1EEEvSM_,"axG",@progbits,_ZN7rocprim17ROCPRIM_400000_NS6detail17trampoline_kernelINS0_14default_configENS1_22reduce_config_selectorIlEEZNS1_11reduce_implILb1ES3_PlS7_lN6hipcub16HIPCUB_304000_NS6detail34convert_binary_result_type_wrapperINS9_3SumENS9_22TransformInputIteratorIb7NonZeroIsEPslEElEEEE10hipError_tPvRmT1_T2_T3_mT4_P12ihipStream_tbEUlT_E1_NS1_11comp_targetILNS1_3genE9ELNS1_11target_archE1100ELNS1_3gpuE3ELNS1_3repE0EEENS1_30default_config_static_selectorELNS0_4arch9wavefront6targetE1EEEvSM_,comdat
.Lfunc_end97:
	.size	_ZN7rocprim17ROCPRIM_400000_NS6detail17trampoline_kernelINS0_14default_configENS1_22reduce_config_selectorIlEEZNS1_11reduce_implILb1ES3_PlS7_lN6hipcub16HIPCUB_304000_NS6detail34convert_binary_result_type_wrapperINS9_3SumENS9_22TransformInputIteratorIb7NonZeroIsEPslEElEEEE10hipError_tPvRmT1_T2_T3_mT4_P12ihipStream_tbEUlT_E1_NS1_11comp_targetILNS1_3genE9ELNS1_11target_archE1100ELNS1_3gpuE3ELNS1_3repE0EEENS1_30default_config_static_selectorELNS0_4arch9wavefront6targetE1EEEvSM_, .Lfunc_end97-_ZN7rocprim17ROCPRIM_400000_NS6detail17trampoline_kernelINS0_14default_configENS1_22reduce_config_selectorIlEEZNS1_11reduce_implILb1ES3_PlS7_lN6hipcub16HIPCUB_304000_NS6detail34convert_binary_result_type_wrapperINS9_3SumENS9_22TransformInputIteratorIb7NonZeroIsEPslEElEEEE10hipError_tPvRmT1_T2_T3_mT4_P12ihipStream_tbEUlT_E1_NS1_11comp_targetILNS1_3genE9ELNS1_11target_archE1100ELNS1_3gpuE3ELNS1_3repE0EEENS1_30default_config_static_selectorELNS0_4arch9wavefront6targetE1EEEvSM_
                                        ; -- End function
	.set _ZN7rocprim17ROCPRIM_400000_NS6detail17trampoline_kernelINS0_14default_configENS1_22reduce_config_selectorIlEEZNS1_11reduce_implILb1ES3_PlS7_lN6hipcub16HIPCUB_304000_NS6detail34convert_binary_result_type_wrapperINS9_3SumENS9_22TransformInputIteratorIb7NonZeroIsEPslEElEEEE10hipError_tPvRmT1_T2_T3_mT4_P12ihipStream_tbEUlT_E1_NS1_11comp_targetILNS1_3genE9ELNS1_11target_archE1100ELNS1_3gpuE3ELNS1_3repE0EEENS1_30default_config_static_selectorELNS0_4arch9wavefront6targetE1EEEvSM_.num_vgpr, 0
	.set _ZN7rocprim17ROCPRIM_400000_NS6detail17trampoline_kernelINS0_14default_configENS1_22reduce_config_selectorIlEEZNS1_11reduce_implILb1ES3_PlS7_lN6hipcub16HIPCUB_304000_NS6detail34convert_binary_result_type_wrapperINS9_3SumENS9_22TransformInputIteratorIb7NonZeroIsEPslEElEEEE10hipError_tPvRmT1_T2_T3_mT4_P12ihipStream_tbEUlT_E1_NS1_11comp_targetILNS1_3genE9ELNS1_11target_archE1100ELNS1_3gpuE3ELNS1_3repE0EEENS1_30default_config_static_selectorELNS0_4arch9wavefront6targetE1EEEvSM_.num_agpr, 0
	.set _ZN7rocprim17ROCPRIM_400000_NS6detail17trampoline_kernelINS0_14default_configENS1_22reduce_config_selectorIlEEZNS1_11reduce_implILb1ES3_PlS7_lN6hipcub16HIPCUB_304000_NS6detail34convert_binary_result_type_wrapperINS9_3SumENS9_22TransformInputIteratorIb7NonZeroIsEPslEElEEEE10hipError_tPvRmT1_T2_T3_mT4_P12ihipStream_tbEUlT_E1_NS1_11comp_targetILNS1_3genE9ELNS1_11target_archE1100ELNS1_3gpuE3ELNS1_3repE0EEENS1_30default_config_static_selectorELNS0_4arch9wavefront6targetE1EEEvSM_.numbered_sgpr, 0
	.set _ZN7rocprim17ROCPRIM_400000_NS6detail17trampoline_kernelINS0_14default_configENS1_22reduce_config_selectorIlEEZNS1_11reduce_implILb1ES3_PlS7_lN6hipcub16HIPCUB_304000_NS6detail34convert_binary_result_type_wrapperINS9_3SumENS9_22TransformInputIteratorIb7NonZeroIsEPslEElEEEE10hipError_tPvRmT1_T2_T3_mT4_P12ihipStream_tbEUlT_E1_NS1_11comp_targetILNS1_3genE9ELNS1_11target_archE1100ELNS1_3gpuE3ELNS1_3repE0EEENS1_30default_config_static_selectorELNS0_4arch9wavefront6targetE1EEEvSM_.num_named_barrier, 0
	.set _ZN7rocprim17ROCPRIM_400000_NS6detail17trampoline_kernelINS0_14default_configENS1_22reduce_config_selectorIlEEZNS1_11reduce_implILb1ES3_PlS7_lN6hipcub16HIPCUB_304000_NS6detail34convert_binary_result_type_wrapperINS9_3SumENS9_22TransformInputIteratorIb7NonZeroIsEPslEElEEEE10hipError_tPvRmT1_T2_T3_mT4_P12ihipStream_tbEUlT_E1_NS1_11comp_targetILNS1_3genE9ELNS1_11target_archE1100ELNS1_3gpuE3ELNS1_3repE0EEENS1_30default_config_static_selectorELNS0_4arch9wavefront6targetE1EEEvSM_.private_seg_size, 0
	.set _ZN7rocprim17ROCPRIM_400000_NS6detail17trampoline_kernelINS0_14default_configENS1_22reduce_config_selectorIlEEZNS1_11reduce_implILb1ES3_PlS7_lN6hipcub16HIPCUB_304000_NS6detail34convert_binary_result_type_wrapperINS9_3SumENS9_22TransformInputIteratorIb7NonZeroIsEPslEElEEEE10hipError_tPvRmT1_T2_T3_mT4_P12ihipStream_tbEUlT_E1_NS1_11comp_targetILNS1_3genE9ELNS1_11target_archE1100ELNS1_3gpuE3ELNS1_3repE0EEENS1_30default_config_static_selectorELNS0_4arch9wavefront6targetE1EEEvSM_.uses_vcc, 0
	.set _ZN7rocprim17ROCPRIM_400000_NS6detail17trampoline_kernelINS0_14default_configENS1_22reduce_config_selectorIlEEZNS1_11reduce_implILb1ES3_PlS7_lN6hipcub16HIPCUB_304000_NS6detail34convert_binary_result_type_wrapperINS9_3SumENS9_22TransformInputIteratorIb7NonZeroIsEPslEElEEEE10hipError_tPvRmT1_T2_T3_mT4_P12ihipStream_tbEUlT_E1_NS1_11comp_targetILNS1_3genE9ELNS1_11target_archE1100ELNS1_3gpuE3ELNS1_3repE0EEENS1_30default_config_static_selectorELNS0_4arch9wavefront6targetE1EEEvSM_.uses_flat_scratch, 0
	.set _ZN7rocprim17ROCPRIM_400000_NS6detail17trampoline_kernelINS0_14default_configENS1_22reduce_config_selectorIlEEZNS1_11reduce_implILb1ES3_PlS7_lN6hipcub16HIPCUB_304000_NS6detail34convert_binary_result_type_wrapperINS9_3SumENS9_22TransformInputIteratorIb7NonZeroIsEPslEElEEEE10hipError_tPvRmT1_T2_T3_mT4_P12ihipStream_tbEUlT_E1_NS1_11comp_targetILNS1_3genE9ELNS1_11target_archE1100ELNS1_3gpuE3ELNS1_3repE0EEENS1_30default_config_static_selectorELNS0_4arch9wavefront6targetE1EEEvSM_.has_dyn_sized_stack, 0
	.set _ZN7rocprim17ROCPRIM_400000_NS6detail17trampoline_kernelINS0_14default_configENS1_22reduce_config_selectorIlEEZNS1_11reduce_implILb1ES3_PlS7_lN6hipcub16HIPCUB_304000_NS6detail34convert_binary_result_type_wrapperINS9_3SumENS9_22TransformInputIteratorIb7NonZeroIsEPslEElEEEE10hipError_tPvRmT1_T2_T3_mT4_P12ihipStream_tbEUlT_E1_NS1_11comp_targetILNS1_3genE9ELNS1_11target_archE1100ELNS1_3gpuE3ELNS1_3repE0EEENS1_30default_config_static_selectorELNS0_4arch9wavefront6targetE1EEEvSM_.has_recursion, 0
	.set _ZN7rocprim17ROCPRIM_400000_NS6detail17trampoline_kernelINS0_14default_configENS1_22reduce_config_selectorIlEEZNS1_11reduce_implILb1ES3_PlS7_lN6hipcub16HIPCUB_304000_NS6detail34convert_binary_result_type_wrapperINS9_3SumENS9_22TransformInputIteratorIb7NonZeroIsEPslEElEEEE10hipError_tPvRmT1_T2_T3_mT4_P12ihipStream_tbEUlT_E1_NS1_11comp_targetILNS1_3genE9ELNS1_11target_archE1100ELNS1_3gpuE3ELNS1_3repE0EEENS1_30default_config_static_selectorELNS0_4arch9wavefront6targetE1EEEvSM_.has_indirect_call, 0
	.section	.AMDGPU.csdata,"",@progbits
; Kernel info:
; codeLenInByte = 0
; TotalNumSgprs: 4
; NumVgprs: 0
; ScratchSize: 0
; MemoryBound: 0
; FloatMode: 240
; IeeeMode: 1
; LDSByteSize: 0 bytes/workgroup (compile time only)
; SGPRBlocks: 0
; VGPRBlocks: 0
; NumSGPRsForWavesPerEU: 4
; NumVGPRsForWavesPerEU: 1
; Occupancy: 10
; WaveLimiterHint : 0
; COMPUTE_PGM_RSRC2:SCRATCH_EN: 0
; COMPUTE_PGM_RSRC2:USER_SGPR: 6
; COMPUTE_PGM_RSRC2:TRAP_HANDLER: 0
; COMPUTE_PGM_RSRC2:TGID_X_EN: 1
; COMPUTE_PGM_RSRC2:TGID_Y_EN: 0
; COMPUTE_PGM_RSRC2:TGID_Z_EN: 0
; COMPUTE_PGM_RSRC2:TIDIG_COMP_CNT: 0
	.section	.text._ZN7rocprim17ROCPRIM_400000_NS6detail17trampoline_kernelINS0_14default_configENS1_22reduce_config_selectorIlEEZNS1_11reduce_implILb1ES3_PlS7_lN6hipcub16HIPCUB_304000_NS6detail34convert_binary_result_type_wrapperINS9_3SumENS9_22TransformInputIteratorIb7NonZeroIsEPslEElEEEE10hipError_tPvRmT1_T2_T3_mT4_P12ihipStream_tbEUlT_E1_NS1_11comp_targetILNS1_3genE8ELNS1_11target_archE1030ELNS1_3gpuE2ELNS1_3repE0EEENS1_30default_config_static_selectorELNS0_4arch9wavefront6targetE1EEEvSM_,"axG",@progbits,_ZN7rocprim17ROCPRIM_400000_NS6detail17trampoline_kernelINS0_14default_configENS1_22reduce_config_selectorIlEEZNS1_11reduce_implILb1ES3_PlS7_lN6hipcub16HIPCUB_304000_NS6detail34convert_binary_result_type_wrapperINS9_3SumENS9_22TransformInputIteratorIb7NonZeroIsEPslEElEEEE10hipError_tPvRmT1_T2_T3_mT4_P12ihipStream_tbEUlT_E1_NS1_11comp_targetILNS1_3genE8ELNS1_11target_archE1030ELNS1_3gpuE2ELNS1_3repE0EEENS1_30default_config_static_selectorELNS0_4arch9wavefront6targetE1EEEvSM_,comdat
	.protected	_ZN7rocprim17ROCPRIM_400000_NS6detail17trampoline_kernelINS0_14default_configENS1_22reduce_config_selectorIlEEZNS1_11reduce_implILb1ES3_PlS7_lN6hipcub16HIPCUB_304000_NS6detail34convert_binary_result_type_wrapperINS9_3SumENS9_22TransformInputIteratorIb7NonZeroIsEPslEElEEEE10hipError_tPvRmT1_T2_T3_mT4_P12ihipStream_tbEUlT_E1_NS1_11comp_targetILNS1_3genE8ELNS1_11target_archE1030ELNS1_3gpuE2ELNS1_3repE0EEENS1_30default_config_static_selectorELNS0_4arch9wavefront6targetE1EEEvSM_ ; -- Begin function _ZN7rocprim17ROCPRIM_400000_NS6detail17trampoline_kernelINS0_14default_configENS1_22reduce_config_selectorIlEEZNS1_11reduce_implILb1ES3_PlS7_lN6hipcub16HIPCUB_304000_NS6detail34convert_binary_result_type_wrapperINS9_3SumENS9_22TransformInputIteratorIb7NonZeroIsEPslEElEEEE10hipError_tPvRmT1_T2_T3_mT4_P12ihipStream_tbEUlT_E1_NS1_11comp_targetILNS1_3genE8ELNS1_11target_archE1030ELNS1_3gpuE2ELNS1_3repE0EEENS1_30default_config_static_selectorELNS0_4arch9wavefront6targetE1EEEvSM_
	.globl	_ZN7rocprim17ROCPRIM_400000_NS6detail17trampoline_kernelINS0_14default_configENS1_22reduce_config_selectorIlEEZNS1_11reduce_implILb1ES3_PlS7_lN6hipcub16HIPCUB_304000_NS6detail34convert_binary_result_type_wrapperINS9_3SumENS9_22TransformInputIteratorIb7NonZeroIsEPslEElEEEE10hipError_tPvRmT1_T2_T3_mT4_P12ihipStream_tbEUlT_E1_NS1_11comp_targetILNS1_3genE8ELNS1_11target_archE1030ELNS1_3gpuE2ELNS1_3repE0EEENS1_30default_config_static_selectorELNS0_4arch9wavefront6targetE1EEEvSM_
	.p2align	8
	.type	_ZN7rocprim17ROCPRIM_400000_NS6detail17trampoline_kernelINS0_14default_configENS1_22reduce_config_selectorIlEEZNS1_11reduce_implILb1ES3_PlS7_lN6hipcub16HIPCUB_304000_NS6detail34convert_binary_result_type_wrapperINS9_3SumENS9_22TransformInputIteratorIb7NonZeroIsEPslEElEEEE10hipError_tPvRmT1_T2_T3_mT4_P12ihipStream_tbEUlT_E1_NS1_11comp_targetILNS1_3genE8ELNS1_11target_archE1030ELNS1_3gpuE2ELNS1_3repE0EEENS1_30default_config_static_selectorELNS0_4arch9wavefront6targetE1EEEvSM_,@function
_ZN7rocprim17ROCPRIM_400000_NS6detail17trampoline_kernelINS0_14default_configENS1_22reduce_config_selectorIlEEZNS1_11reduce_implILb1ES3_PlS7_lN6hipcub16HIPCUB_304000_NS6detail34convert_binary_result_type_wrapperINS9_3SumENS9_22TransformInputIteratorIb7NonZeroIsEPslEElEEEE10hipError_tPvRmT1_T2_T3_mT4_P12ihipStream_tbEUlT_E1_NS1_11comp_targetILNS1_3genE8ELNS1_11target_archE1030ELNS1_3gpuE2ELNS1_3repE0EEENS1_30default_config_static_selectorELNS0_4arch9wavefront6targetE1EEEvSM_: ; @_ZN7rocprim17ROCPRIM_400000_NS6detail17trampoline_kernelINS0_14default_configENS1_22reduce_config_selectorIlEEZNS1_11reduce_implILb1ES3_PlS7_lN6hipcub16HIPCUB_304000_NS6detail34convert_binary_result_type_wrapperINS9_3SumENS9_22TransformInputIteratorIb7NonZeroIsEPslEElEEEE10hipError_tPvRmT1_T2_T3_mT4_P12ihipStream_tbEUlT_E1_NS1_11comp_targetILNS1_3genE8ELNS1_11target_archE1030ELNS1_3gpuE2ELNS1_3repE0EEENS1_30default_config_static_selectorELNS0_4arch9wavefront6targetE1EEEvSM_
; %bb.0:
	.section	.rodata,"a",@progbits
	.p2align	6, 0x0
	.amdhsa_kernel _ZN7rocprim17ROCPRIM_400000_NS6detail17trampoline_kernelINS0_14default_configENS1_22reduce_config_selectorIlEEZNS1_11reduce_implILb1ES3_PlS7_lN6hipcub16HIPCUB_304000_NS6detail34convert_binary_result_type_wrapperINS9_3SumENS9_22TransformInputIteratorIb7NonZeroIsEPslEElEEEE10hipError_tPvRmT1_T2_T3_mT4_P12ihipStream_tbEUlT_E1_NS1_11comp_targetILNS1_3genE8ELNS1_11target_archE1030ELNS1_3gpuE2ELNS1_3repE0EEENS1_30default_config_static_selectorELNS0_4arch9wavefront6targetE1EEEvSM_
		.amdhsa_group_segment_fixed_size 0
		.amdhsa_private_segment_fixed_size 0
		.amdhsa_kernarg_size 48
		.amdhsa_user_sgpr_count 6
		.amdhsa_user_sgpr_private_segment_buffer 1
		.amdhsa_user_sgpr_dispatch_ptr 0
		.amdhsa_user_sgpr_queue_ptr 0
		.amdhsa_user_sgpr_kernarg_segment_ptr 1
		.amdhsa_user_sgpr_dispatch_id 0
		.amdhsa_user_sgpr_flat_scratch_init 0
		.amdhsa_user_sgpr_private_segment_size 0
		.amdhsa_uses_dynamic_stack 0
		.amdhsa_system_sgpr_private_segment_wavefront_offset 0
		.amdhsa_system_sgpr_workgroup_id_x 1
		.amdhsa_system_sgpr_workgroup_id_y 0
		.amdhsa_system_sgpr_workgroup_id_z 0
		.amdhsa_system_sgpr_workgroup_info 0
		.amdhsa_system_vgpr_workitem_id 0
		.amdhsa_next_free_vgpr 1
		.amdhsa_next_free_sgpr 0
		.amdhsa_reserve_vcc 0
		.amdhsa_reserve_flat_scratch 0
		.amdhsa_float_round_mode_32 0
		.amdhsa_float_round_mode_16_64 0
		.amdhsa_float_denorm_mode_32 3
		.amdhsa_float_denorm_mode_16_64 3
		.amdhsa_dx10_clamp 1
		.amdhsa_ieee_mode 1
		.amdhsa_fp16_overflow 0
		.amdhsa_exception_fp_ieee_invalid_op 0
		.amdhsa_exception_fp_denorm_src 0
		.amdhsa_exception_fp_ieee_div_zero 0
		.amdhsa_exception_fp_ieee_overflow 0
		.amdhsa_exception_fp_ieee_underflow 0
		.amdhsa_exception_fp_ieee_inexact 0
		.amdhsa_exception_int_div_zero 0
	.end_amdhsa_kernel
	.section	.text._ZN7rocprim17ROCPRIM_400000_NS6detail17trampoline_kernelINS0_14default_configENS1_22reduce_config_selectorIlEEZNS1_11reduce_implILb1ES3_PlS7_lN6hipcub16HIPCUB_304000_NS6detail34convert_binary_result_type_wrapperINS9_3SumENS9_22TransformInputIteratorIb7NonZeroIsEPslEElEEEE10hipError_tPvRmT1_T2_T3_mT4_P12ihipStream_tbEUlT_E1_NS1_11comp_targetILNS1_3genE8ELNS1_11target_archE1030ELNS1_3gpuE2ELNS1_3repE0EEENS1_30default_config_static_selectorELNS0_4arch9wavefront6targetE1EEEvSM_,"axG",@progbits,_ZN7rocprim17ROCPRIM_400000_NS6detail17trampoline_kernelINS0_14default_configENS1_22reduce_config_selectorIlEEZNS1_11reduce_implILb1ES3_PlS7_lN6hipcub16HIPCUB_304000_NS6detail34convert_binary_result_type_wrapperINS9_3SumENS9_22TransformInputIteratorIb7NonZeroIsEPslEElEEEE10hipError_tPvRmT1_T2_T3_mT4_P12ihipStream_tbEUlT_E1_NS1_11comp_targetILNS1_3genE8ELNS1_11target_archE1030ELNS1_3gpuE2ELNS1_3repE0EEENS1_30default_config_static_selectorELNS0_4arch9wavefront6targetE1EEEvSM_,comdat
.Lfunc_end98:
	.size	_ZN7rocprim17ROCPRIM_400000_NS6detail17trampoline_kernelINS0_14default_configENS1_22reduce_config_selectorIlEEZNS1_11reduce_implILb1ES3_PlS7_lN6hipcub16HIPCUB_304000_NS6detail34convert_binary_result_type_wrapperINS9_3SumENS9_22TransformInputIteratorIb7NonZeroIsEPslEElEEEE10hipError_tPvRmT1_T2_T3_mT4_P12ihipStream_tbEUlT_E1_NS1_11comp_targetILNS1_3genE8ELNS1_11target_archE1030ELNS1_3gpuE2ELNS1_3repE0EEENS1_30default_config_static_selectorELNS0_4arch9wavefront6targetE1EEEvSM_, .Lfunc_end98-_ZN7rocprim17ROCPRIM_400000_NS6detail17trampoline_kernelINS0_14default_configENS1_22reduce_config_selectorIlEEZNS1_11reduce_implILb1ES3_PlS7_lN6hipcub16HIPCUB_304000_NS6detail34convert_binary_result_type_wrapperINS9_3SumENS9_22TransformInputIteratorIb7NonZeroIsEPslEElEEEE10hipError_tPvRmT1_T2_T3_mT4_P12ihipStream_tbEUlT_E1_NS1_11comp_targetILNS1_3genE8ELNS1_11target_archE1030ELNS1_3gpuE2ELNS1_3repE0EEENS1_30default_config_static_selectorELNS0_4arch9wavefront6targetE1EEEvSM_
                                        ; -- End function
	.set _ZN7rocprim17ROCPRIM_400000_NS6detail17trampoline_kernelINS0_14default_configENS1_22reduce_config_selectorIlEEZNS1_11reduce_implILb1ES3_PlS7_lN6hipcub16HIPCUB_304000_NS6detail34convert_binary_result_type_wrapperINS9_3SumENS9_22TransformInputIteratorIb7NonZeroIsEPslEElEEEE10hipError_tPvRmT1_T2_T3_mT4_P12ihipStream_tbEUlT_E1_NS1_11comp_targetILNS1_3genE8ELNS1_11target_archE1030ELNS1_3gpuE2ELNS1_3repE0EEENS1_30default_config_static_selectorELNS0_4arch9wavefront6targetE1EEEvSM_.num_vgpr, 0
	.set _ZN7rocprim17ROCPRIM_400000_NS6detail17trampoline_kernelINS0_14default_configENS1_22reduce_config_selectorIlEEZNS1_11reduce_implILb1ES3_PlS7_lN6hipcub16HIPCUB_304000_NS6detail34convert_binary_result_type_wrapperINS9_3SumENS9_22TransformInputIteratorIb7NonZeroIsEPslEElEEEE10hipError_tPvRmT1_T2_T3_mT4_P12ihipStream_tbEUlT_E1_NS1_11comp_targetILNS1_3genE8ELNS1_11target_archE1030ELNS1_3gpuE2ELNS1_3repE0EEENS1_30default_config_static_selectorELNS0_4arch9wavefront6targetE1EEEvSM_.num_agpr, 0
	.set _ZN7rocprim17ROCPRIM_400000_NS6detail17trampoline_kernelINS0_14default_configENS1_22reduce_config_selectorIlEEZNS1_11reduce_implILb1ES3_PlS7_lN6hipcub16HIPCUB_304000_NS6detail34convert_binary_result_type_wrapperINS9_3SumENS9_22TransformInputIteratorIb7NonZeroIsEPslEElEEEE10hipError_tPvRmT1_T2_T3_mT4_P12ihipStream_tbEUlT_E1_NS1_11comp_targetILNS1_3genE8ELNS1_11target_archE1030ELNS1_3gpuE2ELNS1_3repE0EEENS1_30default_config_static_selectorELNS0_4arch9wavefront6targetE1EEEvSM_.numbered_sgpr, 0
	.set _ZN7rocprim17ROCPRIM_400000_NS6detail17trampoline_kernelINS0_14default_configENS1_22reduce_config_selectorIlEEZNS1_11reduce_implILb1ES3_PlS7_lN6hipcub16HIPCUB_304000_NS6detail34convert_binary_result_type_wrapperINS9_3SumENS9_22TransformInputIteratorIb7NonZeroIsEPslEElEEEE10hipError_tPvRmT1_T2_T3_mT4_P12ihipStream_tbEUlT_E1_NS1_11comp_targetILNS1_3genE8ELNS1_11target_archE1030ELNS1_3gpuE2ELNS1_3repE0EEENS1_30default_config_static_selectorELNS0_4arch9wavefront6targetE1EEEvSM_.num_named_barrier, 0
	.set _ZN7rocprim17ROCPRIM_400000_NS6detail17trampoline_kernelINS0_14default_configENS1_22reduce_config_selectorIlEEZNS1_11reduce_implILb1ES3_PlS7_lN6hipcub16HIPCUB_304000_NS6detail34convert_binary_result_type_wrapperINS9_3SumENS9_22TransformInputIteratorIb7NonZeroIsEPslEElEEEE10hipError_tPvRmT1_T2_T3_mT4_P12ihipStream_tbEUlT_E1_NS1_11comp_targetILNS1_3genE8ELNS1_11target_archE1030ELNS1_3gpuE2ELNS1_3repE0EEENS1_30default_config_static_selectorELNS0_4arch9wavefront6targetE1EEEvSM_.private_seg_size, 0
	.set _ZN7rocprim17ROCPRIM_400000_NS6detail17trampoline_kernelINS0_14default_configENS1_22reduce_config_selectorIlEEZNS1_11reduce_implILb1ES3_PlS7_lN6hipcub16HIPCUB_304000_NS6detail34convert_binary_result_type_wrapperINS9_3SumENS9_22TransformInputIteratorIb7NonZeroIsEPslEElEEEE10hipError_tPvRmT1_T2_T3_mT4_P12ihipStream_tbEUlT_E1_NS1_11comp_targetILNS1_3genE8ELNS1_11target_archE1030ELNS1_3gpuE2ELNS1_3repE0EEENS1_30default_config_static_selectorELNS0_4arch9wavefront6targetE1EEEvSM_.uses_vcc, 0
	.set _ZN7rocprim17ROCPRIM_400000_NS6detail17trampoline_kernelINS0_14default_configENS1_22reduce_config_selectorIlEEZNS1_11reduce_implILb1ES3_PlS7_lN6hipcub16HIPCUB_304000_NS6detail34convert_binary_result_type_wrapperINS9_3SumENS9_22TransformInputIteratorIb7NonZeroIsEPslEElEEEE10hipError_tPvRmT1_T2_T3_mT4_P12ihipStream_tbEUlT_E1_NS1_11comp_targetILNS1_3genE8ELNS1_11target_archE1030ELNS1_3gpuE2ELNS1_3repE0EEENS1_30default_config_static_selectorELNS0_4arch9wavefront6targetE1EEEvSM_.uses_flat_scratch, 0
	.set _ZN7rocprim17ROCPRIM_400000_NS6detail17trampoline_kernelINS0_14default_configENS1_22reduce_config_selectorIlEEZNS1_11reduce_implILb1ES3_PlS7_lN6hipcub16HIPCUB_304000_NS6detail34convert_binary_result_type_wrapperINS9_3SumENS9_22TransformInputIteratorIb7NonZeroIsEPslEElEEEE10hipError_tPvRmT1_T2_T3_mT4_P12ihipStream_tbEUlT_E1_NS1_11comp_targetILNS1_3genE8ELNS1_11target_archE1030ELNS1_3gpuE2ELNS1_3repE0EEENS1_30default_config_static_selectorELNS0_4arch9wavefront6targetE1EEEvSM_.has_dyn_sized_stack, 0
	.set _ZN7rocprim17ROCPRIM_400000_NS6detail17trampoline_kernelINS0_14default_configENS1_22reduce_config_selectorIlEEZNS1_11reduce_implILb1ES3_PlS7_lN6hipcub16HIPCUB_304000_NS6detail34convert_binary_result_type_wrapperINS9_3SumENS9_22TransformInputIteratorIb7NonZeroIsEPslEElEEEE10hipError_tPvRmT1_T2_T3_mT4_P12ihipStream_tbEUlT_E1_NS1_11comp_targetILNS1_3genE8ELNS1_11target_archE1030ELNS1_3gpuE2ELNS1_3repE0EEENS1_30default_config_static_selectorELNS0_4arch9wavefront6targetE1EEEvSM_.has_recursion, 0
	.set _ZN7rocprim17ROCPRIM_400000_NS6detail17trampoline_kernelINS0_14default_configENS1_22reduce_config_selectorIlEEZNS1_11reduce_implILb1ES3_PlS7_lN6hipcub16HIPCUB_304000_NS6detail34convert_binary_result_type_wrapperINS9_3SumENS9_22TransformInputIteratorIb7NonZeroIsEPslEElEEEE10hipError_tPvRmT1_T2_T3_mT4_P12ihipStream_tbEUlT_E1_NS1_11comp_targetILNS1_3genE8ELNS1_11target_archE1030ELNS1_3gpuE2ELNS1_3repE0EEENS1_30default_config_static_selectorELNS0_4arch9wavefront6targetE1EEEvSM_.has_indirect_call, 0
	.section	.AMDGPU.csdata,"",@progbits
; Kernel info:
; codeLenInByte = 0
; TotalNumSgprs: 4
; NumVgprs: 0
; ScratchSize: 0
; MemoryBound: 0
; FloatMode: 240
; IeeeMode: 1
; LDSByteSize: 0 bytes/workgroup (compile time only)
; SGPRBlocks: 0
; VGPRBlocks: 0
; NumSGPRsForWavesPerEU: 4
; NumVGPRsForWavesPerEU: 1
; Occupancy: 10
; WaveLimiterHint : 0
; COMPUTE_PGM_RSRC2:SCRATCH_EN: 0
; COMPUTE_PGM_RSRC2:USER_SGPR: 6
; COMPUTE_PGM_RSRC2:TRAP_HANDLER: 0
; COMPUTE_PGM_RSRC2:TGID_X_EN: 1
; COMPUTE_PGM_RSRC2:TGID_Y_EN: 0
; COMPUTE_PGM_RSRC2:TGID_Z_EN: 0
; COMPUTE_PGM_RSRC2:TIDIG_COMP_CNT: 0
	.section	.text._ZN7rocprim17ROCPRIM_400000_NS6detail17trampoline_kernelINS0_14default_configENS1_22reduce_config_selectorIbEEZNS1_11reduce_implILb1ES3_N6hipcub16HIPCUB_304000_NS22TransformInputIteratorIb7NonZeroIsEPslEEPllNS8_6detail34convert_binary_result_type_wrapperINS8_3SumESD_lEEEE10hipError_tPvRmT1_T2_T3_mT4_P12ihipStream_tbEUlT_E0_NS1_11comp_targetILNS1_3genE0ELNS1_11target_archE4294967295ELNS1_3gpuE0ELNS1_3repE0EEENS1_30default_config_static_selectorELNS0_4arch9wavefront6targetE1EEEvSM_,"axG",@progbits,_ZN7rocprim17ROCPRIM_400000_NS6detail17trampoline_kernelINS0_14default_configENS1_22reduce_config_selectorIbEEZNS1_11reduce_implILb1ES3_N6hipcub16HIPCUB_304000_NS22TransformInputIteratorIb7NonZeroIsEPslEEPllNS8_6detail34convert_binary_result_type_wrapperINS8_3SumESD_lEEEE10hipError_tPvRmT1_T2_T3_mT4_P12ihipStream_tbEUlT_E0_NS1_11comp_targetILNS1_3genE0ELNS1_11target_archE4294967295ELNS1_3gpuE0ELNS1_3repE0EEENS1_30default_config_static_selectorELNS0_4arch9wavefront6targetE1EEEvSM_,comdat
	.protected	_ZN7rocprim17ROCPRIM_400000_NS6detail17trampoline_kernelINS0_14default_configENS1_22reduce_config_selectorIbEEZNS1_11reduce_implILb1ES3_N6hipcub16HIPCUB_304000_NS22TransformInputIteratorIb7NonZeroIsEPslEEPllNS8_6detail34convert_binary_result_type_wrapperINS8_3SumESD_lEEEE10hipError_tPvRmT1_T2_T3_mT4_P12ihipStream_tbEUlT_E0_NS1_11comp_targetILNS1_3genE0ELNS1_11target_archE4294967295ELNS1_3gpuE0ELNS1_3repE0EEENS1_30default_config_static_selectorELNS0_4arch9wavefront6targetE1EEEvSM_ ; -- Begin function _ZN7rocprim17ROCPRIM_400000_NS6detail17trampoline_kernelINS0_14default_configENS1_22reduce_config_selectorIbEEZNS1_11reduce_implILb1ES3_N6hipcub16HIPCUB_304000_NS22TransformInputIteratorIb7NonZeroIsEPslEEPllNS8_6detail34convert_binary_result_type_wrapperINS8_3SumESD_lEEEE10hipError_tPvRmT1_T2_T3_mT4_P12ihipStream_tbEUlT_E0_NS1_11comp_targetILNS1_3genE0ELNS1_11target_archE4294967295ELNS1_3gpuE0ELNS1_3repE0EEENS1_30default_config_static_selectorELNS0_4arch9wavefront6targetE1EEEvSM_
	.globl	_ZN7rocprim17ROCPRIM_400000_NS6detail17trampoline_kernelINS0_14default_configENS1_22reduce_config_selectorIbEEZNS1_11reduce_implILb1ES3_N6hipcub16HIPCUB_304000_NS22TransformInputIteratorIb7NonZeroIsEPslEEPllNS8_6detail34convert_binary_result_type_wrapperINS8_3SumESD_lEEEE10hipError_tPvRmT1_T2_T3_mT4_P12ihipStream_tbEUlT_E0_NS1_11comp_targetILNS1_3genE0ELNS1_11target_archE4294967295ELNS1_3gpuE0ELNS1_3repE0EEENS1_30default_config_static_selectorELNS0_4arch9wavefront6targetE1EEEvSM_
	.p2align	8
	.type	_ZN7rocprim17ROCPRIM_400000_NS6detail17trampoline_kernelINS0_14default_configENS1_22reduce_config_selectorIbEEZNS1_11reduce_implILb1ES3_N6hipcub16HIPCUB_304000_NS22TransformInputIteratorIb7NonZeroIsEPslEEPllNS8_6detail34convert_binary_result_type_wrapperINS8_3SumESD_lEEEE10hipError_tPvRmT1_T2_T3_mT4_P12ihipStream_tbEUlT_E0_NS1_11comp_targetILNS1_3genE0ELNS1_11target_archE4294967295ELNS1_3gpuE0ELNS1_3repE0EEENS1_30default_config_static_selectorELNS0_4arch9wavefront6targetE1EEEvSM_,@function
_ZN7rocprim17ROCPRIM_400000_NS6detail17trampoline_kernelINS0_14default_configENS1_22reduce_config_selectorIbEEZNS1_11reduce_implILb1ES3_N6hipcub16HIPCUB_304000_NS22TransformInputIteratorIb7NonZeroIsEPslEEPllNS8_6detail34convert_binary_result_type_wrapperINS8_3SumESD_lEEEE10hipError_tPvRmT1_T2_T3_mT4_P12ihipStream_tbEUlT_E0_NS1_11comp_targetILNS1_3genE0ELNS1_11target_archE4294967295ELNS1_3gpuE0ELNS1_3repE0EEENS1_30default_config_static_selectorELNS0_4arch9wavefront6targetE1EEEvSM_: ; @_ZN7rocprim17ROCPRIM_400000_NS6detail17trampoline_kernelINS0_14default_configENS1_22reduce_config_selectorIbEEZNS1_11reduce_implILb1ES3_N6hipcub16HIPCUB_304000_NS22TransformInputIteratorIb7NonZeroIsEPslEEPllNS8_6detail34convert_binary_result_type_wrapperINS8_3SumESD_lEEEE10hipError_tPvRmT1_T2_T3_mT4_P12ihipStream_tbEUlT_E0_NS1_11comp_targetILNS1_3genE0ELNS1_11target_archE4294967295ELNS1_3gpuE0ELNS1_3repE0EEENS1_30default_config_static_selectorELNS0_4arch9wavefront6targetE1EEEvSM_
; %bb.0:
	.section	.rodata,"a",@progbits
	.p2align	6, 0x0
	.amdhsa_kernel _ZN7rocprim17ROCPRIM_400000_NS6detail17trampoline_kernelINS0_14default_configENS1_22reduce_config_selectorIbEEZNS1_11reduce_implILb1ES3_N6hipcub16HIPCUB_304000_NS22TransformInputIteratorIb7NonZeroIsEPslEEPllNS8_6detail34convert_binary_result_type_wrapperINS8_3SumESD_lEEEE10hipError_tPvRmT1_T2_T3_mT4_P12ihipStream_tbEUlT_E0_NS1_11comp_targetILNS1_3genE0ELNS1_11target_archE4294967295ELNS1_3gpuE0ELNS1_3repE0EEENS1_30default_config_static_selectorELNS0_4arch9wavefront6targetE1EEEvSM_
		.amdhsa_group_segment_fixed_size 0
		.amdhsa_private_segment_fixed_size 0
		.amdhsa_kernarg_size 72
		.amdhsa_user_sgpr_count 6
		.amdhsa_user_sgpr_private_segment_buffer 1
		.amdhsa_user_sgpr_dispatch_ptr 0
		.amdhsa_user_sgpr_queue_ptr 0
		.amdhsa_user_sgpr_kernarg_segment_ptr 1
		.amdhsa_user_sgpr_dispatch_id 0
		.amdhsa_user_sgpr_flat_scratch_init 0
		.amdhsa_user_sgpr_private_segment_size 0
		.amdhsa_uses_dynamic_stack 0
		.amdhsa_system_sgpr_private_segment_wavefront_offset 0
		.amdhsa_system_sgpr_workgroup_id_x 1
		.amdhsa_system_sgpr_workgroup_id_y 0
		.amdhsa_system_sgpr_workgroup_id_z 0
		.amdhsa_system_sgpr_workgroup_info 0
		.amdhsa_system_vgpr_workitem_id 0
		.amdhsa_next_free_vgpr 1
		.amdhsa_next_free_sgpr 0
		.amdhsa_reserve_vcc 0
		.amdhsa_reserve_flat_scratch 0
		.amdhsa_float_round_mode_32 0
		.amdhsa_float_round_mode_16_64 0
		.amdhsa_float_denorm_mode_32 3
		.amdhsa_float_denorm_mode_16_64 3
		.amdhsa_dx10_clamp 1
		.amdhsa_ieee_mode 1
		.amdhsa_fp16_overflow 0
		.amdhsa_exception_fp_ieee_invalid_op 0
		.amdhsa_exception_fp_denorm_src 0
		.amdhsa_exception_fp_ieee_div_zero 0
		.amdhsa_exception_fp_ieee_overflow 0
		.amdhsa_exception_fp_ieee_underflow 0
		.amdhsa_exception_fp_ieee_inexact 0
		.amdhsa_exception_int_div_zero 0
	.end_amdhsa_kernel
	.section	.text._ZN7rocprim17ROCPRIM_400000_NS6detail17trampoline_kernelINS0_14default_configENS1_22reduce_config_selectorIbEEZNS1_11reduce_implILb1ES3_N6hipcub16HIPCUB_304000_NS22TransformInputIteratorIb7NonZeroIsEPslEEPllNS8_6detail34convert_binary_result_type_wrapperINS8_3SumESD_lEEEE10hipError_tPvRmT1_T2_T3_mT4_P12ihipStream_tbEUlT_E0_NS1_11comp_targetILNS1_3genE0ELNS1_11target_archE4294967295ELNS1_3gpuE0ELNS1_3repE0EEENS1_30default_config_static_selectorELNS0_4arch9wavefront6targetE1EEEvSM_,"axG",@progbits,_ZN7rocprim17ROCPRIM_400000_NS6detail17trampoline_kernelINS0_14default_configENS1_22reduce_config_selectorIbEEZNS1_11reduce_implILb1ES3_N6hipcub16HIPCUB_304000_NS22TransformInputIteratorIb7NonZeroIsEPslEEPllNS8_6detail34convert_binary_result_type_wrapperINS8_3SumESD_lEEEE10hipError_tPvRmT1_T2_T3_mT4_P12ihipStream_tbEUlT_E0_NS1_11comp_targetILNS1_3genE0ELNS1_11target_archE4294967295ELNS1_3gpuE0ELNS1_3repE0EEENS1_30default_config_static_selectorELNS0_4arch9wavefront6targetE1EEEvSM_,comdat
.Lfunc_end99:
	.size	_ZN7rocprim17ROCPRIM_400000_NS6detail17trampoline_kernelINS0_14default_configENS1_22reduce_config_selectorIbEEZNS1_11reduce_implILb1ES3_N6hipcub16HIPCUB_304000_NS22TransformInputIteratorIb7NonZeroIsEPslEEPllNS8_6detail34convert_binary_result_type_wrapperINS8_3SumESD_lEEEE10hipError_tPvRmT1_T2_T3_mT4_P12ihipStream_tbEUlT_E0_NS1_11comp_targetILNS1_3genE0ELNS1_11target_archE4294967295ELNS1_3gpuE0ELNS1_3repE0EEENS1_30default_config_static_selectorELNS0_4arch9wavefront6targetE1EEEvSM_, .Lfunc_end99-_ZN7rocprim17ROCPRIM_400000_NS6detail17trampoline_kernelINS0_14default_configENS1_22reduce_config_selectorIbEEZNS1_11reduce_implILb1ES3_N6hipcub16HIPCUB_304000_NS22TransformInputIteratorIb7NonZeroIsEPslEEPllNS8_6detail34convert_binary_result_type_wrapperINS8_3SumESD_lEEEE10hipError_tPvRmT1_T2_T3_mT4_P12ihipStream_tbEUlT_E0_NS1_11comp_targetILNS1_3genE0ELNS1_11target_archE4294967295ELNS1_3gpuE0ELNS1_3repE0EEENS1_30default_config_static_selectorELNS0_4arch9wavefront6targetE1EEEvSM_
                                        ; -- End function
	.set _ZN7rocprim17ROCPRIM_400000_NS6detail17trampoline_kernelINS0_14default_configENS1_22reduce_config_selectorIbEEZNS1_11reduce_implILb1ES3_N6hipcub16HIPCUB_304000_NS22TransformInputIteratorIb7NonZeroIsEPslEEPllNS8_6detail34convert_binary_result_type_wrapperINS8_3SumESD_lEEEE10hipError_tPvRmT1_T2_T3_mT4_P12ihipStream_tbEUlT_E0_NS1_11comp_targetILNS1_3genE0ELNS1_11target_archE4294967295ELNS1_3gpuE0ELNS1_3repE0EEENS1_30default_config_static_selectorELNS0_4arch9wavefront6targetE1EEEvSM_.num_vgpr, 0
	.set _ZN7rocprim17ROCPRIM_400000_NS6detail17trampoline_kernelINS0_14default_configENS1_22reduce_config_selectorIbEEZNS1_11reduce_implILb1ES3_N6hipcub16HIPCUB_304000_NS22TransformInputIteratorIb7NonZeroIsEPslEEPllNS8_6detail34convert_binary_result_type_wrapperINS8_3SumESD_lEEEE10hipError_tPvRmT1_T2_T3_mT4_P12ihipStream_tbEUlT_E0_NS1_11comp_targetILNS1_3genE0ELNS1_11target_archE4294967295ELNS1_3gpuE0ELNS1_3repE0EEENS1_30default_config_static_selectorELNS0_4arch9wavefront6targetE1EEEvSM_.num_agpr, 0
	.set _ZN7rocprim17ROCPRIM_400000_NS6detail17trampoline_kernelINS0_14default_configENS1_22reduce_config_selectorIbEEZNS1_11reduce_implILb1ES3_N6hipcub16HIPCUB_304000_NS22TransformInputIteratorIb7NonZeroIsEPslEEPllNS8_6detail34convert_binary_result_type_wrapperINS8_3SumESD_lEEEE10hipError_tPvRmT1_T2_T3_mT4_P12ihipStream_tbEUlT_E0_NS1_11comp_targetILNS1_3genE0ELNS1_11target_archE4294967295ELNS1_3gpuE0ELNS1_3repE0EEENS1_30default_config_static_selectorELNS0_4arch9wavefront6targetE1EEEvSM_.numbered_sgpr, 0
	.set _ZN7rocprim17ROCPRIM_400000_NS6detail17trampoline_kernelINS0_14default_configENS1_22reduce_config_selectorIbEEZNS1_11reduce_implILb1ES3_N6hipcub16HIPCUB_304000_NS22TransformInputIteratorIb7NonZeroIsEPslEEPllNS8_6detail34convert_binary_result_type_wrapperINS8_3SumESD_lEEEE10hipError_tPvRmT1_T2_T3_mT4_P12ihipStream_tbEUlT_E0_NS1_11comp_targetILNS1_3genE0ELNS1_11target_archE4294967295ELNS1_3gpuE0ELNS1_3repE0EEENS1_30default_config_static_selectorELNS0_4arch9wavefront6targetE1EEEvSM_.num_named_barrier, 0
	.set _ZN7rocprim17ROCPRIM_400000_NS6detail17trampoline_kernelINS0_14default_configENS1_22reduce_config_selectorIbEEZNS1_11reduce_implILb1ES3_N6hipcub16HIPCUB_304000_NS22TransformInputIteratorIb7NonZeroIsEPslEEPllNS8_6detail34convert_binary_result_type_wrapperINS8_3SumESD_lEEEE10hipError_tPvRmT1_T2_T3_mT4_P12ihipStream_tbEUlT_E0_NS1_11comp_targetILNS1_3genE0ELNS1_11target_archE4294967295ELNS1_3gpuE0ELNS1_3repE0EEENS1_30default_config_static_selectorELNS0_4arch9wavefront6targetE1EEEvSM_.private_seg_size, 0
	.set _ZN7rocprim17ROCPRIM_400000_NS6detail17trampoline_kernelINS0_14default_configENS1_22reduce_config_selectorIbEEZNS1_11reduce_implILb1ES3_N6hipcub16HIPCUB_304000_NS22TransformInputIteratorIb7NonZeroIsEPslEEPllNS8_6detail34convert_binary_result_type_wrapperINS8_3SumESD_lEEEE10hipError_tPvRmT1_T2_T3_mT4_P12ihipStream_tbEUlT_E0_NS1_11comp_targetILNS1_3genE0ELNS1_11target_archE4294967295ELNS1_3gpuE0ELNS1_3repE0EEENS1_30default_config_static_selectorELNS0_4arch9wavefront6targetE1EEEvSM_.uses_vcc, 0
	.set _ZN7rocprim17ROCPRIM_400000_NS6detail17trampoline_kernelINS0_14default_configENS1_22reduce_config_selectorIbEEZNS1_11reduce_implILb1ES3_N6hipcub16HIPCUB_304000_NS22TransformInputIteratorIb7NonZeroIsEPslEEPllNS8_6detail34convert_binary_result_type_wrapperINS8_3SumESD_lEEEE10hipError_tPvRmT1_T2_T3_mT4_P12ihipStream_tbEUlT_E0_NS1_11comp_targetILNS1_3genE0ELNS1_11target_archE4294967295ELNS1_3gpuE0ELNS1_3repE0EEENS1_30default_config_static_selectorELNS0_4arch9wavefront6targetE1EEEvSM_.uses_flat_scratch, 0
	.set _ZN7rocprim17ROCPRIM_400000_NS6detail17trampoline_kernelINS0_14default_configENS1_22reduce_config_selectorIbEEZNS1_11reduce_implILb1ES3_N6hipcub16HIPCUB_304000_NS22TransformInputIteratorIb7NonZeroIsEPslEEPllNS8_6detail34convert_binary_result_type_wrapperINS8_3SumESD_lEEEE10hipError_tPvRmT1_T2_T3_mT4_P12ihipStream_tbEUlT_E0_NS1_11comp_targetILNS1_3genE0ELNS1_11target_archE4294967295ELNS1_3gpuE0ELNS1_3repE0EEENS1_30default_config_static_selectorELNS0_4arch9wavefront6targetE1EEEvSM_.has_dyn_sized_stack, 0
	.set _ZN7rocprim17ROCPRIM_400000_NS6detail17trampoline_kernelINS0_14default_configENS1_22reduce_config_selectorIbEEZNS1_11reduce_implILb1ES3_N6hipcub16HIPCUB_304000_NS22TransformInputIteratorIb7NonZeroIsEPslEEPllNS8_6detail34convert_binary_result_type_wrapperINS8_3SumESD_lEEEE10hipError_tPvRmT1_T2_T3_mT4_P12ihipStream_tbEUlT_E0_NS1_11comp_targetILNS1_3genE0ELNS1_11target_archE4294967295ELNS1_3gpuE0ELNS1_3repE0EEENS1_30default_config_static_selectorELNS0_4arch9wavefront6targetE1EEEvSM_.has_recursion, 0
	.set _ZN7rocprim17ROCPRIM_400000_NS6detail17trampoline_kernelINS0_14default_configENS1_22reduce_config_selectorIbEEZNS1_11reduce_implILb1ES3_N6hipcub16HIPCUB_304000_NS22TransformInputIteratorIb7NonZeroIsEPslEEPllNS8_6detail34convert_binary_result_type_wrapperINS8_3SumESD_lEEEE10hipError_tPvRmT1_T2_T3_mT4_P12ihipStream_tbEUlT_E0_NS1_11comp_targetILNS1_3genE0ELNS1_11target_archE4294967295ELNS1_3gpuE0ELNS1_3repE0EEENS1_30default_config_static_selectorELNS0_4arch9wavefront6targetE1EEEvSM_.has_indirect_call, 0
	.section	.AMDGPU.csdata,"",@progbits
; Kernel info:
; codeLenInByte = 0
; TotalNumSgprs: 4
; NumVgprs: 0
; ScratchSize: 0
; MemoryBound: 0
; FloatMode: 240
; IeeeMode: 1
; LDSByteSize: 0 bytes/workgroup (compile time only)
; SGPRBlocks: 0
; VGPRBlocks: 0
; NumSGPRsForWavesPerEU: 4
; NumVGPRsForWavesPerEU: 1
; Occupancy: 10
; WaveLimiterHint : 0
; COMPUTE_PGM_RSRC2:SCRATCH_EN: 0
; COMPUTE_PGM_RSRC2:USER_SGPR: 6
; COMPUTE_PGM_RSRC2:TRAP_HANDLER: 0
; COMPUTE_PGM_RSRC2:TGID_X_EN: 1
; COMPUTE_PGM_RSRC2:TGID_Y_EN: 0
; COMPUTE_PGM_RSRC2:TGID_Z_EN: 0
; COMPUTE_PGM_RSRC2:TIDIG_COMP_CNT: 0
	.section	.text._ZN7rocprim17ROCPRIM_400000_NS6detail17trampoline_kernelINS0_14default_configENS1_22reduce_config_selectorIbEEZNS1_11reduce_implILb1ES3_N6hipcub16HIPCUB_304000_NS22TransformInputIteratorIb7NonZeroIsEPslEEPllNS8_6detail34convert_binary_result_type_wrapperINS8_3SumESD_lEEEE10hipError_tPvRmT1_T2_T3_mT4_P12ihipStream_tbEUlT_E0_NS1_11comp_targetILNS1_3genE5ELNS1_11target_archE942ELNS1_3gpuE9ELNS1_3repE0EEENS1_30default_config_static_selectorELNS0_4arch9wavefront6targetE1EEEvSM_,"axG",@progbits,_ZN7rocprim17ROCPRIM_400000_NS6detail17trampoline_kernelINS0_14default_configENS1_22reduce_config_selectorIbEEZNS1_11reduce_implILb1ES3_N6hipcub16HIPCUB_304000_NS22TransformInputIteratorIb7NonZeroIsEPslEEPllNS8_6detail34convert_binary_result_type_wrapperINS8_3SumESD_lEEEE10hipError_tPvRmT1_T2_T3_mT4_P12ihipStream_tbEUlT_E0_NS1_11comp_targetILNS1_3genE5ELNS1_11target_archE942ELNS1_3gpuE9ELNS1_3repE0EEENS1_30default_config_static_selectorELNS0_4arch9wavefront6targetE1EEEvSM_,comdat
	.protected	_ZN7rocprim17ROCPRIM_400000_NS6detail17trampoline_kernelINS0_14default_configENS1_22reduce_config_selectorIbEEZNS1_11reduce_implILb1ES3_N6hipcub16HIPCUB_304000_NS22TransformInputIteratorIb7NonZeroIsEPslEEPllNS8_6detail34convert_binary_result_type_wrapperINS8_3SumESD_lEEEE10hipError_tPvRmT1_T2_T3_mT4_P12ihipStream_tbEUlT_E0_NS1_11comp_targetILNS1_3genE5ELNS1_11target_archE942ELNS1_3gpuE9ELNS1_3repE0EEENS1_30default_config_static_selectorELNS0_4arch9wavefront6targetE1EEEvSM_ ; -- Begin function _ZN7rocprim17ROCPRIM_400000_NS6detail17trampoline_kernelINS0_14default_configENS1_22reduce_config_selectorIbEEZNS1_11reduce_implILb1ES3_N6hipcub16HIPCUB_304000_NS22TransformInputIteratorIb7NonZeroIsEPslEEPllNS8_6detail34convert_binary_result_type_wrapperINS8_3SumESD_lEEEE10hipError_tPvRmT1_T2_T3_mT4_P12ihipStream_tbEUlT_E0_NS1_11comp_targetILNS1_3genE5ELNS1_11target_archE942ELNS1_3gpuE9ELNS1_3repE0EEENS1_30default_config_static_selectorELNS0_4arch9wavefront6targetE1EEEvSM_
	.globl	_ZN7rocprim17ROCPRIM_400000_NS6detail17trampoline_kernelINS0_14default_configENS1_22reduce_config_selectorIbEEZNS1_11reduce_implILb1ES3_N6hipcub16HIPCUB_304000_NS22TransformInputIteratorIb7NonZeroIsEPslEEPllNS8_6detail34convert_binary_result_type_wrapperINS8_3SumESD_lEEEE10hipError_tPvRmT1_T2_T3_mT4_P12ihipStream_tbEUlT_E0_NS1_11comp_targetILNS1_3genE5ELNS1_11target_archE942ELNS1_3gpuE9ELNS1_3repE0EEENS1_30default_config_static_selectorELNS0_4arch9wavefront6targetE1EEEvSM_
	.p2align	8
	.type	_ZN7rocprim17ROCPRIM_400000_NS6detail17trampoline_kernelINS0_14default_configENS1_22reduce_config_selectorIbEEZNS1_11reduce_implILb1ES3_N6hipcub16HIPCUB_304000_NS22TransformInputIteratorIb7NonZeroIsEPslEEPllNS8_6detail34convert_binary_result_type_wrapperINS8_3SumESD_lEEEE10hipError_tPvRmT1_T2_T3_mT4_P12ihipStream_tbEUlT_E0_NS1_11comp_targetILNS1_3genE5ELNS1_11target_archE942ELNS1_3gpuE9ELNS1_3repE0EEENS1_30default_config_static_selectorELNS0_4arch9wavefront6targetE1EEEvSM_,@function
_ZN7rocprim17ROCPRIM_400000_NS6detail17trampoline_kernelINS0_14default_configENS1_22reduce_config_selectorIbEEZNS1_11reduce_implILb1ES3_N6hipcub16HIPCUB_304000_NS22TransformInputIteratorIb7NonZeroIsEPslEEPllNS8_6detail34convert_binary_result_type_wrapperINS8_3SumESD_lEEEE10hipError_tPvRmT1_T2_T3_mT4_P12ihipStream_tbEUlT_E0_NS1_11comp_targetILNS1_3genE5ELNS1_11target_archE942ELNS1_3gpuE9ELNS1_3repE0EEENS1_30default_config_static_selectorELNS0_4arch9wavefront6targetE1EEEvSM_: ; @_ZN7rocprim17ROCPRIM_400000_NS6detail17trampoline_kernelINS0_14default_configENS1_22reduce_config_selectorIbEEZNS1_11reduce_implILb1ES3_N6hipcub16HIPCUB_304000_NS22TransformInputIteratorIb7NonZeroIsEPslEEPllNS8_6detail34convert_binary_result_type_wrapperINS8_3SumESD_lEEEE10hipError_tPvRmT1_T2_T3_mT4_P12ihipStream_tbEUlT_E0_NS1_11comp_targetILNS1_3genE5ELNS1_11target_archE942ELNS1_3gpuE9ELNS1_3repE0EEENS1_30default_config_static_selectorELNS0_4arch9wavefront6targetE1EEEvSM_
; %bb.0:
	.section	.rodata,"a",@progbits
	.p2align	6, 0x0
	.amdhsa_kernel _ZN7rocprim17ROCPRIM_400000_NS6detail17trampoline_kernelINS0_14default_configENS1_22reduce_config_selectorIbEEZNS1_11reduce_implILb1ES3_N6hipcub16HIPCUB_304000_NS22TransformInputIteratorIb7NonZeroIsEPslEEPllNS8_6detail34convert_binary_result_type_wrapperINS8_3SumESD_lEEEE10hipError_tPvRmT1_T2_T3_mT4_P12ihipStream_tbEUlT_E0_NS1_11comp_targetILNS1_3genE5ELNS1_11target_archE942ELNS1_3gpuE9ELNS1_3repE0EEENS1_30default_config_static_selectorELNS0_4arch9wavefront6targetE1EEEvSM_
		.amdhsa_group_segment_fixed_size 0
		.amdhsa_private_segment_fixed_size 0
		.amdhsa_kernarg_size 72
		.amdhsa_user_sgpr_count 6
		.amdhsa_user_sgpr_private_segment_buffer 1
		.amdhsa_user_sgpr_dispatch_ptr 0
		.amdhsa_user_sgpr_queue_ptr 0
		.amdhsa_user_sgpr_kernarg_segment_ptr 1
		.amdhsa_user_sgpr_dispatch_id 0
		.amdhsa_user_sgpr_flat_scratch_init 0
		.amdhsa_user_sgpr_private_segment_size 0
		.amdhsa_uses_dynamic_stack 0
		.amdhsa_system_sgpr_private_segment_wavefront_offset 0
		.amdhsa_system_sgpr_workgroup_id_x 1
		.amdhsa_system_sgpr_workgroup_id_y 0
		.amdhsa_system_sgpr_workgroup_id_z 0
		.amdhsa_system_sgpr_workgroup_info 0
		.amdhsa_system_vgpr_workitem_id 0
		.amdhsa_next_free_vgpr 1
		.amdhsa_next_free_sgpr 0
		.amdhsa_reserve_vcc 0
		.amdhsa_reserve_flat_scratch 0
		.amdhsa_float_round_mode_32 0
		.amdhsa_float_round_mode_16_64 0
		.amdhsa_float_denorm_mode_32 3
		.amdhsa_float_denorm_mode_16_64 3
		.amdhsa_dx10_clamp 1
		.amdhsa_ieee_mode 1
		.amdhsa_fp16_overflow 0
		.amdhsa_exception_fp_ieee_invalid_op 0
		.amdhsa_exception_fp_denorm_src 0
		.amdhsa_exception_fp_ieee_div_zero 0
		.amdhsa_exception_fp_ieee_overflow 0
		.amdhsa_exception_fp_ieee_underflow 0
		.amdhsa_exception_fp_ieee_inexact 0
		.amdhsa_exception_int_div_zero 0
	.end_amdhsa_kernel
	.section	.text._ZN7rocprim17ROCPRIM_400000_NS6detail17trampoline_kernelINS0_14default_configENS1_22reduce_config_selectorIbEEZNS1_11reduce_implILb1ES3_N6hipcub16HIPCUB_304000_NS22TransformInputIteratorIb7NonZeroIsEPslEEPllNS8_6detail34convert_binary_result_type_wrapperINS8_3SumESD_lEEEE10hipError_tPvRmT1_T2_T3_mT4_P12ihipStream_tbEUlT_E0_NS1_11comp_targetILNS1_3genE5ELNS1_11target_archE942ELNS1_3gpuE9ELNS1_3repE0EEENS1_30default_config_static_selectorELNS0_4arch9wavefront6targetE1EEEvSM_,"axG",@progbits,_ZN7rocprim17ROCPRIM_400000_NS6detail17trampoline_kernelINS0_14default_configENS1_22reduce_config_selectorIbEEZNS1_11reduce_implILb1ES3_N6hipcub16HIPCUB_304000_NS22TransformInputIteratorIb7NonZeroIsEPslEEPllNS8_6detail34convert_binary_result_type_wrapperINS8_3SumESD_lEEEE10hipError_tPvRmT1_T2_T3_mT4_P12ihipStream_tbEUlT_E0_NS1_11comp_targetILNS1_3genE5ELNS1_11target_archE942ELNS1_3gpuE9ELNS1_3repE0EEENS1_30default_config_static_selectorELNS0_4arch9wavefront6targetE1EEEvSM_,comdat
.Lfunc_end100:
	.size	_ZN7rocprim17ROCPRIM_400000_NS6detail17trampoline_kernelINS0_14default_configENS1_22reduce_config_selectorIbEEZNS1_11reduce_implILb1ES3_N6hipcub16HIPCUB_304000_NS22TransformInputIteratorIb7NonZeroIsEPslEEPllNS8_6detail34convert_binary_result_type_wrapperINS8_3SumESD_lEEEE10hipError_tPvRmT1_T2_T3_mT4_P12ihipStream_tbEUlT_E0_NS1_11comp_targetILNS1_3genE5ELNS1_11target_archE942ELNS1_3gpuE9ELNS1_3repE0EEENS1_30default_config_static_selectorELNS0_4arch9wavefront6targetE1EEEvSM_, .Lfunc_end100-_ZN7rocprim17ROCPRIM_400000_NS6detail17trampoline_kernelINS0_14default_configENS1_22reduce_config_selectorIbEEZNS1_11reduce_implILb1ES3_N6hipcub16HIPCUB_304000_NS22TransformInputIteratorIb7NonZeroIsEPslEEPllNS8_6detail34convert_binary_result_type_wrapperINS8_3SumESD_lEEEE10hipError_tPvRmT1_T2_T3_mT4_P12ihipStream_tbEUlT_E0_NS1_11comp_targetILNS1_3genE5ELNS1_11target_archE942ELNS1_3gpuE9ELNS1_3repE0EEENS1_30default_config_static_selectorELNS0_4arch9wavefront6targetE1EEEvSM_
                                        ; -- End function
	.set _ZN7rocprim17ROCPRIM_400000_NS6detail17trampoline_kernelINS0_14default_configENS1_22reduce_config_selectorIbEEZNS1_11reduce_implILb1ES3_N6hipcub16HIPCUB_304000_NS22TransformInputIteratorIb7NonZeroIsEPslEEPllNS8_6detail34convert_binary_result_type_wrapperINS8_3SumESD_lEEEE10hipError_tPvRmT1_T2_T3_mT4_P12ihipStream_tbEUlT_E0_NS1_11comp_targetILNS1_3genE5ELNS1_11target_archE942ELNS1_3gpuE9ELNS1_3repE0EEENS1_30default_config_static_selectorELNS0_4arch9wavefront6targetE1EEEvSM_.num_vgpr, 0
	.set _ZN7rocprim17ROCPRIM_400000_NS6detail17trampoline_kernelINS0_14default_configENS1_22reduce_config_selectorIbEEZNS1_11reduce_implILb1ES3_N6hipcub16HIPCUB_304000_NS22TransformInputIteratorIb7NonZeroIsEPslEEPllNS8_6detail34convert_binary_result_type_wrapperINS8_3SumESD_lEEEE10hipError_tPvRmT1_T2_T3_mT4_P12ihipStream_tbEUlT_E0_NS1_11comp_targetILNS1_3genE5ELNS1_11target_archE942ELNS1_3gpuE9ELNS1_3repE0EEENS1_30default_config_static_selectorELNS0_4arch9wavefront6targetE1EEEvSM_.num_agpr, 0
	.set _ZN7rocprim17ROCPRIM_400000_NS6detail17trampoline_kernelINS0_14default_configENS1_22reduce_config_selectorIbEEZNS1_11reduce_implILb1ES3_N6hipcub16HIPCUB_304000_NS22TransformInputIteratorIb7NonZeroIsEPslEEPllNS8_6detail34convert_binary_result_type_wrapperINS8_3SumESD_lEEEE10hipError_tPvRmT1_T2_T3_mT4_P12ihipStream_tbEUlT_E0_NS1_11comp_targetILNS1_3genE5ELNS1_11target_archE942ELNS1_3gpuE9ELNS1_3repE0EEENS1_30default_config_static_selectorELNS0_4arch9wavefront6targetE1EEEvSM_.numbered_sgpr, 0
	.set _ZN7rocprim17ROCPRIM_400000_NS6detail17trampoline_kernelINS0_14default_configENS1_22reduce_config_selectorIbEEZNS1_11reduce_implILb1ES3_N6hipcub16HIPCUB_304000_NS22TransformInputIteratorIb7NonZeroIsEPslEEPllNS8_6detail34convert_binary_result_type_wrapperINS8_3SumESD_lEEEE10hipError_tPvRmT1_T2_T3_mT4_P12ihipStream_tbEUlT_E0_NS1_11comp_targetILNS1_3genE5ELNS1_11target_archE942ELNS1_3gpuE9ELNS1_3repE0EEENS1_30default_config_static_selectorELNS0_4arch9wavefront6targetE1EEEvSM_.num_named_barrier, 0
	.set _ZN7rocprim17ROCPRIM_400000_NS6detail17trampoline_kernelINS0_14default_configENS1_22reduce_config_selectorIbEEZNS1_11reduce_implILb1ES3_N6hipcub16HIPCUB_304000_NS22TransformInputIteratorIb7NonZeroIsEPslEEPllNS8_6detail34convert_binary_result_type_wrapperINS8_3SumESD_lEEEE10hipError_tPvRmT1_T2_T3_mT4_P12ihipStream_tbEUlT_E0_NS1_11comp_targetILNS1_3genE5ELNS1_11target_archE942ELNS1_3gpuE9ELNS1_3repE0EEENS1_30default_config_static_selectorELNS0_4arch9wavefront6targetE1EEEvSM_.private_seg_size, 0
	.set _ZN7rocprim17ROCPRIM_400000_NS6detail17trampoline_kernelINS0_14default_configENS1_22reduce_config_selectorIbEEZNS1_11reduce_implILb1ES3_N6hipcub16HIPCUB_304000_NS22TransformInputIteratorIb7NonZeroIsEPslEEPllNS8_6detail34convert_binary_result_type_wrapperINS8_3SumESD_lEEEE10hipError_tPvRmT1_T2_T3_mT4_P12ihipStream_tbEUlT_E0_NS1_11comp_targetILNS1_3genE5ELNS1_11target_archE942ELNS1_3gpuE9ELNS1_3repE0EEENS1_30default_config_static_selectorELNS0_4arch9wavefront6targetE1EEEvSM_.uses_vcc, 0
	.set _ZN7rocprim17ROCPRIM_400000_NS6detail17trampoline_kernelINS0_14default_configENS1_22reduce_config_selectorIbEEZNS1_11reduce_implILb1ES3_N6hipcub16HIPCUB_304000_NS22TransformInputIteratorIb7NonZeroIsEPslEEPllNS8_6detail34convert_binary_result_type_wrapperINS8_3SumESD_lEEEE10hipError_tPvRmT1_T2_T3_mT4_P12ihipStream_tbEUlT_E0_NS1_11comp_targetILNS1_3genE5ELNS1_11target_archE942ELNS1_3gpuE9ELNS1_3repE0EEENS1_30default_config_static_selectorELNS0_4arch9wavefront6targetE1EEEvSM_.uses_flat_scratch, 0
	.set _ZN7rocprim17ROCPRIM_400000_NS6detail17trampoline_kernelINS0_14default_configENS1_22reduce_config_selectorIbEEZNS1_11reduce_implILb1ES3_N6hipcub16HIPCUB_304000_NS22TransformInputIteratorIb7NonZeroIsEPslEEPllNS8_6detail34convert_binary_result_type_wrapperINS8_3SumESD_lEEEE10hipError_tPvRmT1_T2_T3_mT4_P12ihipStream_tbEUlT_E0_NS1_11comp_targetILNS1_3genE5ELNS1_11target_archE942ELNS1_3gpuE9ELNS1_3repE0EEENS1_30default_config_static_selectorELNS0_4arch9wavefront6targetE1EEEvSM_.has_dyn_sized_stack, 0
	.set _ZN7rocprim17ROCPRIM_400000_NS6detail17trampoline_kernelINS0_14default_configENS1_22reduce_config_selectorIbEEZNS1_11reduce_implILb1ES3_N6hipcub16HIPCUB_304000_NS22TransformInputIteratorIb7NonZeroIsEPslEEPllNS8_6detail34convert_binary_result_type_wrapperINS8_3SumESD_lEEEE10hipError_tPvRmT1_T2_T3_mT4_P12ihipStream_tbEUlT_E0_NS1_11comp_targetILNS1_3genE5ELNS1_11target_archE942ELNS1_3gpuE9ELNS1_3repE0EEENS1_30default_config_static_selectorELNS0_4arch9wavefront6targetE1EEEvSM_.has_recursion, 0
	.set _ZN7rocprim17ROCPRIM_400000_NS6detail17trampoline_kernelINS0_14default_configENS1_22reduce_config_selectorIbEEZNS1_11reduce_implILb1ES3_N6hipcub16HIPCUB_304000_NS22TransformInputIteratorIb7NonZeroIsEPslEEPllNS8_6detail34convert_binary_result_type_wrapperINS8_3SumESD_lEEEE10hipError_tPvRmT1_T2_T3_mT4_P12ihipStream_tbEUlT_E0_NS1_11comp_targetILNS1_3genE5ELNS1_11target_archE942ELNS1_3gpuE9ELNS1_3repE0EEENS1_30default_config_static_selectorELNS0_4arch9wavefront6targetE1EEEvSM_.has_indirect_call, 0
	.section	.AMDGPU.csdata,"",@progbits
; Kernel info:
; codeLenInByte = 0
; TotalNumSgprs: 4
; NumVgprs: 0
; ScratchSize: 0
; MemoryBound: 0
; FloatMode: 240
; IeeeMode: 1
; LDSByteSize: 0 bytes/workgroup (compile time only)
; SGPRBlocks: 0
; VGPRBlocks: 0
; NumSGPRsForWavesPerEU: 4
; NumVGPRsForWavesPerEU: 1
; Occupancy: 10
; WaveLimiterHint : 0
; COMPUTE_PGM_RSRC2:SCRATCH_EN: 0
; COMPUTE_PGM_RSRC2:USER_SGPR: 6
; COMPUTE_PGM_RSRC2:TRAP_HANDLER: 0
; COMPUTE_PGM_RSRC2:TGID_X_EN: 1
; COMPUTE_PGM_RSRC2:TGID_Y_EN: 0
; COMPUTE_PGM_RSRC2:TGID_Z_EN: 0
; COMPUTE_PGM_RSRC2:TIDIG_COMP_CNT: 0
	.section	.text._ZN7rocprim17ROCPRIM_400000_NS6detail17trampoline_kernelINS0_14default_configENS1_22reduce_config_selectorIbEEZNS1_11reduce_implILb1ES3_N6hipcub16HIPCUB_304000_NS22TransformInputIteratorIb7NonZeroIsEPslEEPllNS8_6detail34convert_binary_result_type_wrapperINS8_3SumESD_lEEEE10hipError_tPvRmT1_T2_T3_mT4_P12ihipStream_tbEUlT_E0_NS1_11comp_targetILNS1_3genE4ELNS1_11target_archE910ELNS1_3gpuE8ELNS1_3repE0EEENS1_30default_config_static_selectorELNS0_4arch9wavefront6targetE1EEEvSM_,"axG",@progbits,_ZN7rocprim17ROCPRIM_400000_NS6detail17trampoline_kernelINS0_14default_configENS1_22reduce_config_selectorIbEEZNS1_11reduce_implILb1ES3_N6hipcub16HIPCUB_304000_NS22TransformInputIteratorIb7NonZeroIsEPslEEPllNS8_6detail34convert_binary_result_type_wrapperINS8_3SumESD_lEEEE10hipError_tPvRmT1_T2_T3_mT4_P12ihipStream_tbEUlT_E0_NS1_11comp_targetILNS1_3genE4ELNS1_11target_archE910ELNS1_3gpuE8ELNS1_3repE0EEENS1_30default_config_static_selectorELNS0_4arch9wavefront6targetE1EEEvSM_,comdat
	.protected	_ZN7rocprim17ROCPRIM_400000_NS6detail17trampoline_kernelINS0_14default_configENS1_22reduce_config_selectorIbEEZNS1_11reduce_implILb1ES3_N6hipcub16HIPCUB_304000_NS22TransformInputIteratorIb7NonZeroIsEPslEEPllNS8_6detail34convert_binary_result_type_wrapperINS8_3SumESD_lEEEE10hipError_tPvRmT1_T2_T3_mT4_P12ihipStream_tbEUlT_E0_NS1_11comp_targetILNS1_3genE4ELNS1_11target_archE910ELNS1_3gpuE8ELNS1_3repE0EEENS1_30default_config_static_selectorELNS0_4arch9wavefront6targetE1EEEvSM_ ; -- Begin function _ZN7rocprim17ROCPRIM_400000_NS6detail17trampoline_kernelINS0_14default_configENS1_22reduce_config_selectorIbEEZNS1_11reduce_implILb1ES3_N6hipcub16HIPCUB_304000_NS22TransformInputIteratorIb7NonZeroIsEPslEEPllNS8_6detail34convert_binary_result_type_wrapperINS8_3SumESD_lEEEE10hipError_tPvRmT1_T2_T3_mT4_P12ihipStream_tbEUlT_E0_NS1_11comp_targetILNS1_3genE4ELNS1_11target_archE910ELNS1_3gpuE8ELNS1_3repE0EEENS1_30default_config_static_selectorELNS0_4arch9wavefront6targetE1EEEvSM_
	.globl	_ZN7rocprim17ROCPRIM_400000_NS6detail17trampoline_kernelINS0_14default_configENS1_22reduce_config_selectorIbEEZNS1_11reduce_implILb1ES3_N6hipcub16HIPCUB_304000_NS22TransformInputIteratorIb7NonZeroIsEPslEEPllNS8_6detail34convert_binary_result_type_wrapperINS8_3SumESD_lEEEE10hipError_tPvRmT1_T2_T3_mT4_P12ihipStream_tbEUlT_E0_NS1_11comp_targetILNS1_3genE4ELNS1_11target_archE910ELNS1_3gpuE8ELNS1_3repE0EEENS1_30default_config_static_selectorELNS0_4arch9wavefront6targetE1EEEvSM_
	.p2align	8
	.type	_ZN7rocprim17ROCPRIM_400000_NS6detail17trampoline_kernelINS0_14default_configENS1_22reduce_config_selectorIbEEZNS1_11reduce_implILb1ES3_N6hipcub16HIPCUB_304000_NS22TransformInputIteratorIb7NonZeroIsEPslEEPllNS8_6detail34convert_binary_result_type_wrapperINS8_3SumESD_lEEEE10hipError_tPvRmT1_T2_T3_mT4_P12ihipStream_tbEUlT_E0_NS1_11comp_targetILNS1_3genE4ELNS1_11target_archE910ELNS1_3gpuE8ELNS1_3repE0EEENS1_30default_config_static_selectorELNS0_4arch9wavefront6targetE1EEEvSM_,@function
_ZN7rocprim17ROCPRIM_400000_NS6detail17trampoline_kernelINS0_14default_configENS1_22reduce_config_selectorIbEEZNS1_11reduce_implILb1ES3_N6hipcub16HIPCUB_304000_NS22TransformInputIteratorIb7NonZeroIsEPslEEPllNS8_6detail34convert_binary_result_type_wrapperINS8_3SumESD_lEEEE10hipError_tPvRmT1_T2_T3_mT4_P12ihipStream_tbEUlT_E0_NS1_11comp_targetILNS1_3genE4ELNS1_11target_archE910ELNS1_3gpuE8ELNS1_3repE0EEENS1_30default_config_static_selectorELNS0_4arch9wavefront6targetE1EEEvSM_: ; @_ZN7rocprim17ROCPRIM_400000_NS6detail17trampoline_kernelINS0_14default_configENS1_22reduce_config_selectorIbEEZNS1_11reduce_implILb1ES3_N6hipcub16HIPCUB_304000_NS22TransformInputIteratorIb7NonZeroIsEPslEEPllNS8_6detail34convert_binary_result_type_wrapperINS8_3SumESD_lEEEE10hipError_tPvRmT1_T2_T3_mT4_P12ihipStream_tbEUlT_E0_NS1_11comp_targetILNS1_3genE4ELNS1_11target_archE910ELNS1_3gpuE8ELNS1_3repE0EEENS1_30default_config_static_selectorELNS0_4arch9wavefront6targetE1EEEvSM_
; %bb.0:
	.section	.rodata,"a",@progbits
	.p2align	6, 0x0
	.amdhsa_kernel _ZN7rocprim17ROCPRIM_400000_NS6detail17trampoline_kernelINS0_14default_configENS1_22reduce_config_selectorIbEEZNS1_11reduce_implILb1ES3_N6hipcub16HIPCUB_304000_NS22TransformInputIteratorIb7NonZeroIsEPslEEPllNS8_6detail34convert_binary_result_type_wrapperINS8_3SumESD_lEEEE10hipError_tPvRmT1_T2_T3_mT4_P12ihipStream_tbEUlT_E0_NS1_11comp_targetILNS1_3genE4ELNS1_11target_archE910ELNS1_3gpuE8ELNS1_3repE0EEENS1_30default_config_static_selectorELNS0_4arch9wavefront6targetE1EEEvSM_
		.amdhsa_group_segment_fixed_size 0
		.amdhsa_private_segment_fixed_size 0
		.amdhsa_kernarg_size 72
		.amdhsa_user_sgpr_count 6
		.amdhsa_user_sgpr_private_segment_buffer 1
		.amdhsa_user_sgpr_dispatch_ptr 0
		.amdhsa_user_sgpr_queue_ptr 0
		.amdhsa_user_sgpr_kernarg_segment_ptr 1
		.amdhsa_user_sgpr_dispatch_id 0
		.amdhsa_user_sgpr_flat_scratch_init 0
		.amdhsa_user_sgpr_private_segment_size 0
		.amdhsa_uses_dynamic_stack 0
		.amdhsa_system_sgpr_private_segment_wavefront_offset 0
		.amdhsa_system_sgpr_workgroup_id_x 1
		.amdhsa_system_sgpr_workgroup_id_y 0
		.amdhsa_system_sgpr_workgroup_id_z 0
		.amdhsa_system_sgpr_workgroup_info 0
		.amdhsa_system_vgpr_workitem_id 0
		.amdhsa_next_free_vgpr 1
		.amdhsa_next_free_sgpr 0
		.amdhsa_reserve_vcc 0
		.amdhsa_reserve_flat_scratch 0
		.amdhsa_float_round_mode_32 0
		.amdhsa_float_round_mode_16_64 0
		.amdhsa_float_denorm_mode_32 3
		.amdhsa_float_denorm_mode_16_64 3
		.amdhsa_dx10_clamp 1
		.amdhsa_ieee_mode 1
		.amdhsa_fp16_overflow 0
		.amdhsa_exception_fp_ieee_invalid_op 0
		.amdhsa_exception_fp_denorm_src 0
		.amdhsa_exception_fp_ieee_div_zero 0
		.amdhsa_exception_fp_ieee_overflow 0
		.amdhsa_exception_fp_ieee_underflow 0
		.amdhsa_exception_fp_ieee_inexact 0
		.amdhsa_exception_int_div_zero 0
	.end_amdhsa_kernel
	.section	.text._ZN7rocprim17ROCPRIM_400000_NS6detail17trampoline_kernelINS0_14default_configENS1_22reduce_config_selectorIbEEZNS1_11reduce_implILb1ES3_N6hipcub16HIPCUB_304000_NS22TransformInputIteratorIb7NonZeroIsEPslEEPllNS8_6detail34convert_binary_result_type_wrapperINS8_3SumESD_lEEEE10hipError_tPvRmT1_T2_T3_mT4_P12ihipStream_tbEUlT_E0_NS1_11comp_targetILNS1_3genE4ELNS1_11target_archE910ELNS1_3gpuE8ELNS1_3repE0EEENS1_30default_config_static_selectorELNS0_4arch9wavefront6targetE1EEEvSM_,"axG",@progbits,_ZN7rocprim17ROCPRIM_400000_NS6detail17trampoline_kernelINS0_14default_configENS1_22reduce_config_selectorIbEEZNS1_11reduce_implILb1ES3_N6hipcub16HIPCUB_304000_NS22TransformInputIteratorIb7NonZeroIsEPslEEPllNS8_6detail34convert_binary_result_type_wrapperINS8_3SumESD_lEEEE10hipError_tPvRmT1_T2_T3_mT4_P12ihipStream_tbEUlT_E0_NS1_11comp_targetILNS1_3genE4ELNS1_11target_archE910ELNS1_3gpuE8ELNS1_3repE0EEENS1_30default_config_static_selectorELNS0_4arch9wavefront6targetE1EEEvSM_,comdat
.Lfunc_end101:
	.size	_ZN7rocprim17ROCPRIM_400000_NS6detail17trampoline_kernelINS0_14default_configENS1_22reduce_config_selectorIbEEZNS1_11reduce_implILb1ES3_N6hipcub16HIPCUB_304000_NS22TransformInputIteratorIb7NonZeroIsEPslEEPllNS8_6detail34convert_binary_result_type_wrapperINS8_3SumESD_lEEEE10hipError_tPvRmT1_T2_T3_mT4_P12ihipStream_tbEUlT_E0_NS1_11comp_targetILNS1_3genE4ELNS1_11target_archE910ELNS1_3gpuE8ELNS1_3repE0EEENS1_30default_config_static_selectorELNS0_4arch9wavefront6targetE1EEEvSM_, .Lfunc_end101-_ZN7rocprim17ROCPRIM_400000_NS6detail17trampoline_kernelINS0_14default_configENS1_22reduce_config_selectorIbEEZNS1_11reduce_implILb1ES3_N6hipcub16HIPCUB_304000_NS22TransformInputIteratorIb7NonZeroIsEPslEEPllNS8_6detail34convert_binary_result_type_wrapperINS8_3SumESD_lEEEE10hipError_tPvRmT1_T2_T3_mT4_P12ihipStream_tbEUlT_E0_NS1_11comp_targetILNS1_3genE4ELNS1_11target_archE910ELNS1_3gpuE8ELNS1_3repE0EEENS1_30default_config_static_selectorELNS0_4arch9wavefront6targetE1EEEvSM_
                                        ; -- End function
	.set _ZN7rocprim17ROCPRIM_400000_NS6detail17trampoline_kernelINS0_14default_configENS1_22reduce_config_selectorIbEEZNS1_11reduce_implILb1ES3_N6hipcub16HIPCUB_304000_NS22TransformInputIteratorIb7NonZeroIsEPslEEPllNS8_6detail34convert_binary_result_type_wrapperINS8_3SumESD_lEEEE10hipError_tPvRmT1_T2_T3_mT4_P12ihipStream_tbEUlT_E0_NS1_11comp_targetILNS1_3genE4ELNS1_11target_archE910ELNS1_3gpuE8ELNS1_3repE0EEENS1_30default_config_static_selectorELNS0_4arch9wavefront6targetE1EEEvSM_.num_vgpr, 0
	.set _ZN7rocprim17ROCPRIM_400000_NS6detail17trampoline_kernelINS0_14default_configENS1_22reduce_config_selectorIbEEZNS1_11reduce_implILb1ES3_N6hipcub16HIPCUB_304000_NS22TransformInputIteratorIb7NonZeroIsEPslEEPllNS8_6detail34convert_binary_result_type_wrapperINS8_3SumESD_lEEEE10hipError_tPvRmT1_T2_T3_mT4_P12ihipStream_tbEUlT_E0_NS1_11comp_targetILNS1_3genE4ELNS1_11target_archE910ELNS1_3gpuE8ELNS1_3repE0EEENS1_30default_config_static_selectorELNS0_4arch9wavefront6targetE1EEEvSM_.num_agpr, 0
	.set _ZN7rocprim17ROCPRIM_400000_NS6detail17trampoline_kernelINS0_14default_configENS1_22reduce_config_selectorIbEEZNS1_11reduce_implILb1ES3_N6hipcub16HIPCUB_304000_NS22TransformInputIteratorIb7NonZeroIsEPslEEPllNS8_6detail34convert_binary_result_type_wrapperINS8_3SumESD_lEEEE10hipError_tPvRmT1_T2_T3_mT4_P12ihipStream_tbEUlT_E0_NS1_11comp_targetILNS1_3genE4ELNS1_11target_archE910ELNS1_3gpuE8ELNS1_3repE0EEENS1_30default_config_static_selectorELNS0_4arch9wavefront6targetE1EEEvSM_.numbered_sgpr, 0
	.set _ZN7rocprim17ROCPRIM_400000_NS6detail17trampoline_kernelINS0_14default_configENS1_22reduce_config_selectorIbEEZNS1_11reduce_implILb1ES3_N6hipcub16HIPCUB_304000_NS22TransformInputIteratorIb7NonZeroIsEPslEEPllNS8_6detail34convert_binary_result_type_wrapperINS8_3SumESD_lEEEE10hipError_tPvRmT1_T2_T3_mT4_P12ihipStream_tbEUlT_E0_NS1_11comp_targetILNS1_3genE4ELNS1_11target_archE910ELNS1_3gpuE8ELNS1_3repE0EEENS1_30default_config_static_selectorELNS0_4arch9wavefront6targetE1EEEvSM_.num_named_barrier, 0
	.set _ZN7rocprim17ROCPRIM_400000_NS6detail17trampoline_kernelINS0_14default_configENS1_22reduce_config_selectorIbEEZNS1_11reduce_implILb1ES3_N6hipcub16HIPCUB_304000_NS22TransformInputIteratorIb7NonZeroIsEPslEEPllNS8_6detail34convert_binary_result_type_wrapperINS8_3SumESD_lEEEE10hipError_tPvRmT1_T2_T3_mT4_P12ihipStream_tbEUlT_E0_NS1_11comp_targetILNS1_3genE4ELNS1_11target_archE910ELNS1_3gpuE8ELNS1_3repE0EEENS1_30default_config_static_selectorELNS0_4arch9wavefront6targetE1EEEvSM_.private_seg_size, 0
	.set _ZN7rocprim17ROCPRIM_400000_NS6detail17trampoline_kernelINS0_14default_configENS1_22reduce_config_selectorIbEEZNS1_11reduce_implILb1ES3_N6hipcub16HIPCUB_304000_NS22TransformInputIteratorIb7NonZeroIsEPslEEPllNS8_6detail34convert_binary_result_type_wrapperINS8_3SumESD_lEEEE10hipError_tPvRmT1_T2_T3_mT4_P12ihipStream_tbEUlT_E0_NS1_11comp_targetILNS1_3genE4ELNS1_11target_archE910ELNS1_3gpuE8ELNS1_3repE0EEENS1_30default_config_static_selectorELNS0_4arch9wavefront6targetE1EEEvSM_.uses_vcc, 0
	.set _ZN7rocprim17ROCPRIM_400000_NS6detail17trampoline_kernelINS0_14default_configENS1_22reduce_config_selectorIbEEZNS1_11reduce_implILb1ES3_N6hipcub16HIPCUB_304000_NS22TransformInputIteratorIb7NonZeroIsEPslEEPllNS8_6detail34convert_binary_result_type_wrapperINS8_3SumESD_lEEEE10hipError_tPvRmT1_T2_T3_mT4_P12ihipStream_tbEUlT_E0_NS1_11comp_targetILNS1_3genE4ELNS1_11target_archE910ELNS1_3gpuE8ELNS1_3repE0EEENS1_30default_config_static_selectorELNS0_4arch9wavefront6targetE1EEEvSM_.uses_flat_scratch, 0
	.set _ZN7rocprim17ROCPRIM_400000_NS6detail17trampoline_kernelINS0_14default_configENS1_22reduce_config_selectorIbEEZNS1_11reduce_implILb1ES3_N6hipcub16HIPCUB_304000_NS22TransformInputIteratorIb7NonZeroIsEPslEEPllNS8_6detail34convert_binary_result_type_wrapperINS8_3SumESD_lEEEE10hipError_tPvRmT1_T2_T3_mT4_P12ihipStream_tbEUlT_E0_NS1_11comp_targetILNS1_3genE4ELNS1_11target_archE910ELNS1_3gpuE8ELNS1_3repE0EEENS1_30default_config_static_selectorELNS0_4arch9wavefront6targetE1EEEvSM_.has_dyn_sized_stack, 0
	.set _ZN7rocprim17ROCPRIM_400000_NS6detail17trampoline_kernelINS0_14default_configENS1_22reduce_config_selectorIbEEZNS1_11reduce_implILb1ES3_N6hipcub16HIPCUB_304000_NS22TransformInputIteratorIb7NonZeroIsEPslEEPllNS8_6detail34convert_binary_result_type_wrapperINS8_3SumESD_lEEEE10hipError_tPvRmT1_T2_T3_mT4_P12ihipStream_tbEUlT_E0_NS1_11comp_targetILNS1_3genE4ELNS1_11target_archE910ELNS1_3gpuE8ELNS1_3repE0EEENS1_30default_config_static_selectorELNS0_4arch9wavefront6targetE1EEEvSM_.has_recursion, 0
	.set _ZN7rocprim17ROCPRIM_400000_NS6detail17trampoline_kernelINS0_14default_configENS1_22reduce_config_selectorIbEEZNS1_11reduce_implILb1ES3_N6hipcub16HIPCUB_304000_NS22TransformInputIteratorIb7NonZeroIsEPslEEPllNS8_6detail34convert_binary_result_type_wrapperINS8_3SumESD_lEEEE10hipError_tPvRmT1_T2_T3_mT4_P12ihipStream_tbEUlT_E0_NS1_11comp_targetILNS1_3genE4ELNS1_11target_archE910ELNS1_3gpuE8ELNS1_3repE0EEENS1_30default_config_static_selectorELNS0_4arch9wavefront6targetE1EEEvSM_.has_indirect_call, 0
	.section	.AMDGPU.csdata,"",@progbits
; Kernel info:
; codeLenInByte = 0
; TotalNumSgprs: 4
; NumVgprs: 0
; ScratchSize: 0
; MemoryBound: 0
; FloatMode: 240
; IeeeMode: 1
; LDSByteSize: 0 bytes/workgroup (compile time only)
; SGPRBlocks: 0
; VGPRBlocks: 0
; NumSGPRsForWavesPerEU: 4
; NumVGPRsForWavesPerEU: 1
; Occupancy: 10
; WaveLimiterHint : 0
; COMPUTE_PGM_RSRC2:SCRATCH_EN: 0
; COMPUTE_PGM_RSRC2:USER_SGPR: 6
; COMPUTE_PGM_RSRC2:TRAP_HANDLER: 0
; COMPUTE_PGM_RSRC2:TGID_X_EN: 1
; COMPUTE_PGM_RSRC2:TGID_Y_EN: 0
; COMPUTE_PGM_RSRC2:TGID_Z_EN: 0
; COMPUTE_PGM_RSRC2:TIDIG_COMP_CNT: 0
	.section	.text._ZN7rocprim17ROCPRIM_400000_NS6detail17trampoline_kernelINS0_14default_configENS1_22reduce_config_selectorIbEEZNS1_11reduce_implILb1ES3_N6hipcub16HIPCUB_304000_NS22TransformInputIteratorIb7NonZeroIsEPslEEPllNS8_6detail34convert_binary_result_type_wrapperINS8_3SumESD_lEEEE10hipError_tPvRmT1_T2_T3_mT4_P12ihipStream_tbEUlT_E0_NS1_11comp_targetILNS1_3genE3ELNS1_11target_archE908ELNS1_3gpuE7ELNS1_3repE0EEENS1_30default_config_static_selectorELNS0_4arch9wavefront6targetE1EEEvSM_,"axG",@progbits,_ZN7rocprim17ROCPRIM_400000_NS6detail17trampoline_kernelINS0_14default_configENS1_22reduce_config_selectorIbEEZNS1_11reduce_implILb1ES3_N6hipcub16HIPCUB_304000_NS22TransformInputIteratorIb7NonZeroIsEPslEEPllNS8_6detail34convert_binary_result_type_wrapperINS8_3SumESD_lEEEE10hipError_tPvRmT1_T2_T3_mT4_P12ihipStream_tbEUlT_E0_NS1_11comp_targetILNS1_3genE3ELNS1_11target_archE908ELNS1_3gpuE7ELNS1_3repE0EEENS1_30default_config_static_selectorELNS0_4arch9wavefront6targetE1EEEvSM_,comdat
	.protected	_ZN7rocprim17ROCPRIM_400000_NS6detail17trampoline_kernelINS0_14default_configENS1_22reduce_config_selectorIbEEZNS1_11reduce_implILb1ES3_N6hipcub16HIPCUB_304000_NS22TransformInputIteratorIb7NonZeroIsEPslEEPllNS8_6detail34convert_binary_result_type_wrapperINS8_3SumESD_lEEEE10hipError_tPvRmT1_T2_T3_mT4_P12ihipStream_tbEUlT_E0_NS1_11comp_targetILNS1_3genE3ELNS1_11target_archE908ELNS1_3gpuE7ELNS1_3repE0EEENS1_30default_config_static_selectorELNS0_4arch9wavefront6targetE1EEEvSM_ ; -- Begin function _ZN7rocprim17ROCPRIM_400000_NS6detail17trampoline_kernelINS0_14default_configENS1_22reduce_config_selectorIbEEZNS1_11reduce_implILb1ES3_N6hipcub16HIPCUB_304000_NS22TransformInputIteratorIb7NonZeroIsEPslEEPllNS8_6detail34convert_binary_result_type_wrapperINS8_3SumESD_lEEEE10hipError_tPvRmT1_T2_T3_mT4_P12ihipStream_tbEUlT_E0_NS1_11comp_targetILNS1_3genE3ELNS1_11target_archE908ELNS1_3gpuE7ELNS1_3repE0EEENS1_30default_config_static_selectorELNS0_4arch9wavefront6targetE1EEEvSM_
	.globl	_ZN7rocprim17ROCPRIM_400000_NS6detail17trampoline_kernelINS0_14default_configENS1_22reduce_config_selectorIbEEZNS1_11reduce_implILb1ES3_N6hipcub16HIPCUB_304000_NS22TransformInputIteratorIb7NonZeroIsEPslEEPllNS8_6detail34convert_binary_result_type_wrapperINS8_3SumESD_lEEEE10hipError_tPvRmT1_T2_T3_mT4_P12ihipStream_tbEUlT_E0_NS1_11comp_targetILNS1_3genE3ELNS1_11target_archE908ELNS1_3gpuE7ELNS1_3repE0EEENS1_30default_config_static_selectorELNS0_4arch9wavefront6targetE1EEEvSM_
	.p2align	8
	.type	_ZN7rocprim17ROCPRIM_400000_NS6detail17trampoline_kernelINS0_14default_configENS1_22reduce_config_selectorIbEEZNS1_11reduce_implILb1ES3_N6hipcub16HIPCUB_304000_NS22TransformInputIteratorIb7NonZeroIsEPslEEPllNS8_6detail34convert_binary_result_type_wrapperINS8_3SumESD_lEEEE10hipError_tPvRmT1_T2_T3_mT4_P12ihipStream_tbEUlT_E0_NS1_11comp_targetILNS1_3genE3ELNS1_11target_archE908ELNS1_3gpuE7ELNS1_3repE0EEENS1_30default_config_static_selectorELNS0_4arch9wavefront6targetE1EEEvSM_,@function
_ZN7rocprim17ROCPRIM_400000_NS6detail17trampoline_kernelINS0_14default_configENS1_22reduce_config_selectorIbEEZNS1_11reduce_implILb1ES3_N6hipcub16HIPCUB_304000_NS22TransformInputIteratorIb7NonZeroIsEPslEEPllNS8_6detail34convert_binary_result_type_wrapperINS8_3SumESD_lEEEE10hipError_tPvRmT1_T2_T3_mT4_P12ihipStream_tbEUlT_E0_NS1_11comp_targetILNS1_3genE3ELNS1_11target_archE908ELNS1_3gpuE7ELNS1_3repE0EEENS1_30default_config_static_selectorELNS0_4arch9wavefront6targetE1EEEvSM_: ; @_ZN7rocprim17ROCPRIM_400000_NS6detail17trampoline_kernelINS0_14default_configENS1_22reduce_config_selectorIbEEZNS1_11reduce_implILb1ES3_N6hipcub16HIPCUB_304000_NS22TransformInputIteratorIb7NonZeroIsEPslEEPllNS8_6detail34convert_binary_result_type_wrapperINS8_3SumESD_lEEEE10hipError_tPvRmT1_T2_T3_mT4_P12ihipStream_tbEUlT_E0_NS1_11comp_targetILNS1_3genE3ELNS1_11target_archE908ELNS1_3gpuE7ELNS1_3repE0EEENS1_30default_config_static_selectorELNS0_4arch9wavefront6targetE1EEEvSM_
; %bb.0:
	.section	.rodata,"a",@progbits
	.p2align	6, 0x0
	.amdhsa_kernel _ZN7rocprim17ROCPRIM_400000_NS6detail17trampoline_kernelINS0_14default_configENS1_22reduce_config_selectorIbEEZNS1_11reduce_implILb1ES3_N6hipcub16HIPCUB_304000_NS22TransformInputIteratorIb7NonZeroIsEPslEEPllNS8_6detail34convert_binary_result_type_wrapperINS8_3SumESD_lEEEE10hipError_tPvRmT1_T2_T3_mT4_P12ihipStream_tbEUlT_E0_NS1_11comp_targetILNS1_3genE3ELNS1_11target_archE908ELNS1_3gpuE7ELNS1_3repE0EEENS1_30default_config_static_selectorELNS0_4arch9wavefront6targetE1EEEvSM_
		.amdhsa_group_segment_fixed_size 0
		.amdhsa_private_segment_fixed_size 0
		.amdhsa_kernarg_size 72
		.amdhsa_user_sgpr_count 6
		.amdhsa_user_sgpr_private_segment_buffer 1
		.amdhsa_user_sgpr_dispatch_ptr 0
		.amdhsa_user_sgpr_queue_ptr 0
		.amdhsa_user_sgpr_kernarg_segment_ptr 1
		.amdhsa_user_sgpr_dispatch_id 0
		.amdhsa_user_sgpr_flat_scratch_init 0
		.amdhsa_user_sgpr_private_segment_size 0
		.amdhsa_uses_dynamic_stack 0
		.amdhsa_system_sgpr_private_segment_wavefront_offset 0
		.amdhsa_system_sgpr_workgroup_id_x 1
		.amdhsa_system_sgpr_workgroup_id_y 0
		.amdhsa_system_sgpr_workgroup_id_z 0
		.amdhsa_system_sgpr_workgroup_info 0
		.amdhsa_system_vgpr_workitem_id 0
		.amdhsa_next_free_vgpr 1
		.amdhsa_next_free_sgpr 0
		.amdhsa_reserve_vcc 0
		.amdhsa_reserve_flat_scratch 0
		.amdhsa_float_round_mode_32 0
		.amdhsa_float_round_mode_16_64 0
		.amdhsa_float_denorm_mode_32 3
		.amdhsa_float_denorm_mode_16_64 3
		.amdhsa_dx10_clamp 1
		.amdhsa_ieee_mode 1
		.amdhsa_fp16_overflow 0
		.amdhsa_exception_fp_ieee_invalid_op 0
		.amdhsa_exception_fp_denorm_src 0
		.amdhsa_exception_fp_ieee_div_zero 0
		.amdhsa_exception_fp_ieee_overflow 0
		.amdhsa_exception_fp_ieee_underflow 0
		.amdhsa_exception_fp_ieee_inexact 0
		.amdhsa_exception_int_div_zero 0
	.end_amdhsa_kernel
	.section	.text._ZN7rocprim17ROCPRIM_400000_NS6detail17trampoline_kernelINS0_14default_configENS1_22reduce_config_selectorIbEEZNS1_11reduce_implILb1ES3_N6hipcub16HIPCUB_304000_NS22TransformInputIteratorIb7NonZeroIsEPslEEPllNS8_6detail34convert_binary_result_type_wrapperINS8_3SumESD_lEEEE10hipError_tPvRmT1_T2_T3_mT4_P12ihipStream_tbEUlT_E0_NS1_11comp_targetILNS1_3genE3ELNS1_11target_archE908ELNS1_3gpuE7ELNS1_3repE0EEENS1_30default_config_static_selectorELNS0_4arch9wavefront6targetE1EEEvSM_,"axG",@progbits,_ZN7rocprim17ROCPRIM_400000_NS6detail17trampoline_kernelINS0_14default_configENS1_22reduce_config_selectorIbEEZNS1_11reduce_implILb1ES3_N6hipcub16HIPCUB_304000_NS22TransformInputIteratorIb7NonZeroIsEPslEEPllNS8_6detail34convert_binary_result_type_wrapperINS8_3SumESD_lEEEE10hipError_tPvRmT1_T2_T3_mT4_P12ihipStream_tbEUlT_E0_NS1_11comp_targetILNS1_3genE3ELNS1_11target_archE908ELNS1_3gpuE7ELNS1_3repE0EEENS1_30default_config_static_selectorELNS0_4arch9wavefront6targetE1EEEvSM_,comdat
.Lfunc_end102:
	.size	_ZN7rocprim17ROCPRIM_400000_NS6detail17trampoline_kernelINS0_14default_configENS1_22reduce_config_selectorIbEEZNS1_11reduce_implILb1ES3_N6hipcub16HIPCUB_304000_NS22TransformInputIteratorIb7NonZeroIsEPslEEPllNS8_6detail34convert_binary_result_type_wrapperINS8_3SumESD_lEEEE10hipError_tPvRmT1_T2_T3_mT4_P12ihipStream_tbEUlT_E0_NS1_11comp_targetILNS1_3genE3ELNS1_11target_archE908ELNS1_3gpuE7ELNS1_3repE0EEENS1_30default_config_static_selectorELNS0_4arch9wavefront6targetE1EEEvSM_, .Lfunc_end102-_ZN7rocprim17ROCPRIM_400000_NS6detail17trampoline_kernelINS0_14default_configENS1_22reduce_config_selectorIbEEZNS1_11reduce_implILb1ES3_N6hipcub16HIPCUB_304000_NS22TransformInputIteratorIb7NonZeroIsEPslEEPllNS8_6detail34convert_binary_result_type_wrapperINS8_3SumESD_lEEEE10hipError_tPvRmT1_T2_T3_mT4_P12ihipStream_tbEUlT_E0_NS1_11comp_targetILNS1_3genE3ELNS1_11target_archE908ELNS1_3gpuE7ELNS1_3repE0EEENS1_30default_config_static_selectorELNS0_4arch9wavefront6targetE1EEEvSM_
                                        ; -- End function
	.set _ZN7rocprim17ROCPRIM_400000_NS6detail17trampoline_kernelINS0_14default_configENS1_22reduce_config_selectorIbEEZNS1_11reduce_implILb1ES3_N6hipcub16HIPCUB_304000_NS22TransformInputIteratorIb7NonZeroIsEPslEEPllNS8_6detail34convert_binary_result_type_wrapperINS8_3SumESD_lEEEE10hipError_tPvRmT1_T2_T3_mT4_P12ihipStream_tbEUlT_E0_NS1_11comp_targetILNS1_3genE3ELNS1_11target_archE908ELNS1_3gpuE7ELNS1_3repE0EEENS1_30default_config_static_selectorELNS0_4arch9wavefront6targetE1EEEvSM_.num_vgpr, 0
	.set _ZN7rocprim17ROCPRIM_400000_NS6detail17trampoline_kernelINS0_14default_configENS1_22reduce_config_selectorIbEEZNS1_11reduce_implILb1ES3_N6hipcub16HIPCUB_304000_NS22TransformInputIteratorIb7NonZeroIsEPslEEPllNS8_6detail34convert_binary_result_type_wrapperINS8_3SumESD_lEEEE10hipError_tPvRmT1_T2_T3_mT4_P12ihipStream_tbEUlT_E0_NS1_11comp_targetILNS1_3genE3ELNS1_11target_archE908ELNS1_3gpuE7ELNS1_3repE0EEENS1_30default_config_static_selectorELNS0_4arch9wavefront6targetE1EEEvSM_.num_agpr, 0
	.set _ZN7rocprim17ROCPRIM_400000_NS6detail17trampoline_kernelINS0_14default_configENS1_22reduce_config_selectorIbEEZNS1_11reduce_implILb1ES3_N6hipcub16HIPCUB_304000_NS22TransformInputIteratorIb7NonZeroIsEPslEEPllNS8_6detail34convert_binary_result_type_wrapperINS8_3SumESD_lEEEE10hipError_tPvRmT1_T2_T3_mT4_P12ihipStream_tbEUlT_E0_NS1_11comp_targetILNS1_3genE3ELNS1_11target_archE908ELNS1_3gpuE7ELNS1_3repE0EEENS1_30default_config_static_selectorELNS0_4arch9wavefront6targetE1EEEvSM_.numbered_sgpr, 0
	.set _ZN7rocprim17ROCPRIM_400000_NS6detail17trampoline_kernelINS0_14default_configENS1_22reduce_config_selectorIbEEZNS1_11reduce_implILb1ES3_N6hipcub16HIPCUB_304000_NS22TransformInputIteratorIb7NonZeroIsEPslEEPllNS8_6detail34convert_binary_result_type_wrapperINS8_3SumESD_lEEEE10hipError_tPvRmT1_T2_T3_mT4_P12ihipStream_tbEUlT_E0_NS1_11comp_targetILNS1_3genE3ELNS1_11target_archE908ELNS1_3gpuE7ELNS1_3repE0EEENS1_30default_config_static_selectorELNS0_4arch9wavefront6targetE1EEEvSM_.num_named_barrier, 0
	.set _ZN7rocprim17ROCPRIM_400000_NS6detail17trampoline_kernelINS0_14default_configENS1_22reduce_config_selectorIbEEZNS1_11reduce_implILb1ES3_N6hipcub16HIPCUB_304000_NS22TransformInputIteratorIb7NonZeroIsEPslEEPllNS8_6detail34convert_binary_result_type_wrapperINS8_3SumESD_lEEEE10hipError_tPvRmT1_T2_T3_mT4_P12ihipStream_tbEUlT_E0_NS1_11comp_targetILNS1_3genE3ELNS1_11target_archE908ELNS1_3gpuE7ELNS1_3repE0EEENS1_30default_config_static_selectorELNS0_4arch9wavefront6targetE1EEEvSM_.private_seg_size, 0
	.set _ZN7rocprim17ROCPRIM_400000_NS6detail17trampoline_kernelINS0_14default_configENS1_22reduce_config_selectorIbEEZNS1_11reduce_implILb1ES3_N6hipcub16HIPCUB_304000_NS22TransformInputIteratorIb7NonZeroIsEPslEEPllNS8_6detail34convert_binary_result_type_wrapperINS8_3SumESD_lEEEE10hipError_tPvRmT1_T2_T3_mT4_P12ihipStream_tbEUlT_E0_NS1_11comp_targetILNS1_3genE3ELNS1_11target_archE908ELNS1_3gpuE7ELNS1_3repE0EEENS1_30default_config_static_selectorELNS0_4arch9wavefront6targetE1EEEvSM_.uses_vcc, 0
	.set _ZN7rocprim17ROCPRIM_400000_NS6detail17trampoline_kernelINS0_14default_configENS1_22reduce_config_selectorIbEEZNS1_11reduce_implILb1ES3_N6hipcub16HIPCUB_304000_NS22TransformInputIteratorIb7NonZeroIsEPslEEPllNS8_6detail34convert_binary_result_type_wrapperINS8_3SumESD_lEEEE10hipError_tPvRmT1_T2_T3_mT4_P12ihipStream_tbEUlT_E0_NS1_11comp_targetILNS1_3genE3ELNS1_11target_archE908ELNS1_3gpuE7ELNS1_3repE0EEENS1_30default_config_static_selectorELNS0_4arch9wavefront6targetE1EEEvSM_.uses_flat_scratch, 0
	.set _ZN7rocprim17ROCPRIM_400000_NS6detail17trampoline_kernelINS0_14default_configENS1_22reduce_config_selectorIbEEZNS1_11reduce_implILb1ES3_N6hipcub16HIPCUB_304000_NS22TransformInputIteratorIb7NonZeroIsEPslEEPllNS8_6detail34convert_binary_result_type_wrapperINS8_3SumESD_lEEEE10hipError_tPvRmT1_T2_T3_mT4_P12ihipStream_tbEUlT_E0_NS1_11comp_targetILNS1_3genE3ELNS1_11target_archE908ELNS1_3gpuE7ELNS1_3repE0EEENS1_30default_config_static_selectorELNS0_4arch9wavefront6targetE1EEEvSM_.has_dyn_sized_stack, 0
	.set _ZN7rocprim17ROCPRIM_400000_NS6detail17trampoline_kernelINS0_14default_configENS1_22reduce_config_selectorIbEEZNS1_11reduce_implILb1ES3_N6hipcub16HIPCUB_304000_NS22TransformInputIteratorIb7NonZeroIsEPslEEPllNS8_6detail34convert_binary_result_type_wrapperINS8_3SumESD_lEEEE10hipError_tPvRmT1_T2_T3_mT4_P12ihipStream_tbEUlT_E0_NS1_11comp_targetILNS1_3genE3ELNS1_11target_archE908ELNS1_3gpuE7ELNS1_3repE0EEENS1_30default_config_static_selectorELNS0_4arch9wavefront6targetE1EEEvSM_.has_recursion, 0
	.set _ZN7rocprim17ROCPRIM_400000_NS6detail17trampoline_kernelINS0_14default_configENS1_22reduce_config_selectorIbEEZNS1_11reduce_implILb1ES3_N6hipcub16HIPCUB_304000_NS22TransformInputIteratorIb7NonZeroIsEPslEEPllNS8_6detail34convert_binary_result_type_wrapperINS8_3SumESD_lEEEE10hipError_tPvRmT1_T2_T3_mT4_P12ihipStream_tbEUlT_E0_NS1_11comp_targetILNS1_3genE3ELNS1_11target_archE908ELNS1_3gpuE7ELNS1_3repE0EEENS1_30default_config_static_selectorELNS0_4arch9wavefront6targetE1EEEvSM_.has_indirect_call, 0
	.section	.AMDGPU.csdata,"",@progbits
; Kernel info:
; codeLenInByte = 0
; TotalNumSgprs: 4
; NumVgprs: 0
; ScratchSize: 0
; MemoryBound: 0
; FloatMode: 240
; IeeeMode: 1
; LDSByteSize: 0 bytes/workgroup (compile time only)
; SGPRBlocks: 0
; VGPRBlocks: 0
; NumSGPRsForWavesPerEU: 4
; NumVGPRsForWavesPerEU: 1
; Occupancy: 10
; WaveLimiterHint : 0
; COMPUTE_PGM_RSRC2:SCRATCH_EN: 0
; COMPUTE_PGM_RSRC2:USER_SGPR: 6
; COMPUTE_PGM_RSRC2:TRAP_HANDLER: 0
; COMPUTE_PGM_RSRC2:TGID_X_EN: 1
; COMPUTE_PGM_RSRC2:TGID_Y_EN: 0
; COMPUTE_PGM_RSRC2:TGID_Z_EN: 0
; COMPUTE_PGM_RSRC2:TIDIG_COMP_CNT: 0
	.section	.text._ZN7rocprim17ROCPRIM_400000_NS6detail17trampoline_kernelINS0_14default_configENS1_22reduce_config_selectorIbEEZNS1_11reduce_implILb1ES3_N6hipcub16HIPCUB_304000_NS22TransformInputIteratorIb7NonZeroIsEPslEEPllNS8_6detail34convert_binary_result_type_wrapperINS8_3SumESD_lEEEE10hipError_tPvRmT1_T2_T3_mT4_P12ihipStream_tbEUlT_E0_NS1_11comp_targetILNS1_3genE2ELNS1_11target_archE906ELNS1_3gpuE6ELNS1_3repE0EEENS1_30default_config_static_selectorELNS0_4arch9wavefront6targetE1EEEvSM_,"axG",@progbits,_ZN7rocprim17ROCPRIM_400000_NS6detail17trampoline_kernelINS0_14default_configENS1_22reduce_config_selectorIbEEZNS1_11reduce_implILb1ES3_N6hipcub16HIPCUB_304000_NS22TransformInputIteratorIb7NonZeroIsEPslEEPllNS8_6detail34convert_binary_result_type_wrapperINS8_3SumESD_lEEEE10hipError_tPvRmT1_T2_T3_mT4_P12ihipStream_tbEUlT_E0_NS1_11comp_targetILNS1_3genE2ELNS1_11target_archE906ELNS1_3gpuE6ELNS1_3repE0EEENS1_30default_config_static_selectorELNS0_4arch9wavefront6targetE1EEEvSM_,comdat
	.protected	_ZN7rocprim17ROCPRIM_400000_NS6detail17trampoline_kernelINS0_14default_configENS1_22reduce_config_selectorIbEEZNS1_11reduce_implILb1ES3_N6hipcub16HIPCUB_304000_NS22TransformInputIteratorIb7NonZeroIsEPslEEPllNS8_6detail34convert_binary_result_type_wrapperINS8_3SumESD_lEEEE10hipError_tPvRmT1_T2_T3_mT4_P12ihipStream_tbEUlT_E0_NS1_11comp_targetILNS1_3genE2ELNS1_11target_archE906ELNS1_3gpuE6ELNS1_3repE0EEENS1_30default_config_static_selectorELNS0_4arch9wavefront6targetE1EEEvSM_ ; -- Begin function _ZN7rocprim17ROCPRIM_400000_NS6detail17trampoline_kernelINS0_14default_configENS1_22reduce_config_selectorIbEEZNS1_11reduce_implILb1ES3_N6hipcub16HIPCUB_304000_NS22TransformInputIteratorIb7NonZeroIsEPslEEPllNS8_6detail34convert_binary_result_type_wrapperINS8_3SumESD_lEEEE10hipError_tPvRmT1_T2_T3_mT4_P12ihipStream_tbEUlT_E0_NS1_11comp_targetILNS1_3genE2ELNS1_11target_archE906ELNS1_3gpuE6ELNS1_3repE0EEENS1_30default_config_static_selectorELNS0_4arch9wavefront6targetE1EEEvSM_
	.globl	_ZN7rocprim17ROCPRIM_400000_NS6detail17trampoline_kernelINS0_14default_configENS1_22reduce_config_selectorIbEEZNS1_11reduce_implILb1ES3_N6hipcub16HIPCUB_304000_NS22TransformInputIteratorIb7NonZeroIsEPslEEPllNS8_6detail34convert_binary_result_type_wrapperINS8_3SumESD_lEEEE10hipError_tPvRmT1_T2_T3_mT4_P12ihipStream_tbEUlT_E0_NS1_11comp_targetILNS1_3genE2ELNS1_11target_archE906ELNS1_3gpuE6ELNS1_3repE0EEENS1_30default_config_static_selectorELNS0_4arch9wavefront6targetE1EEEvSM_
	.p2align	8
	.type	_ZN7rocprim17ROCPRIM_400000_NS6detail17trampoline_kernelINS0_14default_configENS1_22reduce_config_selectorIbEEZNS1_11reduce_implILb1ES3_N6hipcub16HIPCUB_304000_NS22TransformInputIteratorIb7NonZeroIsEPslEEPllNS8_6detail34convert_binary_result_type_wrapperINS8_3SumESD_lEEEE10hipError_tPvRmT1_T2_T3_mT4_P12ihipStream_tbEUlT_E0_NS1_11comp_targetILNS1_3genE2ELNS1_11target_archE906ELNS1_3gpuE6ELNS1_3repE0EEENS1_30default_config_static_selectorELNS0_4arch9wavefront6targetE1EEEvSM_,@function
_ZN7rocprim17ROCPRIM_400000_NS6detail17trampoline_kernelINS0_14default_configENS1_22reduce_config_selectorIbEEZNS1_11reduce_implILb1ES3_N6hipcub16HIPCUB_304000_NS22TransformInputIteratorIb7NonZeroIsEPslEEPllNS8_6detail34convert_binary_result_type_wrapperINS8_3SumESD_lEEEE10hipError_tPvRmT1_T2_T3_mT4_P12ihipStream_tbEUlT_E0_NS1_11comp_targetILNS1_3genE2ELNS1_11target_archE906ELNS1_3gpuE6ELNS1_3repE0EEENS1_30default_config_static_selectorELNS0_4arch9wavefront6targetE1EEEvSM_: ; @_ZN7rocprim17ROCPRIM_400000_NS6detail17trampoline_kernelINS0_14default_configENS1_22reduce_config_selectorIbEEZNS1_11reduce_implILb1ES3_N6hipcub16HIPCUB_304000_NS22TransformInputIteratorIb7NonZeroIsEPslEEPllNS8_6detail34convert_binary_result_type_wrapperINS8_3SumESD_lEEEE10hipError_tPvRmT1_T2_T3_mT4_P12ihipStream_tbEUlT_E0_NS1_11comp_targetILNS1_3genE2ELNS1_11target_archE906ELNS1_3gpuE6ELNS1_3repE0EEENS1_30default_config_static_selectorELNS0_4arch9wavefront6targetE1EEEvSM_
; %bb.0:
	s_load_dwordx8 s[8:15], s[4:5], 0x10
	s_load_dwordx2 s[16:17], s[4:5], 0x0
	s_load_dwordx4 s[0:3], s[4:5], 0x30
	v_lshlrev_b32_e32 v34, 1, v0
	v_mbcnt_lo_u32_b32 v33, -1, 0
	s_waitcnt lgkmcnt(0)
	s_lshl_b64 s[4:5], s[8:9], 1
	s_add_u32 s18, s16, s4
	s_addc_u32 s19, s17, s5
	s_lshl_b32 s8, s6, 11
	s_mov_b32 s9, 0
	s_lshr_b64 s[16:17], s[10:11], 11
	s_lshl_b64 s[4:5], s[8:9], 1
	s_add_u32 s4, s18, s4
	s_mov_b32 s7, s9
	s_addc_u32 s5, s19, s5
	s_cmp_lg_u64 s[16:17], s[6:7]
	s_cbranch_scc0 .LBB103_6
; %bb.1:
	global_load_ushort v1, v34, s[4:5] offset:768
	global_load_ushort v2, v34, s[4:5] offset:1024
	;; [unrolled: 1-line block ×14, first 2 shown]
	global_load_ushort v15, v34, s[4:5]
	global_load_ushort v16, v34, s[4:5] offset:512
	v_mov_b32_e32 v17, 0
	s_waitcnt vmcnt(15)
	v_cmp_ne_u16_e32 vcc, 0, v1
	v_cndmask_b32_e64 v1, 0, 1, vcc
	s_waitcnt vmcnt(14)
	v_cmp_ne_u16_e32 vcc, 0, v2
	v_cndmask_b32_e64 v2, 0, 1, vcc
	s_waitcnt vmcnt(13)
	v_cmp_ne_u16_e32 vcc, 0, v3
	v_cndmask_b32_e64 v3, 0, 1, vcc
	s_waitcnt vmcnt(12)
	v_cmp_ne_u16_e32 vcc, 0, v4
	v_cndmask_b32_e64 v4, 0, 1, vcc
	s_waitcnt vmcnt(11)
	v_cmp_ne_u16_e32 vcc, 0, v5
	v_cndmask_b32_e64 v5, 0, 1, vcc
	s_waitcnt vmcnt(10)
	v_cmp_ne_u16_e32 vcc, 0, v6
	v_cndmask_b32_e64 v6, 0, 1, vcc
	s_waitcnt vmcnt(9)
	v_cmp_ne_u16_e32 vcc, 0, v7
	v_cndmask_b32_e64 v7, 0, 1, vcc
	s_waitcnt vmcnt(8)
	v_cmp_ne_u16_e32 vcc, 0, v8
	v_cndmask_b32_e64 v8, 0, 1, vcc
	s_waitcnt vmcnt(7)
	v_cmp_ne_u16_e32 vcc, 0, v9
	v_cndmask_b32_e64 v9, 0, 1, vcc
	s_waitcnt vmcnt(6)
	v_cmp_ne_u16_e32 vcc, 0, v10
	v_cndmask_b32_e64 v10, 0, 1, vcc
	s_waitcnt vmcnt(5)
	v_cmp_ne_u16_e32 vcc, 0, v11
	v_cndmask_b32_e64 v11, 0, 1, vcc
	s_waitcnt vmcnt(4)
	v_cmp_ne_u16_e32 vcc, 0, v12
	v_cndmask_b32_e64 v12, 0, 1, vcc
	s_waitcnt vmcnt(3)
	v_cmp_ne_u16_e32 vcc, 0, v13
	v_cndmask_b32_e64 v13, 0, 1, vcc
	s_waitcnt vmcnt(2)
	v_cmp_ne_u16_e32 vcc, 0, v14
	v_cndmask_b32_e64 v14, 0, 1, vcc
	s_waitcnt vmcnt(1)
	v_cmp_ne_u16_e32 vcc, 0, v15
	v_cndmask_b32_e64 v15, 0, 1, vcc
	s_waitcnt vmcnt(0)
	v_cmp_ne_u16_e32 vcc, 0, v16
	v_addc_co_u32_e32 v14, vcc, v14, v15, vcc
	v_add_co_u32_e32 v1, vcc, v14, v1
	v_addc_co_u32_e64 v14, s[16:17], 0, 0, vcc
	v_add_co_u32_e32 v1, vcc, v1, v2
	v_addc_co_u32_e32 v2, vcc, 0, v14, vcc
	v_add_co_u32_e32 v1, vcc, v1, v3
	v_addc_co_u32_e32 v2, vcc, 0, v2, vcc
	;; [unrolled: 2-line block ×12, first 2 shown]
	s_nop 0
	v_mov_b32_dpp v4, v1 quad_perm:[1,0,3,2] row_mask:0xf bank_mask:0xf bound_ctrl:1
	v_add_co_u32_e32 v1, vcc, v1, v4
	v_addc_co_u32_e32 v2, vcc, 0, v2, vcc
	v_mov_b32_dpp v5, v17 quad_perm:[1,0,3,2] row_mask:0xf bank_mask:0xf bound_ctrl:1
	v_add_co_u32_e32 v4, vcc, 0, v1
	v_addc_co_u32_e32 v2, vcc, v5, v2, vcc
	v_mov_b32_dpp v1, v1 quad_perm:[2,3,0,1] row_mask:0xf bank_mask:0xf bound_ctrl:1
	v_add_co_u32_e32 v1, vcc, v4, v1
	v_mov_b32_dpp v5, v2 quad_perm:[2,3,0,1] row_mask:0xf bank_mask:0xf bound_ctrl:1
	v_addc_co_u32_e32 v2, vcc, 0, v2, vcc
	v_add_co_u32_e32 v4, vcc, 0, v1
	v_addc_co_u32_e32 v2, vcc, v2, v5, vcc
	v_mov_b32_dpp v1, v1 row_ror:4 row_mask:0xf bank_mask:0xf bound_ctrl:1
	v_add_co_u32_e32 v1, vcc, v4, v1
	v_mov_b32_dpp v5, v2 row_ror:4 row_mask:0xf bank_mask:0xf bound_ctrl:1
	v_addc_co_u32_e32 v2, vcc, 0, v2, vcc
	v_add_co_u32_e32 v4, vcc, 0, v1
	v_addc_co_u32_e32 v2, vcc, v2, v5, vcc
	v_mov_b32_dpp v1, v1 row_ror:8 row_mask:0xf bank_mask:0xf bound_ctrl:1
	v_add_co_u32_e32 v1, vcc, v4, v1
	v_mov_b32_dpp v5, v2 row_ror:8 row_mask:0xf bank_mask:0xf bound_ctrl:1
	v_addc_co_u32_e32 v2, vcc, 0, v2, vcc
	v_add_co_u32_e32 v4, vcc, 0, v1
	v_addc_co_u32_e32 v2, vcc, v2, v5, vcc
	v_mov_b32_dpp v1, v1 row_bcast:15 row_mask:0xf bank_mask:0xf bound_ctrl:1
	v_add_co_u32_e32 v1, vcc, v4, v1
	v_mov_b32_dpp v5, v2 row_bcast:15 row_mask:0xf bank_mask:0xf bound_ctrl:1
	v_addc_co_u32_e32 v2, vcc, 0, v2, vcc
	v_add_co_u32_e32 v4, vcc, 0, v1
	v_addc_co_u32_e32 v2, vcc, v2, v5, vcc
	v_mov_b32_dpp v1, v1 row_bcast:31 row_mask:0xf bank_mask:0xf bound_ctrl:1
	v_add_co_u32_e32 v1, vcc, v4, v1
	v_mbcnt_hi_u32_b32 v3, -1, v33
	v_addc_co_u32_e32 v4, vcc, 0, v2, vcc
	v_cmp_eq_u32_e32 vcc, 0, v3
	s_nop 0
	v_add_u32_dpp v2, v2, v4 row_bcast:31 row_mask:0xf bank_mask:0xf bound_ctrl:1
	v_lshlrev_b32_e32 v4, 2, v3
	v_or_b32_e32 v5, 0xfc, v4
	ds_bpermute_b32 v1, v5, v1
	ds_bpermute_b32 v2, v5, v2
	s_and_saveexec_b64 s[16:17], vcc
	s_cbranch_execz .LBB103_3
; %bb.2:
	v_lshrrev_b32_e32 v5, 3, v0
	v_and_b32_e32 v5, 8, v5
	s_waitcnt lgkmcnt(0)
	ds_write_b64 v5, v[1:2]
.LBB103_3:
	s_or_b64 exec, exec, s[16:17]
	v_cmp_gt_u32_e32 vcc, 64, v0
	s_waitcnt lgkmcnt(0)
	s_barrier
	s_and_saveexec_b64 s[16:17], vcc
	s_cbranch_execz .LBB103_5
; %bb.4:
	v_and_b32_e32 v1, 1, v3
	v_lshlrev_b32_e32 v1, 3, v1
	ds_read_b64 v[1:2], v1
	v_or_b32_e32 v3, 4, v4
	s_waitcnt lgkmcnt(0)
	ds_bpermute_b32 v4, v3, v1
	ds_bpermute_b32 v3, v3, v2
	s_waitcnt lgkmcnt(1)
	v_add_co_u32_e32 v1, vcc, v1, v4
	v_addc_co_u32_e32 v2, vcc, 0, v2, vcc
	v_add_co_u32_e32 v1, vcc, 0, v1
	s_waitcnt lgkmcnt(0)
	v_addc_co_u32_e32 v2, vcc, v2, v3, vcc
.LBB103_5:
	s_or_b64 exec, exec, s[16:17]
	s_branch .LBB103_54
.LBB103_6:
                                        ; implicit-def: $vgpr1_vgpr2
	s_cbranch_execz .LBB103_54
; %bb.7:
	s_sub_i32 s16, s10, s8
	v_cmp_gt_u32_e32 vcc, s16, v0
                                        ; implicit-def: $vgpr1_vgpr2
	s_and_saveexec_b64 s[8:9], vcc
	s_cbranch_execz .LBB103_9
; %bb.8:
	global_load_ushort v1, v34, s[4:5]
	s_mov_b32 s17, 0
	v_mov_b32_e32 v2, s17
	s_waitcnt vmcnt(0)
	v_cmp_ne_u16_e32 vcc, 0, v1
	v_cndmask_b32_e64 v1, 0, 1, vcc
.LBB103_9:
	s_or_b64 exec, exec, s[8:9]
	v_or_b32_e32 v7, 0x80, v0
	v_mov_b32_e32 v3, 0
	v_mov_b32_e32 v5, 0
	v_mov_b32_e32 v4, 0
	v_mov_b32_e32 v6, 0
	v_cmp_gt_u32_e32 vcc, s16, v7
	s_and_saveexec_b64 s[8:9], vcc
	s_cbranch_execz .LBB103_11
; %bb.10:
	global_load_ushort v5, v34, s[4:5] offset:256
	s_mov_b32 s17, 0
	v_mov_b32_e32 v6, s17
	s_waitcnt vmcnt(0)
	v_cmp_ne_u16_e32 vcc, 0, v5
	v_cndmask_b32_e64 v5, 0, 1, vcc
.LBB103_11:
	s_or_b64 exec, exec, s[8:9]
	v_or_b32_e32 v7, 0x100, v0
	v_cmp_gt_u32_e32 vcc, s16, v7
	s_and_saveexec_b64 s[8:9], vcc
	s_cbranch_execz .LBB103_13
; %bb.12:
	global_load_ushort v3, v34, s[4:5] offset:512
	s_mov_b32 s17, 0
	v_mov_b32_e32 v4, s17
	s_waitcnt vmcnt(0)
	v_cmp_ne_u16_e32 vcc, 0, v3
	v_cndmask_b32_e64 v3, 0, 1, vcc
.LBB103_13:
	s_or_b64 exec, exec, s[8:9]
	v_or_b32_e32 v11, 0x180, v0
	v_mov_b32_e32 v7, 0
	v_mov_b32_e32 v9, 0
	v_mov_b32_e32 v8, 0
	v_mov_b32_e32 v10, 0
	v_cmp_gt_u32_e32 vcc, s16, v11
	s_and_saveexec_b64 s[8:9], vcc
	s_cbranch_execz .LBB103_15
; %bb.14:
	global_load_ushort v9, v34, s[4:5] offset:768
	s_mov_b32 s17, 0
	v_mov_b32_e32 v10, s17
	s_waitcnt vmcnt(0)
	v_cmp_ne_u16_e32 vcc, 0, v9
	v_cndmask_b32_e64 v9, 0, 1, vcc
.LBB103_15:
	s_or_b64 exec, exec, s[8:9]
	v_or_b32_e32 v11, 0x200, v0
	v_cmp_gt_u32_e32 vcc, s16, v11
	s_and_saveexec_b64 s[8:9], vcc
	s_cbranch_execz .LBB103_17
; %bb.16:
	global_load_ushort v7, v34, s[4:5] offset:1024
	s_mov_b32 s17, 0
	v_mov_b32_e32 v8, s17
	s_waitcnt vmcnt(0)
	v_cmp_ne_u16_e32 vcc, 0, v7
	v_cndmask_b32_e64 v7, 0, 1, vcc
.LBB103_17:
	;; [unrolled: 30-line block ×7, first 2 shown]
	s_or_b64 exec, exec, s[8:9]
	v_or_b32_e32 v35, 0x780, v0
	v_mov_b32_e32 v31, 0
	v_mov_b32_e32 v32, 0
	v_cmp_gt_u32_e32 vcc, s16, v35
	s_and_saveexec_b64 s[8:9], vcc
	s_cbranch_execz .LBB103_39
; %bb.38:
	global_load_ushort v31, v34, s[4:5] offset:3840
	s_mov_b32 s4, 0
	v_mov_b32_e32 v32, s4
	s_waitcnt vmcnt(0)
	v_cmp_ne_u16_e32 vcc, 0, v31
	v_cndmask_b32_e64 v31, 0, 1, vcc
.LBB103_39:
	s_or_b64 exec, exec, s[8:9]
	v_add_co_u32_e32 v1, vcc, v5, v1
	v_addc_co_u32_e32 v2, vcc, v6, v2, vcc
	v_add_co_u32_e32 v1, vcc, v1, v3
	v_addc_co_u32_e32 v2, vcc, v2, v4, vcc
	;; [unrolled: 2-line block ×14, first 2 shown]
	v_add_co_u32_e32 v1, vcc, v1, v31
	v_mbcnt_hi_u32_b32 v3, -1, v33
	v_addc_co_u32_e32 v2, vcc, v2, v32, vcc
	v_and_b32_e32 v4, 63, v3
	v_cmp_ne_u32_e32 vcc, 63, v4
	v_addc_co_u32_e32 v6, vcc, 0, v3, vcc
	v_lshlrev_b32_e32 v6, 2, v6
	ds_bpermute_b32 v8, v6, v1
	ds_bpermute_b32 v7, v6, v2
	s_min_u32 s8, s16, 0x80
	v_and_b32_e32 v5, 64, v0
	v_sub_u32_e64 v5, s8, v5 clamp
	v_add_u32_e32 v6, 1, v4
	v_cmp_lt_u32_e32 vcc, v6, v5
	v_mov_b32_e32 v6, v1
	s_and_saveexec_b64 s[4:5], vcc
	s_cbranch_execz .LBB103_41
; %bb.40:
	s_waitcnt lgkmcnt(1)
	v_add_co_u32_e32 v6, vcc, v1, v8
	v_addc_co_u32_e32 v2, vcc, 0, v2, vcc
	v_add_co_u32_e32 v1, vcc, 0, v6
	s_waitcnt lgkmcnt(0)
	v_addc_co_u32_e32 v2, vcc, v7, v2, vcc
.LBB103_41:
	s_or_b64 exec, exec, s[4:5]
	v_cmp_gt_u32_e32 vcc, 62, v4
	s_waitcnt lgkmcnt(0)
	v_cndmask_b32_e64 v7, 0, 2, vcc
	v_add_lshl_u32 v7, v7, v3, 2
	ds_bpermute_b32 v8, v7, v6
	ds_bpermute_b32 v7, v7, v2
	v_add_u32_e32 v9, 2, v4
	v_cmp_lt_u32_e32 vcc, v9, v5
	s_and_saveexec_b64 s[4:5], vcc
	s_cbranch_execz .LBB103_43
; %bb.42:
	s_waitcnt lgkmcnt(1)
	v_add_co_u32_e32 v6, vcc, v1, v8
	v_addc_co_u32_e32 v2, vcc, 0, v2, vcc
	v_add_co_u32_e32 v1, vcc, 0, v6
	s_waitcnt lgkmcnt(0)
	v_addc_co_u32_e32 v2, vcc, v7, v2, vcc
.LBB103_43:
	s_or_b64 exec, exec, s[4:5]
	v_cmp_gt_u32_e32 vcc, 60, v4
	s_waitcnt lgkmcnt(0)
	v_cndmask_b32_e64 v7, 0, 4, vcc
	v_add_lshl_u32 v7, v7, v3, 2
	ds_bpermute_b32 v8, v7, v6
	ds_bpermute_b32 v7, v7, v2
	v_add_u32_e32 v9, 4, v4
	v_cmp_lt_u32_e32 vcc, v9, v5
	;; [unrolled: 19-line block ×4, first 2 shown]
	s_and_saveexec_b64 s[4:5], vcc
	s_cbranch_execz .LBB103_49
; %bb.48:
	s_waitcnt lgkmcnt(1)
	v_add_co_u32_e32 v6, vcc, v1, v8
	v_addc_co_u32_e32 v2, vcc, 0, v2, vcc
	v_add_co_u32_e32 v1, vcc, 0, v6
	s_waitcnt lgkmcnt(0)
	v_addc_co_u32_e32 v2, vcc, v7, v2, vcc
.LBB103_49:
	s_or_b64 exec, exec, s[4:5]
	s_waitcnt lgkmcnt(0)
	v_lshlrev_b32_e32 v7, 2, v3
	v_or_b32_e32 v8, 0x80, v7
	ds_bpermute_b32 v6, v8, v6
	ds_bpermute_b32 v8, v8, v2
	v_add_u32_e32 v4, 32, v4
	s_waitcnt lgkmcnt(1)
	v_add_co_u32_e32 v6, vcc, v1, v6
	v_addc_co_u32_e32 v9, vcc, 0, v2, vcc
	v_add_co_u32_e32 v6, vcc, 0, v6
	s_waitcnt lgkmcnt(0)
	v_addc_co_u32_e32 v8, vcc, v9, v8, vcc
	v_cmp_lt_u32_e32 vcc, v4, v5
	v_cndmask_b32_e32 v2, v2, v8, vcc
	v_cndmask_b32_e32 v1, v1, v6, vcc
	v_cmp_eq_u32_e32 vcc, 0, v3
	s_and_saveexec_b64 s[4:5], vcc
; %bb.50:
	v_lshrrev_b32_e32 v4, 3, v0
	v_and_b32_e32 v4, 8, v4
	ds_write_b64 v4, v[1:2] offset:16
; %bb.51:
	s_or_b64 exec, exec, s[4:5]
	v_cmp_gt_u32_e32 vcc, 2, v0
	s_waitcnt lgkmcnt(0)
	s_barrier
	s_and_saveexec_b64 s[4:5], vcc
	s_cbranch_execz .LBB103_53
; %bb.52:
	v_lshlrev_b32_e32 v1, 3, v3
	ds_read_b64 v[1:2], v1 offset:16
	v_or_b32_e32 v4, 4, v7
	s_add_i32 s8, s8, 63
	v_and_b32_e32 v3, 1, v3
	s_lshr_b32 s8, s8, 6
	s_waitcnt lgkmcnt(0)
	ds_bpermute_b32 v5, v4, v2
	ds_bpermute_b32 v4, v4, v1
	v_add_u32_e32 v3, 1, v3
	v_cmp_gt_u32_e32 vcc, s8, v3
	s_waitcnt lgkmcnt(1)
	v_cndmask_b32_e32 v3, 0, v5, vcc
	s_waitcnt lgkmcnt(0)
	v_cndmask_b32_e32 v4, 0, v4, vcc
	v_add_co_u32_e32 v1, vcc, v4, v1
	v_addc_co_u32_e32 v2, vcc, v3, v2, vcc
.LBB103_53:
	s_or_b64 exec, exec, s[4:5]
.LBB103_54:
	v_cmp_eq_u32_e32 vcc, 0, v0
	s_and_saveexec_b64 s[4:5], vcc
	s_cbranch_execnz .LBB103_56
; %bb.55:
	s_endpgm
.LBB103_56:
	s_mul_i32 s4, s0, s15
	s_mul_hi_u32 s5, s0, s14
	s_add_i32 s4, s5, s4
	s_mul_i32 s1, s1, s14
	s_add_i32 s1, s4, s1
	s_mul_i32 s0, s0, s14
	s_lshl_b64 s[0:1], s[0:1], 3
	s_add_u32 s4, s12, s0
	s_addc_u32 s5, s13, s1
	s_cmp_eq_u64 s[10:11], 0
	v_mov_b32_e32 v0, s3
	s_cselect_b64 vcc, -1, 0
	s_lshl_b64 s[0:1], s[6:7], 3
	v_cndmask_b32_e32 v2, v2, v0, vcc
	v_mov_b32_e32 v0, s2
	s_add_u32 s0, s4, s0
	v_cndmask_b32_e32 v1, v1, v0, vcc
	s_addc_u32 s1, s5, s1
	v_mov_b32_e32 v0, 0
	global_store_dwordx2 v0, v[1:2], s[0:1]
	s_endpgm
	.section	.rodata,"a",@progbits
	.p2align	6, 0x0
	.amdhsa_kernel _ZN7rocprim17ROCPRIM_400000_NS6detail17trampoline_kernelINS0_14default_configENS1_22reduce_config_selectorIbEEZNS1_11reduce_implILb1ES3_N6hipcub16HIPCUB_304000_NS22TransformInputIteratorIb7NonZeroIsEPslEEPllNS8_6detail34convert_binary_result_type_wrapperINS8_3SumESD_lEEEE10hipError_tPvRmT1_T2_T3_mT4_P12ihipStream_tbEUlT_E0_NS1_11comp_targetILNS1_3genE2ELNS1_11target_archE906ELNS1_3gpuE6ELNS1_3repE0EEENS1_30default_config_static_selectorELNS0_4arch9wavefront6targetE1EEEvSM_
		.amdhsa_group_segment_fixed_size 32
		.amdhsa_private_segment_fixed_size 0
		.amdhsa_kernarg_size 72
		.amdhsa_user_sgpr_count 6
		.amdhsa_user_sgpr_private_segment_buffer 1
		.amdhsa_user_sgpr_dispatch_ptr 0
		.amdhsa_user_sgpr_queue_ptr 0
		.amdhsa_user_sgpr_kernarg_segment_ptr 1
		.amdhsa_user_sgpr_dispatch_id 0
		.amdhsa_user_sgpr_flat_scratch_init 0
		.amdhsa_user_sgpr_private_segment_size 0
		.amdhsa_uses_dynamic_stack 0
		.amdhsa_system_sgpr_private_segment_wavefront_offset 0
		.amdhsa_system_sgpr_workgroup_id_x 1
		.amdhsa_system_sgpr_workgroup_id_y 0
		.amdhsa_system_sgpr_workgroup_id_z 0
		.amdhsa_system_sgpr_workgroup_info 0
		.amdhsa_system_vgpr_workitem_id 0
		.amdhsa_next_free_vgpr 36
		.amdhsa_next_free_sgpr 20
		.amdhsa_reserve_vcc 1
		.amdhsa_reserve_flat_scratch 0
		.amdhsa_float_round_mode_32 0
		.amdhsa_float_round_mode_16_64 0
		.amdhsa_float_denorm_mode_32 3
		.amdhsa_float_denorm_mode_16_64 3
		.amdhsa_dx10_clamp 1
		.amdhsa_ieee_mode 1
		.amdhsa_fp16_overflow 0
		.amdhsa_exception_fp_ieee_invalid_op 0
		.amdhsa_exception_fp_denorm_src 0
		.amdhsa_exception_fp_ieee_div_zero 0
		.amdhsa_exception_fp_ieee_overflow 0
		.amdhsa_exception_fp_ieee_underflow 0
		.amdhsa_exception_fp_ieee_inexact 0
		.amdhsa_exception_int_div_zero 0
	.end_amdhsa_kernel
	.section	.text._ZN7rocprim17ROCPRIM_400000_NS6detail17trampoline_kernelINS0_14default_configENS1_22reduce_config_selectorIbEEZNS1_11reduce_implILb1ES3_N6hipcub16HIPCUB_304000_NS22TransformInputIteratorIb7NonZeroIsEPslEEPllNS8_6detail34convert_binary_result_type_wrapperINS8_3SumESD_lEEEE10hipError_tPvRmT1_T2_T3_mT4_P12ihipStream_tbEUlT_E0_NS1_11comp_targetILNS1_3genE2ELNS1_11target_archE906ELNS1_3gpuE6ELNS1_3repE0EEENS1_30default_config_static_selectorELNS0_4arch9wavefront6targetE1EEEvSM_,"axG",@progbits,_ZN7rocprim17ROCPRIM_400000_NS6detail17trampoline_kernelINS0_14default_configENS1_22reduce_config_selectorIbEEZNS1_11reduce_implILb1ES3_N6hipcub16HIPCUB_304000_NS22TransformInputIteratorIb7NonZeroIsEPslEEPllNS8_6detail34convert_binary_result_type_wrapperINS8_3SumESD_lEEEE10hipError_tPvRmT1_T2_T3_mT4_P12ihipStream_tbEUlT_E0_NS1_11comp_targetILNS1_3genE2ELNS1_11target_archE906ELNS1_3gpuE6ELNS1_3repE0EEENS1_30default_config_static_selectorELNS0_4arch9wavefront6targetE1EEEvSM_,comdat
.Lfunc_end103:
	.size	_ZN7rocprim17ROCPRIM_400000_NS6detail17trampoline_kernelINS0_14default_configENS1_22reduce_config_selectorIbEEZNS1_11reduce_implILb1ES3_N6hipcub16HIPCUB_304000_NS22TransformInputIteratorIb7NonZeroIsEPslEEPllNS8_6detail34convert_binary_result_type_wrapperINS8_3SumESD_lEEEE10hipError_tPvRmT1_T2_T3_mT4_P12ihipStream_tbEUlT_E0_NS1_11comp_targetILNS1_3genE2ELNS1_11target_archE906ELNS1_3gpuE6ELNS1_3repE0EEENS1_30default_config_static_selectorELNS0_4arch9wavefront6targetE1EEEvSM_, .Lfunc_end103-_ZN7rocprim17ROCPRIM_400000_NS6detail17trampoline_kernelINS0_14default_configENS1_22reduce_config_selectorIbEEZNS1_11reduce_implILb1ES3_N6hipcub16HIPCUB_304000_NS22TransformInputIteratorIb7NonZeroIsEPslEEPllNS8_6detail34convert_binary_result_type_wrapperINS8_3SumESD_lEEEE10hipError_tPvRmT1_T2_T3_mT4_P12ihipStream_tbEUlT_E0_NS1_11comp_targetILNS1_3genE2ELNS1_11target_archE906ELNS1_3gpuE6ELNS1_3repE0EEENS1_30default_config_static_selectorELNS0_4arch9wavefront6targetE1EEEvSM_
                                        ; -- End function
	.set _ZN7rocprim17ROCPRIM_400000_NS6detail17trampoline_kernelINS0_14default_configENS1_22reduce_config_selectorIbEEZNS1_11reduce_implILb1ES3_N6hipcub16HIPCUB_304000_NS22TransformInputIteratorIb7NonZeroIsEPslEEPllNS8_6detail34convert_binary_result_type_wrapperINS8_3SumESD_lEEEE10hipError_tPvRmT1_T2_T3_mT4_P12ihipStream_tbEUlT_E0_NS1_11comp_targetILNS1_3genE2ELNS1_11target_archE906ELNS1_3gpuE6ELNS1_3repE0EEENS1_30default_config_static_selectorELNS0_4arch9wavefront6targetE1EEEvSM_.num_vgpr, 36
	.set _ZN7rocprim17ROCPRIM_400000_NS6detail17trampoline_kernelINS0_14default_configENS1_22reduce_config_selectorIbEEZNS1_11reduce_implILb1ES3_N6hipcub16HIPCUB_304000_NS22TransformInputIteratorIb7NonZeroIsEPslEEPllNS8_6detail34convert_binary_result_type_wrapperINS8_3SumESD_lEEEE10hipError_tPvRmT1_T2_T3_mT4_P12ihipStream_tbEUlT_E0_NS1_11comp_targetILNS1_3genE2ELNS1_11target_archE906ELNS1_3gpuE6ELNS1_3repE0EEENS1_30default_config_static_selectorELNS0_4arch9wavefront6targetE1EEEvSM_.num_agpr, 0
	.set _ZN7rocprim17ROCPRIM_400000_NS6detail17trampoline_kernelINS0_14default_configENS1_22reduce_config_selectorIbEEZNS1_11reduce_implILb1ES3_N6hipcub16HIPCUB_304000_NS22TransformInputIteratorIb7NonZeroIsEPslEEPllNS8_6detail34convert_binary_result_type_wrapperINS8_3SumESD_lEEEE10hipError_tPvRmT1_T2_T3_mT4_P12ihipStream_tbEUlT_E0_NS1_11comp_targetILNS1_3genE2ELNS1_11target_archE906ELNS1_3gpuE6ELNS1_3repE0EEENS1_30default_config_static_selectorELNS0_4arch9wavefront6targetE1EEEvSM_.numbered_sgpr, 20
	.set _ZN7rocprim17ROCPRIM_400000_NS6detail17trampoline_kernelINS0_14default_configENS1_22reduce_config_selectorIbEEZNS1_11reduce_implILb1ES3_N6hipcub16HIPCUB_304000_NS22TransformInputIteratorIb7NonZeroIsEPslEEPllNS8_6detail34convert_binary_result_type_wrapperINS8_3SumESD_lEEEE10hipError_tPvRmT1_T2_T3_mT4_P12ihipStream_tbEUlT_E0_NS1_11comp_targetILNS1_3genE2ELNS1_11target_archE906ELNS1_3gpuE6ELNS1_3repE0EEENS1_30default_config_static_selectorELNS0_4arch9wavefront6targetE1EEEvSM_.num_named_barrier, 0
	.set _ZN7rocprim17ROCPRIM_400000_NS6detail17trampoline_kernelINS0_14default_configENS1_22reduce_config_selectorIbEEZNS1_11reduce_implILb1ES3_N6hipcub16HIPCUB_304000_NS22TransformInputIteratorIb7NonZeroIsEPslEEPllNS8_6detail34convert_binary_result_type_wrapperINS8_3SumESD_lEEEE10hipError_tPvRmT1_T2_T3_mT4_P12ihipStream_tbEUlT_E0_NS1_11comp_targetILNS1_3genE2ELNS1_11target_archE906ELNS1_3gpuE6ELNS1_3repE0EEENS1_30default_config_static_selectorELNS0_4arch9wavefront6targetE1EEEvSM_.private_seg_size, 0
	.set _ZN7rocprim17ROCPRIM_400000_NS6detail17trampoline_kernelINS0_14default_configENS1_22reduce_config_selectorIbEEZNS1_11reduce_implILb1ES3_N6hipcub16HIPCUB_304000_NS22TransformInputIteratorIb7NonZeroIsEPslEEPllNS8_6detail34convert_binary_result_type_wrapperINS8_3SumESD_lEEEE10hipError_tPvRmT1_T2_T3_mT4_P12ihipStream_tbEUlT_E0_NS1_11comp_targetILNS1_3genE2ELNS1_11target_archE906ELNS1_3gpuE6ELNS1_3repE0EEENS1_30default_config_static_selectorELNS0_4arch9wavefront6targetE1EEEvSM_.uses_vcc, 1
	.set _ZN7rocprim17ROCPRIM_400000_NS6detail17trampoline_kernelINS0_14default_configENS1_22reduce_config_selectorIbEEZNS1_11reduce_implILb1ES3_N6hipcub16HIPCUB_304000_NS22TransformInputIteratorIb7NonZeroIsEPslEEPllNS8_6detail34convert_binary_result_type_wrapperINS8_3SumESD_lEEEE10hipError_tPvRmT1_T2_T3_mT4_P12ihipStream_tbEUlT_E0_NS1_11comp_targetILNS1_3genE2ELNS1_11target_archE906ELNS1_3gpuE6ELNS1_3repE0EEENS1_30default_config_static_selectorELNS0_4arch9wavefront6targetE1EEEvSM_.uses_flat_scratch, 0
	.set _ZN7rocprim17ROCPRIM_400000_NS6detail17trampoline_kernelINS0_14default_configENS1_22reduce_config_selectorIbEEZNS1_11reduce_implILb1ES3_N6hipcub16HIPCUB_304000_NS22TransformInputIteratorIb7NonZeroIsEPslEEPllNS8_6detail34convert_binary_result_type_wrapperINS8_3SumESD_lEEEE10hipError_tPvRmT1_T2_T3_mT4_P12ihipStream_tbEUlT_E0_NS1_11comp_targetILNS1_3genE2ELNS1_11target_archE906ELNS1_3gpuE6ELNS1_3repE0EEENS1_30default_config_static_selectorELNS0_4arch9wavefront6targetE1EEEvSM_.has_dyn_sized_stack, 0
	.set _ZN7rocprim17ROCPRIM_400000_NS6detail17trampoline_kernelINS0_14default_configENS1_22reduce_config_selectorIbEEZNS1_11reduce_implILb1ES3_N6hipcub16HIPCUB_304000_NS22TransformInputIteratorIb7NonZeroIsEPslEEPllNS8_6detail34convert_binary_result_type_wrapperINS8_3SumESD_lEEEE10hipError_tPvRmT1_T2_T3_mT4_P12ihipStream_tbEUlT_E0_NS1_11comp_targetILNS1_3genE2ELNS1_11target_archE906ELNS1_3gpuE6ELNS1_3repE0EEENS1_30default_config_static_selectorELNS0_4arch9wavefront6targetE1EEEvSM_.has_recursion, 0
	.set _ZN7rocprim17ROCPRIM_400000_NS6detail17trampoline_kernelINS0_14default_configENS1_22reduce_config_selectorIbEEZNS1_11reduce_implILb1ES3_N6hipcub16HIPCUB_304000_NS22TransformInputIteratorIb7NonZeroIsEPslEEPllNS8_6detail34convert_binary_result_type_wrapperINS8_3SumESD_lEEEE10hipError_tPvRmT1_T2_T3_mT4_P12ihipStream_tbEUlT_E0_NS1_11comp_targetILNS1_3genE2ELNS1_11target_archE906ELNS1_3gpuE6ELNS1_3repE0EEENS1_30default_config_static_selectorELNS0_4arch9wavefront6targetE1EEEvSM_.has_indirect_call, 0
	.section	.AMDGPU.csdata,"",@progbits
; Kernel info:
; codeLenInByte = 2824
; TotalNumSgprs: 24
; NumVgprs: 36
; ScratchSize: 0
; MemoryBound: 0
; FloatMode: 240
; IeeeMode: 1
; LDSByteSize: 32 bytes/workgroup (compile time only)
; SGPRBlocks: 2
; VGPRBlocks: 8
; NumSGPRsForWavesPerEU: 24
; NumVGPRsForWavesPerEU: 36
; Occupancy: 7
; WaveLimiterHint : 1
; COMPUTE_PGM_RSRC2:SCRATCH_EN: 0
; COMPUTE_PGM_RSRC2:USER_SGPR: 6
; COMPUTE_PGM_RSRC2:TRAP_HANDLER: 0
; COMPUTE_PGM_RSRC2:TGID_X_EN: 1
; COMPUTE_PGM_RSRC2:TGID_Y_EN: 0
; COMPUTE_PGM_RSRC2:TGID_Z_EN: 0
; COMPUTE_PGM_RSRC2:TIDIG_COMP_CNT: 0
	.section	.text._ZN7rocprim17ROCPRIM_400000_NS6detail17trampoline_kernelINS0_14default_configENS1_22reduce_config_selectorIbEEZNS1_11reduce_implILb1ES3_N6hipcub16HIPCUB_304000_NS22TransformInputIteratorIb7NonZeroIsEPslEEPllNS8_6detail34convert_binary_result_type_wrapperINS8_3SumESD_lEEEE10hipError_tPvRmT1_T2_T3_mT4_P12ihipStream_tbEUlT_E0_NS1_11comp_targetILNS1_3genE10ELNS1_11target_archE1201ELNS1_3gpuE5ELNS1_3repE0EEENS1_30default_config_static_selectorELNS0_4arch9wavefront6targetE1EEEvSM_,"axG",@progbits,_ZN7rocprim17ROCPRIM_400000_NS6detail17trampoline_kernelINS0_14default_configENS1_22reduce_config_selectorIbEEZNS1_11reduce_implILb1ES3_N6hipcub16HIPCUB_304000_NS22TransformInputIteratorIb7NonZeroIsEPslEEPllNS8_6detail34convert_binary_result_type_wrapperINS8_3SumESD_lEEEE10hipError_tPvRmT1_T2_T3_mT4_P12ihipStream_tbEUlT_E0_NS1_11comp_targetILNS1_3genE10ELNS1_11target_archE1201ELNS1_3gpuE5ELNS1_3repE0EEENS1_30default_config_static_selectorELNS0_4arch9wavefront6targetE1EEEvSM_,comdat
	.protected	_ZN7rocprim17ROCPRIM_400000_NS6detail17trampoline_kernelINS0_14default_configENS1_22reduce_config_selectorIbEEZNS1_11reduce_implILb1ES3_N6hipcub16HIPCUB_304000_NS22TransformInputIteratorIb7NonZeroIsEPslEEPllNS8_6detail34convert_binary_result_type_wrapperINS8_3SumESD_lEEEE10hipError_tPvRmT1_T2_T3_mT4_P12ihipStream_tbEUlT_E0_NS1_11comp_targetILNS1_3genE10ELNS1_11target_archE1201ELNS1_3gpuE5ELNS1_3repE0EEENS1_30default_config_static_selectorELNS0_4arch9wavefront6targetE1EEEvSM_ ; -- Begin function _ZN7rocprim17ROCPRIM_400000_NS6detail17trampoline_kernelINS0_14default_configENS1_22reduce_config_selectorIbEEZNS1_11reduce_implILb1ES3_N6hipcub16HIPCUB_304000_NS22TransformInputIteratorIb7NonZeroIsEPslEEPllNS8_6detail34convert_binary_result_type_wrapperINS8_3SumESD_lEEEE10hipError_tPvRmT1_T2_T3_mT4_P12ihipStream_tbEUlT_E0_NS1_11comp_targetILNS1_3genE10ELNS1_11target_archE1201ELNS1_3gpuE5ELNS1_3repE0EEENS1_30default_config_static_selectorELNS0_4arch9wavefront6targetE1EEEvSM_
	.globl	_ZN7rocprim17ROCPRIM_400000_NS6detail17trampoline_kernelINS0_14default_configENS1_22reduce_config_selectorIbEEZNS1_11reduce_implILb1ES3_N6hipcub16HIPCUB_304000_NS22TransformInputIteratorIb7NonZeroIsEPslEEPllNS8_6detail34convert_binary_result_type_wrapperINS8_3SumESD_lEEEE10hipError_tPvRmT1_T2_T3_mT4_P12ihipStream_tbEUlT_E0_NS1_11comp_targetILNS1_3genE10ELNS1_11target_archE1201ELNS1_3gpuE5ELNS1_3repE0EEENS1_30default_config_static_selectorELNS0_4arch9wavefront6targetE1EEEvSM_
	.p2align	8
	.type	_ZN7rocprim17ROCPRIM_400000_NS6detail17trampoline_kernelINS0_14default_configENS1_22reduce_config_selectorIbEEZNS1_11reduce_implILb1ES3_N6hipcub16HIPCUB_304000_NS22TransformInputIteratorIb7NonZeroIsEPslEEPllNS8_6detail34convert_binary_result_type_wrapperINS8_3SumESD_lEEEE10hipError_tPvRmT1_T2_T3_mT4_P12ihipStream_tbEUlT_E0_NS1_11comp_targetILNS1_3genE10ELNS1_11target_archE1201ELNS1_3gpuE5ELNS1_3repE0EEENS1_30default_config_static_selectorELNS0_4arch9wavefront6targetE1EEEvSM_,@function
_ZN7rocprim17ROCPRIM_400000_NS6detail17trampoline_kernelINS0_14default_configENS1_22reduce_config_selectorIbEEZNS1_11reduce_implILb1ES3_N6hipcub16HIPCUB_304000_NS22TransformInputIteratorIb7NonZeroIsEPslEEPllNS8_6detail34convert_binary_result_type_wrapperINS8_3SumESD_lEEEE10hipError_tPvRmT1_T2_T3_mT4_P12ihipStream_tbEUlT_E0_NS1_11comp_targetILNS1_3genE10ELNS1_11target_archE1201ELNS1_3gpuE5ELNS1_3repE0EEENS1_30default_config_static_selectorELNS0_4arch9wavefront6targetE1EEEvSM_: ; @_ZN7rocprim17ROCPRIM_400000_NS6detail17trampoline_kernelINS0_14default_configENS1_22reduce_config_selectorIbEEZNS1_11reduce_implILb1ES3_N6hipcub16HIPCUB_304000_NS22TransformInputIteratorIb7NonZeroIsEPslEEPllNS8_6detail34convert_binary_result_type_wrapperINS8_3SumESD_lEEEE10hipError_tPvRmT1_T2_T3_mT4_P12ihipStream_tbEUlT_E0_NS1_11comp_targetILNS1_3genE10ELNS1_11target_archE1201ELNS1_3gpuE5ELNS1_3repE0EEENS1_30default_config_static_selectorELNS0_4arch9wavefront6targetE1EEEvSM_
; %bb.0:
	.section	.rodata,"a",@progbits
	.p2align	6, 0x0
	.amdhsa_kernel _ZN7rocprim17ROCPRIM_400000_NS6detail17trampoline_kernelINS0_14default_configENS1_22reduce_config_selectorIbEEZNS1_11reduce_implILb1ES3_N6hipcub16HIPCUB_304000_NS22TransformInputIteratorIb7NonZeroIsEPslEEPllNS8_6detail34convert_binary_result_type_wrapperINS8_3SumESD_lEEEE10hipError_tPvRmT1_T2_T3_mT4_P12ihipStream_tbEUlT_E0_NS1_11comp_targetILNS1_3genE10ELNS1_11target_archE1201ELNS1_3gpuE5ELNS1_3repE0EEENS1_30default_config_static_selectorELNS0_4arch9wavefront6targetE1EEEvSM_
		.amdhsa_group_segment_fixed_size 0
		.amdhsa_private_segment_fixed_size 0
		.amdhsa_kernarg_size 72
		.amdhsa_user_sgpr_count 6
		.amdhsa_user_sgpr_private_segment_buffer 1
		.amdhsa_user_sgpr_dispatch_ptr 0
		.amdhsa_user_sgpr_queue_ptr 0
		.amdhsa_user_sgpr_kernarg_segment_ptr 1
		.amdhsa_user_sgpr_dispatch_id 0
		.amdhsa_user_sgpr_flat_scratch_init 0
		.amdhsa_user_sgpr_private_segment_size 0
		.amdhsa_uses_dynamic_stack 0
		.amdhsa_system_sgpr_private_segment_wavefront_offset 0
		.amdhsa_system_sgpr_workgroup_id_x 1
		.amdhsa_system_sgpr_workgroup_id_y 0
		.amdhsa_system_sgpr_workgroup_id_z 0
		.amdhsa_system_sgpr_workgroup_info 0
		.amdhsa_system_vgpr_workitem_id 0
		.amdhsa_next_free_vgpr 1
		.amdhsa_next_free_sgpr 0
		.amdhsa_reserve_vcc 0
		.amdhsa_reserve_flat_scratch 0
		.amdhsa_float_round_mode_32 0
		.amdhsa_float_round_mode_16_64 0
		.amdhsa_float_denorm_mode_32 3
		.amdhsa_float_denorm_mode_16_64 3
		.amdhsa_dx10_clamp 1
		.amdhsa_ieee_mode 1
		.amdhsa_fp16_overflow 0
		.amdhsa_exception_fp_ieee_invalid_op 0
		.amdhsa_exception_fp_denorm_src 0
		.amdhsa_exception_fp_ieee_div_zero 0
		.amdhsa_exception_fp_ieee_overflow 0
		.amdhsa_exception_fp_ieee_underflow 0
		.amdhsa_exception_fp_ieee_inexact 0
		.amdhsa_exception_int_div_zero 0
	.end_amdhsa_kernel
	.section	.text._ZN7rocprim17ROCPRIM_400000_NS6detail17trampoline_kernelINS0_14default_configENS1_22reduce_config_selectorIbEEZNS1_11reduce_implILb1ES3_N6hipcub16HIPCUB_304000_NS22TransformInputIteratorIb7NonZeroIsEPslEEPllNS8_6detail34convert_binary_result_type_wrapperINS8_3SumESD_lEEEE10hipError_tPvRmT1_T2_T3_mT4_P12ihipStream_tbEUlT_E0_NS1_11comp_targetILNS1_3genE10ELNS1_11target_archE1201ELNS1_3gpuE5ELNS1_3repE0EEENS1_30default_config_static_selectorELNS0_4arch9wavefront6targetE1EEEvSM_,"axG",@progbits,_ZN7rocprim17ROCPRIM_400000_NS6detail17trampoline_kernelINS0_14default_configENS1_22reduce_config_selectorIbEEZNS1_11reduce_implILb1ES3_N6hipcub16HIPCUB_304000_NS22TransformInputIteratorIb7NonZeroIsEPslEEPllNS8_6detail34convert_binary_result_type_wrapperINS8_3SumESD_lEEEE10hipError_tPvRmT1_T2_T3_mT4_P12ihipStream_tbEUlT_E0_NS1_11comp_targetILNS1_3genE10ELNS1_11target_archE1201ELNS1_3gpuE5ELNS1_3repE0EEENS1_30default_config_static_selectorELNS0_4arch9wavefront6targetE1EEEvSM_,comdat
.Lfunc_end104:
	.size	_ZN7rocprim17ROCPRIM_400000_NS6detail17trampoline_kernelINS0_14default_configENS1_22reduce_config_selectorIbEEZNS1_11reduce_implILb1ES3_N6hipcub16HIPCUB_304000_NS22TransformInputIteratorIb7NonZeroIsEPslEEPllNS8_6detail34convert_binary_result_type_wrapperINS8_3SumESD_lEEEE10hipError_tPvRmT1_T2_T3_mT4_P12ihipStream_tbEUlT_E0_NS1_11comp_targetILNS1_3genE10ELNS1_11target_archE1201ELNS1_3gpuE5ELNS1_3repE0EEENS1_30default_config_static_selectorELNS0_4arch9wavefront6targetE1EEEvSM_, .Lfunc_end104-_ZN7rocprim17ROCPRIM_400000_NS6detail17trampoline_kernelINS0_14default_configENS1_22reduce_config_selectorIbEEZNS1_11reduce_implILb1ES3_N6hipcub16HIPCUB_304000_NS22TransformInputIteratorIb7NonZeroIsEPslEEPllNS8_6detail34convert_binary_result_type_wrapperINS8_3SumESD_lEEEE10hipError_tPvRmT1_T2_T3_mT4_P12ihipStream_tbEUlT_E0_NS1_11comp_targetILNS1_3genE10ELNS1_11target_archE1201ELNS1_3gpuE5ELNS1_3repE0EEENS1_30default_config_static_selectorELNS0_4arch9wavefront6targetE1EEEvSM_
                                        ; -- End function
	.set _ZN7rocprim17ROCPRIM_400000_NS6detail17trampoline_kernelINS0_14default_configENS1_22reduce_config_selectorIbEEZNS1_11reduce_implILb1ES3_N6hipcub16HIPCUB_304000_NS22TransformInputIteratorIb7NonZeroIsEPslEEPllNS8_6detail34convert_binary_result_type_wrapperINS8_3SumESD_lEEEE10hipError_tPvRmT1_T2_T3_mT4_P12ihipStream_tbEUlT_E0_NS1_11comp_targetILNS1_3genE10ELNS1_11target_archE1201ELNS1_3gpuE5ELNS1_3repE0EEENS1_30default_config_static_selectorELNS0_4arch9wavefront6targetE1EEEvSM_.num_vgpr, 0
	.set _ZN7rocprim17ROCPRIM_400000_NS6detail17trampoline_kernelINS0_14default_configENS1_22reduce_config_selectorIbEEZNS1_11reduce_implILb1ES3_N6hipcub16HIPCUB_304000_NS22TransformInputIteratorIb7NonZeroIsEPslEEPllNS8_6detail34convert_binary_result_type_wrapperINS8_3SumESD_lEEEE10hipError_tPvRmT1_T2_T3_mT4_P12ihipStream_tbEUlT_E0_NS1_11comp_targetILNS1_3genE10ELNS1_11target_archE1201ELNS1_3gpuE5ELNS1_3repE0EEENS1_30default_config_static_selectorELNS0_4arch9wavefront6targetE1EEEvSM_.num_agpr, 0
	.set _ZN7rocprim17ROCPRIM_400000_NS6detail17trampoline_kernelINS0_14default_configENS1_22reduce_config_selectorIbEEZNS1_11reduce_implILb1ES3_N6hipcub16HIPCUB_304000_NS22TransformInputIteratorIb7NonZeroIsEPslEEPllNS8_6detail34convert_binary_result_type_wrapperINS8_3SumESD_lEEEE10hipError_tPvRmT1_T2_T3_mT4_P12ihipStream_tbEUlT_E0_NS1_11comp_targetILNS1_3genE10ELNS1_11target_archE1201ELNS1_3gpuE5ELNS1_3repE0EEENS1_30default_config_static_selectorELNS0_4arch9wavefront6targetE1EEEvSM_.numbered_sgpr, 0
	.set _ZN7rocprim17ROCPRIM_400000_NS6detail17trampoline_kernelINS0_14default_configENS1_22reduce_config_selectorIbEEZNS1_11reduce_implILb1ES3_N6hipcub16HIPCUB_304000_NS22TransformInputIteratorIb7NonZeroIsEPslEEPllNS8_6detail34convert_binary_result_type_wrapperINS8_3SumESD_lEEEE10hipError_tPvRmT1_T2_T3_mT4_P12ihipStream_tbEUlT_E0_NS1_11comp_targetILNS1_3genE10ELNS1_11target_archE1201ELNS1_3gpuE5ELNS1_3repE0EEENS1_30default_config_static_selectorELNS0_4arch9wavefront6targetE1EEEvSM_.num_named_barrier, 0
	.set _ZN7rocprim17ROCPRIM_400000_NS6detail17trampoline_kernelINS0_14default_configENS1_22reduce_config_selectorIbEEZNS1_11reduce_implILb1ES3_N6hipcub16HIPCUB_304000_NS22TransformInputIteratorIb7NonZeroIsEPslEEPllNS8_6detail34convert_binary_result_type_wrapperINS8_3SumESD_lEEEE10hipError_tPvRmT1_T2_T3_mT4_P12ihipStream_tbEUlT_E0_NS1_11comp_targetILNS1_3genE10ELNS1_11target_archE1201ELNS1_3gpuE5ELNS1_3repE0EEENS1_30default_config_static_selectorELNS0_4arch9wavefront6targetE1EEEvSM_.private_seg_size, 0
	.set _ZN7rocprim17ROCPRIM_400000_NS6detail17trampoline_kernelINS0_14default_configENS1_22reduce_config_selectorIbEEZNS1_11reduce_implILb1ES3_N6hipcub16HIPCUB_304000_NS22TransformInputIteratorIb7NonZeroIsEPslEEPllNS8_6detail34convert_binary_result_type_wrapperINS8_3SumESD_lEEEE10hipError_tPvRmT1_T2_T3_mT4_P12ihipStream_tbEUlT_E0_NS1_11comp_targetILNS1_3genE10ELNS1_11target_archE1201ELNS1_3gpuE5ELNS1_3repE0EEENS1_30default_config_static_selectorELNS0_4arch9wavefront6targetE1EEEvSM_.uses_vcc, 0
	.set _ZN7rocprim17ROCPRIM_400000_NS6detail17trampoline_kernelINS0_14default_configENS1_22reduce_config_selectorIbEEZNS1_11reduce_implILb1ES3_N6hipcub16HIPCUB_304000_NS22TransformInputIteratorIb7NonZeroIsEPslEEPllNS8_6detail34convert_binary_result_type_wrapperINS8_3SumESD_lEEEE10hipError_tPvRmT1_T2_T3_mT4_P12ihipStream_tbEUlT_E0_NS1_11comp_targetILNS1_3genE10ELNS1_11target_archE1201ELNS1_3gpuE5ELNS1_3repE0EEENS1_30default_config_static_selectorELNS0_4arch9wavefront6targetE1EEEvSM_.uses_flat_scratch, 0
	.set _ZN7rocprim17ROCPRIM_400000_NS6detail17trampoline_kernelINS0_14default_configENS1_22reduce_config_selectorIbEEZNS1_11reduce_implILb1ES3_N6hipcub16HIPCUB_304000_NS22TransformInputIteratorIb7NonZeroIsEPslEEPllNS8_6detail34convert_binary_result_type_wrapperINS8_3SumESD_lEEEE10hipError_tPvRmT1_T2_T3_mT4_P12ihipStream_tbEUlT_E0_NS1_11comp_targetILNS1_3genE10ELNS1_11target_archE1201ELNS1_3gpuE5ELNS1_3repE0EEENS1_30default_config_static_selectorELNS0_4arch9wavefront6targetE1EEEvSM_.has_dyn_sized_stack, 0
	.set _ZN7rocprim17ROCPRIM_400000_NS6detail17trampoline_kernelINS0_14default_configENS1_22reduce_config_selectorIbEEZNS1_11reduce_implILb1ES3_N6hipcub16HIPCUB_304000_NS22TransformInputIteratorIb7NonZeroIsEPslEEPllNS8_6detail34convert_binary_result_type_wrapperINS8_3SumESD_lEEEE10hipError_tPvRmT1_T2_T3_mT4_P12ihipStream_tbEUlT_E0_NS1_11comp_targetILNS1_3genE10ELNS1_11target_archE1201ELNS1_3gpuE5ELNS1_3repE0EEENS1_30default_config_static_selectorELNS0_4arch9wavefront6targetE1EEEvSM_.has_recursion, 0
	.set _ZN7rocprim17ROCPRIM_400000_NS6detail17trampoline_kernelINS0_14default_configENS1_22reduce_config_selectorIbEEZNS1_11reduce_implILb1ES3_N6hipcub16HIPCUB_304000_NS22TransformInputIteratorIb7NonZeroIsEPslEEPllNS8_6detail34convert_binary_result_type_wrapperINS8_3SumESD_lEEEE10hipError_tPvRmT1_T2_T3_mT4_P12ihipStream_tbEUlT_E0_NS1_11comp_targetILNS1_3genE10ELNS1_11target_archE1201ELNS1_3gpuE5ELNS1_3repE0EEENS1_30default_config_static_selectorELNS0_4arch9wavefront6targetE1EEEvSM_.has_indirect_call, 0
	.section	.AMDGPU.csdata,"",@progbits
; Kernel info:
; codeLenInByte = 0
; TotalNumSgprs: 4
; NumVgprs: 0
; ScratchSize: 0
; MemoryBound: 0
; FloatMode: 240
; IeeeMode: 1
; LDSByteSize: 0 bytes/workgroup (compile time only)
; SGPRBlocks: 0
; VGPRBlocks: 0
; NumSGPRsForWavesPerEU: 4
; NumVGPRsForWavesPerEU: 1
; Occupancy: 10
; WaveLimiterHint : 0
; COMPUTE_PGM_RSRC2:SCRATCH_EN: 0
; COMPUTE_PGM_RSRC2:USER_SGPR: 6
; COMPUTE_PGM_RSRC2:TRAP_HANDLER: 0
; COMPUTE_PGM_RSRC2:TGID_X_EN: 1
; COMPUTE_PGM_RSRC2:TGID_Y_EN: 0
; COMPUTE_PGM_RSRC2:TGID_Z_EN: 0
; COMPUTE_PGM_RSRC2:TIDIG_COMP_CNT: 0
	.section	.text._ZN7rocprim17ROCPRIM_400000_NS6detail17trampoline_kernelINS0_14default_configENS1_22reduce_config_selectorIbEEZNS1_11reduce_implILb1ES3_N6hipcub16HIPCUB_304000_NS22TransformInputIteratorIb7NonZeroIsEPslEEPllNS8_6detail34convert_binary_result_type_wrapperINS8_3SumESD_lEEEE10hipError_tPvRmT1_T2_T3_mT4_P12ihipStream_tbEUlT_E0_NS1_11comp_targetILNS1_3genE10ELNS1_11target_archE1200ELNS1_3gpuE4ELNS1_3repE0EEENS1_30default_config_static_selectorELNS0_4arch9wavefront6targetE1EEEvSM_,"axG",@progbits,_ZN7rocprim17ROCPRIM_400000_NS6detail17trampoline_kernelINS0_14default_configENS1_22reduce_config_selectorIbEEZNS1_11reduce_implILb1ES3_N6hipcub16HIPCUB_304000_NS22TransformInputIteratorIb7NonZeroIsEPslEEPllNS8_6detail34convert_binary_result_type_wrapperINS8_3SumESD_lEEEE10hipError_tPvRmT1_T2_T3_mT4_P12ihipStream_tbEUlT_E0_NS1_11comp_targetILNS1_3genE10ELNS1_11target_archE1200ELNS1_3gpuE4ELNS1_3repE0EEENS1_30default_config_static_selectorELNS0_4arch9wavefront6targetE1EEEvSM_,comdat
	.protected	_ZN7rocprim17ROCPRIM_400000_NS6detail17trampoline_kernelINS0_14default_configENS1_22reduce_config_selectorIbEEZNS1_11reduce_implILb1ES3_N6hipcub16HIPCUB_304000_NS22TransformInputIteratorIb7NonZeroIsEPslEEPllNS8_6detail34convert_binary_result_type_wrapperINS8_3SumESD_lEEEE10hipError_tPvRmT1_T2_T3_mT4_P12ihipStream_tbEUlT_E0_NS1_11comp_targetILNS1_3genE10ELNS1_11target_archE1200ELNS1_3gpuE4ELNS1_3repE0EEENS1_30default_config_static_selectorELNS0_4arch9wavefront6targetE1EEEvSM_ ; -- Begin function _ZN7rocprim17ROCPRIM_400000_NS6detail17trampoline_kernelINS0_14default_configENS1_22reduce_config_selectorIbEEZNS1_11reduce_implILb1ES3_N6hipcub16HIPCUB_304000_NS22TransformInputIteratorIb7NonZeroIsEPslEEPllNS8_6detail34convert_binary_result_type_wrapperINS8_3SumESD_lEEEE10hipError_tPvRmT1_T2_T3_mT4_P12ihipStream_tbEUlT_E0_NS1_11comp_targetILNS1_3genE10ELNS1_11target_archE1200ELNS1_3gpuE4ELNS1_3repE0EEENS1_30default_config_static_selectorELNS0_4arch9wavefront6targetE1EEEvSM_
	.globl	_ZN7rocprim17ROCPRIM_400000_NS6detail17trampoline_kernelINS0_14default_configENS1_22reduce_config_selectorIbEEZNS1_11reduce_implILb1ES3_N6hipcub16HIPCUB_304000_NS22TransformInputIteratorIb7NonZeroIsEPslEEPllNS8_6detail34convert_binary_result_type_wrapperINS8_3SumESD_lEEEE10hipError_tPvRmT1_T2_T3_mT4_P12ihipStream_tbEUlT_E0_NS1_11comp_targetILNS1_3genE10ELNS1_11target_archE1200ELNS1_3gpuE4ELNS1_3repE0EEENS1_30default_config_static_selectorELNS0_4arch9wavefront6targetE1EEEvSM_
	.p2align	8
	.type	_ZN7rocprim17ROCPRIM_400000_NS6detail17trampoline_kernelINS0_14default_configENS1_22reduce_config_selectorIbEEZNS1_11reduce_implILb1ES3_N6hipcub16HIPCUB_304000_NS22TransformInputIteratorIb7NonZeroIsEPslEEPllNS8_6detail34convert_binary_result_type_wrapperINS8_3SumESD_lEEEE10hipError_tPvRmT1_T2_T3_mT4_P12ihipStream_tbEUlT_E0_NS1_11comp_targetILNS1_3genE10ELNS1_11target_archE1200ELNS1_3gpuE4ELNS1_3repE0EEENS1_30default_config_static_selectorELNS0_4arch9wavefront6targetE1EEEvSM_,@function
_ZN7rocprim17ROCPRIM_400000_NS6detail17trampoline_kernelINS0_14default_configENS1_22reduce_config_selectorIbEEZNS1_11reduce_implILb1ES3_N6hipcub16HIPCUB_304000_NS22TransformInputIteratorIb7NonZeroIsEPslEEPllNS8_6detail34convert_binary_result_type_wrapperINS8_3SumESD_lEEEE10hipError_tPvRmT1_T2_T3_mT4_P12ihipStream_tbEUlT_E0_NS1_11comp_targetILNS1_3genE10ELNS1_11target_archE1200ELNS1_3gpuE4ELNS1_3repE0EEENS1_30default_config_static_selectorELNS0_4arch9wavefront6targetE1EEEvSM_: ; @_ZN7rocprim17ROCPRIM_400000_NS6detail17trampoline_kernelINS0_14default_configENS1_22reduce_config_selectorIbEEZNS1_11reduce_implILb1ES3_N6hipcub16HIPCUB_304000_NS22TransformInputIteratorIb7NonZeroIsEPslEEPllNS8_6detail34convert_binary_result_type_wrapperINS8_3SumESD_lEEEE10hipError_tPvRmT1_T2_T3_mT4_P12ihipStream_tbEUlT_E0_NS1_11comp_targetILNS1_3genE10ELNS1_11target_archE1200ELNS1_3gpuE4ELNS1_3repE0EEENS1_30default_config_static_selectorELNS0_4arch9wavefront6targetE1EEEvSM_
; %bb.0:
	.section	.rodata,"a",@progbits
	.p2align	6, 0x0
	.amdhsa_kernel _ZN7rocprim17ROCPRIM_400000_NS6detail17trampoline_kernelINS0_14default_configENS1_22reduce_config_selectorIbEEZNS1_11reduce_implILb1ES3_N6hipcub16HIPCUB_304000_NS22TransformInputIteratorIb7NonZeroIsEPslEEPllNS8_6detail34convert_binary_result_type_wrapperINS8_3SumESD_lEEEE10hipError_tPvRmT1_T2_T3_mT4_P12ihipStream_tbEUlT_E0_NS1_11comp_targetILNS1_3genE10ELNS1_11target_archE1200ELNS1_3gpuE4ELNS1_3repE0EEENS1_30default_config_static_selectorELNS0_4arch9wavefront6targetE1EEEvSM_
		.amdhsa_group_segment_fixed_size 0
		.amdhsa_private_segment_fixed_size 0
		.amdhsa_kernarg_size 72
		.amdhsa_user_sgpr_count 6
		.amdhsa_user_sgpr_private_segment_buffer 1
		.amdhsa_user_sgpr_dispatch_ptr 0
		.amdhsa_user_sgpr_queue_ptr 0
		.amdhsa_user_sgpr_kernarg_segment_ptr 1
		.amdhsa_user_sgpr_dispatch_id 0
		.amdhsa_user_sgpr_flat_scratch_init 0
		.amdhsa_user_sgpr_private_segment_size 0
		.amdhsa_uses_dynamic_stack 0
		.amdhsa_system_sgpr_private_segment_wavefront_offset 0
		.amdhsa_system_sgpr_workgroup_id_x 1
		.amdhsa_system_sgpr_workgroup_id_y 0
		.amdhsa_system_sgpr_workgroup_id_z 0
		.amdhsa_system_sgpr_workgroup_info 0
		.amdhsa_system_vgpr_workitem_id 0
		.amdhsa_next_free_vgpr 1
		.amdhsa_next_free_sgpr 0
		.amdhsa_reserve_vcc 0
		.amdhsa_reserve_flat_scratch 0
		.amdhsa_float_round_mode_32 0
		.amdhsa_float_round_mode_16_64 0
		.amdhsa_float_denorm_mode_32 3
		.amdhsa_float_denorm_mode_16_64 3
		.amdhsa_dx10_clamp 1
		.amdhsa_ieee_mode 1
		.amdhsa_fp16_overflow 0
		.amdhsa_exception_fp_ieee_invalid_op 0
		.amdhsa_exception_fp_denorm_src 0
		.amdhsa_exception_fp_ieee_div_zero 0
		.amdhsa_exception_fp_ieee_overflow 0
		.amdhsa_exception_fp_ieee_underflow 0
		.amdhsa_exception_fp_ieee_inexact 0
		.amdhsa_exception_int_div_zero 0
	.end_amdhsa_kernel
	.section	.text._ZN7rocprim17ROCPRIM_400000_NS6detail17trampoline_kernelINS0_14default_configENS1_22reduce_config_selectorIbEEZNS1_11reduce_implILb1ES3_N6hipcub16HIPCUB_304000_NS22TransformInputIteratorIb7NonZeroIsEPslEEPllNS8_6detail34convert_binary_result_type_wrapperINS8_3SumESD_lEEEE10hipError_tPvRmT1_T2_T3_mT4_P12ihipStream_tbEUlT_E0_NS1_11comp_targetILNS1_3genE10ELNS1_11target_archE1200ELNS1_3gpuE4ELNS1_3repE0EEENS1_30default_config_static_selectorELNS0_4arch9wavefront6targetE1EEEvSM_,"axG",@progbits,_ZN7rocprim17ROCPRIM_400000_NS6detail17trampoline_kernelINS0_14default_configENS1_22reduce_config_selectorIbEEZNS1_11reduce_implILb1ES3_N6hipcub16HIPCUB_304000_NS22TransformInputIteratorIb7NonZeroIsEPslEEPllNS8_6detail34convert_binary_result_type_wrapperINS8_3SumESD_lEEEE10hipError_tPvRmT1_T2_T3_mT4_P12ihipStream_tbEUlT_E0_NS1_11comp_targetILNS1_3genE10ELNS1_11target_archE1200ELNS1_3gpuE4ELNS1_3repE0EEENS1_30default_config_static_selectorELNS0_4arch9wavefront6targetE1EEEvSM_,comdat
.Lfunc_end105:
	.size	_ZN7rocprim17ROCPRIM_400000_NS6detail17trampoline_kernelINS0_14default_configENS1_22reduce_config_selectorIbEEZNS1_11reduce_implILb1ES3_N6hipcub16HIPCUB_304000_NS22TransformInputIteratorIb7NonZeroIsEPslEEPllNS8_6detail34convert_binary_result_type_wrapperINS8_3SumESD_lEEEE10hipError_tPvRmT1_T2_T3_mT4_P12ihipStream_tbEUlT_E0_NS1_11comp_targetILNS1_3genE10ELNS1_11target_archE1200ELNS1_3gpuE4ELNS1_3repE0EEENS1_30default_config_static_selectorELNS0_4arch9wavefront6targetE1EEEvSM_, .Lfunc_end105-_ZN7rocprim17ROCPRIM_400000_NS6detail17trampoline_kernelINS0_14default_configENS1_22reduce_config_selectorIbEEZNS1_11reduce_implILb1ES3_N6hipcub16HIPCUB_304000_NS22TransformInputIteratorIb7NonZeroIsEPslEEPllNS8_6detail34convert_binary_result_type_wrapperINS8_3SumESD_lEEEE10hipError_tPvRmT1_T2_T3_mT4_P12ihipStream_tbEUlT_E0_NS1_11comp_targetILNS1_3genE10ELNS1_11target_archE1200ELNS1_3gpuE4ELNS1_3repE0EEENS1_30default_config_static_selectorELNS0_4arch9wavefront6targetE1EEEvSM_
                                        ; -- End function
	.set _ZN7rocprim17ROCPRIM_400000_NS6detail17trampoline_kernelINS0_14default_configENS1_22reduce_config_selectorIbEEZNS1_11reduce_implILb1ES3_N6hipcub16HIPCUB_304000_NS22TransformInputIteratorIb7NonZeroIsEPslEEPllNS8_6detail34convert_binary_result_type_wrapperINS8_3SumESD_lEEEE10hipError_tPvRmT1_T2_T3_mT4_P12ihipStream_tbEUlT_E0_NS1_11comp_targetILNS1_3genE10ELNS1_11target_archE1200ELNS1_3gpuE4ELNS1_3repE0EEENS1_30default_config_static_selectorELNS0_4arch9wavefront6targetE1EEEvSM_.num_vgpr, 0
	.set _ZN7rocprim17ROCPRIM_400000_NS6detail17trampoline_kernelINS0_14default_configENS1_22reduce_config_selectorIbEEZNS1_11reduce_implILb1ES3_N6hipcub16HIPCUB_304000_NS22TransformInputIteratorIb7NonZeroIsEPslEEPllNS8_6detail34convert_binary_result_type_wrapperINS8_3SumESD_lEEEE10hipError_tPvRmT1_T2_T3_mT4_P12ihipStream_tbEUlT_E0_NS1_11comp_targetILNS1_3genE10ELNS1_11target_archE1200ELNS1_3gpuE4ELNS1_3repE0EEENS1_30default_config_static_selectorELNS0_4arch9wavefront6targetE1EEEvSM_.num_agpr, 0
	.set _ZN7rocprim17ROCPRIM_400000_NS6detail17trampoline_kernelINS0_14default_configENS1_22reduce_config_selectorIbEEZNS1_11reduce_implILb1ES3_N6hipcub16HIPCUB_304000_NS22TransformInputIteratorIb7NonZeroIsEPslEEPllNS8_6detail34convert_binary_result_type_wrapperINS8_3SumESD_lEEEE10hipError_tPvRmT1_T2_T3_mT4_P12ihipStream_tbEUlT_E0_NS1_11comp_targetILNS1_3genE10ELNS1_11target_archE1200ELNS1_3gpuE4ELNS1_3repE0EEENS1_30default_config_static_selectorELNS0_4arch9wavefront6targetE1EEEvSM_.numbered_sgpr, 0
	.set _ZN7rocprim17ROCPRIM_400000_NS6detail17trampoline_kernelINS0_14default_configENS1_22reduce_config_selectorIbEEZNS1_11reduce_implILb1ES3_N6hipcub16HIPCUB_304000_NS22TransformInputIteratorIb7NonZeroIsEPslEEPllNS8_6detail34convert_binary_result_type_wrapperINS8_3SumESD_lEEEE10hipError_tPvRmT1_T2_T3_mT4_P12ihipStream_tbEUlT_E0_NS1_11comp_targetILNS1_3genE10ELNS1_11target_archE1200ELNS1_3gpuE4ELNS1_3repE0EEENS1_30default_config_static_selectorELNS0_4arch9wavefront6targetE1EEEvSM_.num_named_barrier, 0
	.set _ZN7rocprim17ROCPRIM_400000_NS6detail17trampoline_kernelINS0_14default_configENS1_22reduce_config_selectorIbEEZNS1_11reduce_implILb1ES3_N6hipcub16HIPCUB_304000_NS22TransformInputIteratorIb7NonZeroIsEPslEEPllNS8_6detail34convert_binary_result_type_wrapperINS8_3SumESD_lEEEE10hipError_tPvRmT1_T2_T3_mT4_P12ihipStream_tbEUlT_E0_NS1_11comp_targetILNS1_3genE10ELNS1_11target_archE1200ELNS1_3gpuE4ELNS1_3repE0EEENS1_30default_config_static_selectorELNS0_4arch9wavefront6targetE1EEEvSM_.private_seg_size, 0
	.set _ZN7rocprim17ROCPRIM_400000_NS6detail17trampoline_kernelINS0_14default_configENS1_22reduce_config_selectorIbEEZNS1_11reduce_implILb1ES3_N6hipcub16HIPCUB_304000_NS22TransformInputIteratorIb7NonZeroIsEPslEEPllNS8_6detail34convert_binary_result_type_wrapperINS8_3SumESD_lEEEE10hipError_tPvRmT1_T2_T3_mT4_P12ihipStream_tbEUlT_E0_NS1_11comp_targetILNS1_3genE10ELNS1_11target_archE1200ELNS1_3gpuE4ELNS1_3repE0EEENS1_30default_config_static_selectorELNS0_4arch9wavefront6targetE1EEEvSM_.uses_vcc, 0
	.set _ZN7rocprim17ROCPRIM_400000_NS6detail17trampoline_kernelINS0_14default_configENS1_22reduce_config_selectorIbEEZNS1_11reduce_implILb1ES3_N6hipcub16HIPCUB_304000_NS22TransformInputIteratorIb7NonZeroIsEPslEEPllNS8_6detail34convert_binary_result_type_wrapperINS8_3SumESD_lEEEE10hipError_tPvRmT1_T2_T3_mT4_P12ihipStream_tbEUlT_E0_NS1_11comp_targetILNS1_3genE10ELNS1_11target_archE1200ELNS1_3gpuE4ELNS1_3repE0EEENS1_30default_config_static_selectorELNS0_4arch9wavefront6targetE1EEEvSM_.uses_flat_scratch, 0
	.set _ZN7rocprim17ROCPRIM_400000_NS6detail17trampoline_kernelINS0_14default_configENS1_22reduce_config_selectorIbEEZNS1_11reduce_implILb1ES3_N6hipcub16HIPCUB_304000_NS22TransformInputIteratorIb7NonZeroIsEPslEEPllNS8_6detail34convert_binary_result_type_wrapperINS8_3SumESD_lEEEE10hipError_tPvRmT1_T2_T3_mT4_P12ihipStream_tbEUlT_E0_NS1_11comp_targetILNS1_3genE10ELNS1_11target_archE1200ELNS1_3gpuE4ELNS1_3repE0EEENS1_30default_config_static_selectorELNS0_4arch9wavefront6targetE1EEEvSM_.has_dyn_sized_stack, 0
	.set _ZN7rocprim17ROCPRIM_400000_NS6detail17trampoline_kernelINS0_14default_configENS1_22reduce_config_selectorIbEEZNS1_11reduce_implILb1ES3_N6hipcub16HIPCUB_304000_NS22TransformInputIteratorIb7NonZeroIsEPslEEPllNS8_6detail34convert_binary_result_type_wrapperINS8_3SumESD_lEEEE10hipError_tPvRmT1_T2_T3_mT4_P12ihipStream_tbEUlT_E0_NS1_11comp_targetILNS1_3genE10ELNS1_11target_archE1200ELNS1_3gpuE4ELNS1_3repE0EEENS1_30default_config_static_selectorELNS0_4arch9wavefront6targetE1EEEvSM_.has_recursion, 0
	.set _ZN7rocprim17ROCPRIM_400000_NS6detail17trampoline_kernelINS0_14default_configENS1_22reduce_config_selectorIbEEZNS1_11reduce_implILb1ES3_N6hipcub16HIPCUB_304000_NS22TransformInputIteratorIb7NonZeroIsEPslEEPllNS8_6detail34convert_binary_result_type_wrapperINS8_3SumESD_lEEEE10hipError_tPvRmT1_T2_T3_mT4_P12ihipStream_tbEUlT_E0_NS1_11comp_targetILNS1_3genE10ELNS1_11target_archE1200ELNS1_3gpuE4ELNS1_3repE0EEENS1_30default_config_static_selectorELNS0_4arch9wavefront6targetE1EEEvSM_.has_indirect_call, 0
	.section	.AMDGPU.csdata,"",@progbits
; Kernel info:
; codeLenInByte = 0
; TotalNumSgprs: 4
; NumVgprs: 0
; ScratchSize: 0
; MemoryBound: 0
; FloatMode: 240
; IeeeMode: 1
; LDSByteSize: 0 bytes/workgroup (compile time only)
; SGPRBlocks: 0
; VGPRBlocks: 0
; NumSGPRsForWavesPerEU: 4
; NumVGPRsForWavesPerEU: 1
; Occupancy: 10
; WaveLimiterHint : 0
; COMPUTE_PGM_RSRC2:SCRATCH_EN: 0
; COMPUTE_PGM_RSRC2:USER_SGPR: 6
; COMPUTE_PGM_RSRC2:TRAP_HANDLER: 0
; COMPUTE_PGM_RSRC2:TGID_X_EN: 1
; COMPUTE_PGM_RSRC2:TGID_Y_EN: 0
; COMPUTE_PGM_RSRC2:TGID_Z_EN: 0
; COMPUTE_PGM_RSRC2:TIDIG_COMP_CNT: 0
	.section	.text._ZN7rocprim17ROCPRIM_400000_NS6detail17trampoline_kernelINS0_14default_configENS1_22reduce_config_selectorIbEEZNS1_11reduce_implILb1ES3_N6hipcub16HIPCUB_304000_NS22TransformInputIteratorIb7NonZeroIsEPslEEPllNS8_6detail34convert_binary_result_type_wrapperINS8_3SumESD_lEEEE10hipError_tPvRmT1_T2_T3_mT4_P12ihipStream_tbEUlT_E0_NS1_11comp_targetILNS1_3genE9ELNS1_11target_archE1100ELNS1_3gpuE3ELNS1_3repE0EEENS1_30default_config_static_selectorELNS0_4arch9wavefront6targetE1EEEvSM_,"axG",@progbits,_ZN7rocprim17ROCPRIM_400000_NS6detail17trampoline_kernelINS0_14default_configENS1_22reduce_config_selectorIbEEZNS1_11reduce_implILb1ES3_N6hipcub16HIPCUB_304000_NS22TransformInputIteratorIb7NonZeroIsEPslEEPllNS8_6detail34convert_binary_result_type_wrapperINS8_3SumESD_lEEEE10hipError_tPvRmT1_T2_T3_mT4_P12ihipStream_tbEUlT_E0_NS1_11comp_targetILNS1_3genE9ELNS1_11target_archE1100ELNS1_3gpuE3ELNS1_3repE0EEENS1_30default_config_static_selectorELNS0_4arch9wavefront6targetE1EEEvSM_,comdat
	.protected	_ZN7rocprim17ROCPRIM_400000_NS6detail17trampoline_kernelINS0_14default_configENS1_22reduce_config_selectorIbEEZNS1_11reduce_implILb1ES3_N6hipcub16HIPCUB_304000_NS22TransformInputIteratorIb7NonZeroIsEPslEEPllNS8_6detail34convert_binary_result_type_wrapperINS8_3SumESD_lEEEE10hipError_tPvRmT1_T2_T3_mT4_P12ihipStream_tbEUlT_E0_NS1_11comp_targetILNS1_3genE9ELNS1_11target_archE1100ELNS1_3gpuE3ELNS1_3repE0EEENS1_30default_config_static_selectorELNS0_4arch9wavefront6targetE1EEEvSM_ ; -- Begin function _ZN7rocprim17ROCPRIM_400000_NS6detail17trampoline_kernelINS0_14default_configENS1_22reduce_config_selectorIbEEZNS1_11reduce_implILb1ES3_N6hipcub16HIPCUB_304000_NS22TransformInputIteratorIb7NonZeroIsEPslEEPllNS8_6detail34convert_binary_result_type_wrapperINS8_3SumESD_lEEEE10hipError_tPvRmT1_T2_T3_mT4_P12ihipStream_tbEUlT_E0_NS1_11comp_targetILNS1_3genE9ELNS1_11target_archE1100ELNS1_3gpuE3ELNS1_3repE0EEENS1_30default_config_static_selectorELNS0_4arch9wavefront6targetE1EEEvSM_
	.globl	_ZN7rocprim17ROCPRIM_400000_NS6detail17trampoline_kernelINS0_14default_configENS1_22reduce_config_selectorIbEEZNS1_11reduce_implILb1ES3_N6hipcub16HIPCUB_304000_NS22TransformInputIteratorIb7NonZeroIsEPslEEPllNS8_6detail34convert_binary_result_type_wrapperINS8_3SumESD_lEEEE10hipError_tPvRmT1_T2_T3_mT4_P12ihipStream_tbEUlT_E0_NS1_11comp_targetILNS1_3genE9ELNS1_11target_archE1100ELNS1_3gpuE3ELNS1_3repE0EEENS1_30default_config_static_selectorELNS0_4arch9wavefront6targetE1EEEvSM_
	.p2align	8
	.type	_ZN7rocprim17ROCPRIM_400000_NS6detail17trampoline_kernelINS0_14default_configENS1_22reduce_config_selectorIbEEZNS1_11reduce_implILb1ES3_N6hipcub16HIPCUB_304000_NS22TransformInputIteratorIb7NonZeroIsEPslEEPllNS8_6detail34convert_binary_result_type_wrapperINS8_3SumESD_lEEEE10hipError_tPvRmT1_T2_T3_mT4_P12ihipStream_tbEUlT_E0_NS1_11comp_targetILNS1_3genE9ELNS1_11target_archE1100ELNS1_3gpuE3ELNS1_3repE0EEENS1_30default_config_static_selectorELNS0_4arch9wavefront6targetE1EEEvSM_,@function
_ZN7rocprim17ROCPRIM_400000_NS6detail17trampoline_kernelINS0_14default_configENS1_22reduce_config_selectorIbEEZNS1_11reduce_implILb1ES3_N6hipcub16HIPCUB_304000_NS22TransformInputIteratorIb7NonZeroIsEPslEEPllNS8_6detail34convert_binary_result_type_wrapperINS8_3SumESD_lEEEE10hipError_tPvRmT1_T2_T3_mT4_P12ihipStream_tbEUlT_E0_NS1_11comp_targetILNS1_3genE9ELNS1_11target_archE1100ELNS1_3gpuE3ELNS1_3repE0EEENS1_30default_config_static_selectorELNS0_4arch9wavefront6targetE1EEEvSM_: ; @_ZN7rocprim17ROCPRIM_400000_NS6detail17trampoline_kernelINS0_14default_configENS1_22reduce_config_selectorIbEEZNS1_11reduce_implILb1ES3_N6hipcub16HIPCUB_304000_NS22TransformInputIteratorIb7NonZeroIsEPslEEPllNS8_6detail34convert_binary_result_type_wrapperINS8_3SumESD_lEEEE10hipError_tPvRmT1_T2_T3_mT4_P12ihipStream_tbEUlT_E0_NS1_11comp_targetILNS1_3genE9ELNS1_11target_archE1100ELNS1_3gpuE3ELNS1_3repE0EEENS1_30default_config_static_selectorELNS0_4arch9wavefront6targetE1EEEvSM_
; %bb.0:
	.section	.rodata,"a",@progbits
	.p2align	6, 0x0
	.amdhsa_kernel _ZN7rocprim17ROCPRIM_400000_NS6detail17trampoline_kernelINS0_14default_configENS1_22reduce_config_selectorIbEEZNS1_11reduce_implILb1ES3_N6hipcub16HIPCUB_304000_NS22TransformInputIteratorIb7NonZeroIsEPslEEPllNS8_6detail34convert_binary_result_type_wrapperINS8_3SumESD_lEEEE10hipError_tPvRmT1_T2_T3_mT4_P12ihipStream_tbEUlT_E0_NS1_11comp_targetILNS1_3genE9ELNS1_11target_archE1100ELNS1_3gpuE3ELNS1_3repE0EEENS1_30default_config_static_selectorELNS0_4arch9wavefront6targetE1EEEvSM_
		.amdhsa_group_segment_fixed_size 0
		.amdhsa_private_segment_fixed_size 0
		.amdhsa_kernarg_size 72
		.amdhsa_user_sgpr_count 6
		.amdhsa_user_sgpr_private_segment_buffer 1
		.amdhsa_user_sgpr_dispatch_ptr 0
		.amdhsa_user_sgpr_queue_ptr 0
		.amdhsa_user_sgpr_kernarg_segment_ptr 1
		.amdhsa_user_sgpr_dispatch_id 0
		.amdhsa_user_sgpr_flat_scratch_init 0
		.amdhsa_user_sgpr_private_segment_size 0
		.amdhsa_uses_dynamic_stack 0
		.amdhsa_system_sgpr_private_segment_wavefront_offset 0
		.amdhsa_system_sgpr_workgroup_id_x 1
		.amdhsa_system_sgpr_workgroup_id_y 0
		.amdhsa_system_sgpr_workgroup_id_z 0
		.amdhsa_system_sgpr_workgroup_info 0
		.amdhsa_system_vgpr_workitem_id 0
		.amdhsa_next_free_vgpr 1
		.amdhsa_next_free_sgpr 0
		.amdhsa_reserve_vcc 0
		.amdhsa_reserve_flat_scratch 0
		.amdhsa_float_round_mode_32 0
		.amdhsa_float_round_mode_16_64 0
		.amdhsa_float_denorm_mode_32 3
		.amdhsa_float_denorm_mode_16_64 3
		.amdhsa_dx10_clamp 1
		.amdhsa_ieee_mode 1
		.amdhsa_fp16_overflow 0
		.amdhsa_exception_fp_ieee_invalid_op 0
		.amdhsa_exception_fp_denorm_src 0
		.amdhsa_exception_fp_ieee_div_zero 0
		.amdhsa_exception_fp_ieee_overflow 0
		.amdhsa_exception_fp_ieee_underflow 0
		.amdhsa_exception_fp_ieee_inexact 0
		.amdhsa_exception_int_div_zero 0
	.end_amdhsa_kernel
	.section	.text._ZN7rocprim17ROCPRIM_400000_NS6detail17trampoline_kernelINS0_14default_configENS1_22reduce_config_selectorIbEEZNS1_11reduce_implILb1ES3_N6hipcub16HIPCUB_304000_NS22TransformInputIteratorIb7NonZeroIsEPslEEPllNS8_6detail34convert_binary_result_type_wrapperINS8_3SumESD_lEEEE10hipError_tPvRmT1_T2_T3_mT4_P12ihipStream_tbEUlT_E0_NS1_11comp_targetILNS1_3genE9ELNS1_11target_archE1100ELNS1_3gpuE3ELNS1_3repE0EEENS1_30default_config_static_selectorELNS0_4arch9wavefront6targetE1EEEvSM_,"axG",@progbits,_ZN7rocprim17ROCPRIM_400000_NS6detail17trampoline_kernelINS0_14default_configENS1_22reduce_config_selectorIbEEZNS1_11reduce_implILb1ES3_N6hipcub16HIPCUB_304000_NS22TransformInputIteratorIb7NonZeroIsEPslEEPllNS8_6detail34convert_binary_result_type_wrapperINS8_3SumESD_lEEEE10hipError_tPvRmT1_T2_T3_mT4_P12ihipStream_tbEUlT_E0_NS1_11comp_targetILNS1_3genE9ELNS1_11target_archE1100ELNS1_3gpuE3ELNS1_3repE0EEENS1_30default_config_static_selectorELNS0_4arch9wavefront6targetE1EEEvSM_,comdat
.Lfunc_end106:
	.size	_ZN7rocprim17ROCPRIM_400000_NS6detail17trampoline_kernelINS0_14default_configENS1_22reduce_config_selectorIbEEZNS1_11reduce_implILb1ES3_N6hipcub16HIPCUB_304000_NS22TransformInputIteratorIb7NonZeroIsEPslEEPllNS8_6detail34convert_binary_result_type_wrapperINS8_3SumESD_lEEEE10hipError_tPvRmT1_T2_T3_mT4_P12ihipStream_tbEUlT_E0_NS1_11comp_targetILNS1_3genE9ELNS1_11target_archE1100ELNS1_3gpuE3ELNS1_3repE0EEENS1_30default_config_static_selectorELNS0_4arch9wavefront6targetE1EEEvSM_, .Lfunc_end106-_ZN7rocprim17ROCPRIM_400000_NS6detail17trampoline_kernelINS0_14default_configENS1_22reduce_config_selectorIbEEZNS1_11reduce_implILb1ES3_N6hipcub16HIPCUB_304000_NS22TransformInputIteratorIb7NonZeroIsEPslEEPllNS8_6detail34convert_binary_result_type_wrapperINS8_3SumESD_lEEEE10hipError_tPvRmT1_T2_T3_mT4_P12ihipStream_tbEUlT_E0_NS1_11comp_targetILNS1_3genE9ELNS1_11target_archE1100ELNS1_3gpuE3ELNS1_3repE0EEENS1_30default_config_static_selectorELNS0_4arch9wavefront6targetE1EEEvSM_
                                        ; -- End function
	.set _ZN7rocprim17ROCPRIM_400000_NS6detail17trampoline_kernelINS0_14default_configENS1_22reduce_config_selectorIbEEZNS1_11reduce_implILb1ES3_N6hipcub16HIPCUB_304000_NS22TransformInputIteratorIb7NonZeroIsEPslEEPllNS8_6detail34convert_binary_result_type_wrapperINS8_3SumESD_lEEEE10hipError_tPvRmT1_T2_T3_mT4_P12ihipStream_tbEUlT_E0_NS1_11comp_targetILNS1_3genE9ELNS1_11target_archE1100ELNS1_3gpuE3ELNS1_3repE0EEENS1_30default_config_static_selectorELNS0_4arch9wavefront6targetE1EEEvSM_.num_vgpr, 0
	.set _ZN7rocprim17ROCPRIM_400000_NS6detail17trampoline_kernelINS0_14default_configENS1_22reduce_config_selectorIbEEZNS1_11reduce_implILb1ES3_N6hipcub16HIPCUB_304000_NS22TransformInputIteratorIb7NonZeroIsEPslEEPllNS8_6detail34convert_binary_result_type_wrapperINS8_3SumESD_lEEEE10hipError_tPvRmT1_T2_T3_mT4_P12ihipStream_tbEUlT_E0_NS1_11comp_targetILNS1_3genE9ELNS1_11target_archE1100ELNS1_3gpuE3ELNS1_3repE0EEENS1_30default_config_static_selectorELNS0_4arch9wavefront6targetE1EEEvSM_.num_agpr, 0
	.set _ZN7rocprim17ROCPRIM_400000_NS6detail17trampoline_kernelINS0_14default_configENS1_22reduce_config_selectorIbEEZNS1_11reduce_implILb1ES3_N6hipcub16HIPCUB_304000_NS22TransformInputIteratorIb7NonZeroIsEPslEEPllNS8_6detail34convert_binary_result_type_wrapperINS8_3SumESD_lEEEE10hipError_tPvRmT1_T2_T3_mT4_P12ihipStream_tbEUlT_E0_NS1_11comp_targetILNS1_3genE9ELNS1_11target_archE1100ELNS1_3gpuE3ELNS1_3repE0EEENS1_30default_config_static_selectorELNS0_4arch9wavefront6targetE1EEEvSM_.numbered_sgpr, 0
	.set _ZN7rocprim17ROCPRIM_400000_NS6detail17trampoline_kernelINS0_14default_configENS1_22reduce_config_selectorIbEEZNS1_11reduce_implILb1ES3_N6hipcub16HIPCUB_304000_NS22TransformInputIteratorIb7NonZeroIsEPslEEPllNS8_6detail34convert_binary_result_type_wrapperINS8_3SumESD_lEEEE10hipError_tPvRmT1_T2_T3_mT4_P12ihipStream_tbEUlT_E0_NS1_11comp_targetILNS1_3genE9ELNS1_11target_archE1100ELNS1_3gpuE3ELNS1_3repE0EEENS1_30default_config_static_selectorELNS0_4arch9wavefront6targetE1EEEvSM_.num_named_barrier, 0
	.set _ZN7rocprim17ROCPRIM_400000_NS6detail17trampoline_kernelINS0_14default_configENS1_22reduce_config_selectorIbEEZNS1_11reduce_implILb1ES3_N6hipcub16HIPCUB_304000_NS22TransformInputIteratorIb7NonZeroIsEPslEEPllNS8_6detail34convert_binary_result_type_wrapperINS8_3SumESD_lEEEE10hipError_tPvRmT1_T2_T3_mT4_P12ihipStream_tbEUlT_E0_NS1_11comp_targetILNS1_3genE9ELNS1_11target_archE1100ELNS1_3gpuE3ELNS1_3repE0EEENS1_30default_config_static_selectorELNS0_4arch9wavefront6targetE1EEEvSM_.private_seg_size, 0
	.set _ZN7rocprim17ROCPRIM_400000_NS6detail17trampoline_kernelINS0_14default_configENS1_22reduce_config_selectorIbEEZNS1_11reduce_implILb1ES3_N6hipcub16HIPCUB_304000_NS22TransformInputIteratorIb7NonZeroIsEPslEEPllNS8_6detail34convert_binary_result_type_wrapperINS8_3SumESD_lEEEE10hipError_tPvRmT1_T2_T3_mT4_P12ihipStream_tbEUlT_E0_NS1_11comp_targetILNS1_3genE9ELNS1_11target_archE1100ELNS1_3gpuE3ELNS1_3repE0EEENS1_30default_config_static_selectorELNS0_4arch9wavefront6targetE1EEEvSM_.uses_vcc, 0
	.set _ZN7rocprim17ROCPRIM_400000_NS6detail17trampoline_kernelINS0_14default_configENS1_22reduce_config_selectorIbEEZNS1_11reduce_implILb1ES3_N6hipcub16HIPCUB_304000_NS22TransformInputIteratorIb7NonZeroIsEPslEEPllNS8_6detail34convert_binary_result_type_wrapperINS8_3SumESD_lEEEE10hipError_tPvRmT1_T2_T3_mT4_P12ihipStream_tbEUlT_E0_NS1_11comp_targetILNS1_3genE9ELNS1_11target_archE1100ELNS1_3gpuE3ELNS1_3repE0EEENS1_30default_config_static_selectorELNS0_4arch9wavefront6targetE1EEEvSM_.uses_flat_scratch, 0
	.set _ZN7rocprim17ROCPRIM_400000_NS6detail17trampoline_kernelINS0_14default_configENS1_22reduce_config_selectorIbEEZNS1_11reduce_implILb1ES3_N6hipcub16HIPCUB_304000_NS22TransformInputIteratorIb7NonZeroIsEPslEEPllNS8_6detail34convert_binary_result_type_wrapperINS8_3SumESD_lEEEE10hipError_tPvRmT1_T2_T3_mT4_P12ihipStream_tbEUlT_E0_NS1_11comp_targetILNS1_3genE9ELNS1_11target_archE1100ELNS1_3gpuE3ELNS1_3repE0EEENS1_30default_config_static_selectorELNS0_4arch9wavefront6targetE1EEEvSM_.has_dyn_sized_stack, 0
	.set _ZN7rocprim17ROCPRIM_400000_NS6detail17trampoline_kernelINS0_14default_configENS1_22reduce_config_selectorIbEEZNS1_11reduce_implILb1ES3_N6hipcub16HIPCUB_304000_NS22TransformInputIteratorIb7NonZeroIsEPslEEPllNS8_6detail34convert_binary_result_type_wrapperINS8_3SumESD_lEEEE10hipError_tPvRmT1_T2_T3_mT4_P12ihipStream_tbEUlT_E0_NS1_11comp_targetILNS1_3genE9ELNS1_11target_archE1100ELNS1_3gpuE3ELNS1_3repE0EEENS1_30default_config_static_selectorELNS0_4arch9wavefront6targetE1EEEvSM_.has_recursion, 0
	.set _ZN7rocprim17ROCPRIM_400000_NS6detail17trampoline_kernelINS0_14default_configENS1_22reduce_config_selectorIbEEZNS1_11reduce_implILb1ES3_N6hipcub16HIPCUB_304000_NS22TransformInputIteratorIb7NonZeroIsEPslEEPllNS8_6detail34convert_binary_result_type_wrapperINS8_3SumESD_lEEEE10hipError_tPvRmT1_T2_T3_mT4_P12ihipStream_tbEUlT_E0_NS1_11comp_targetILNS1_3genE9ELNS1_11target_archE1100ELNS1_3gpuE3ELNS1_3repE0EEENS1_30default_config_static_selectorELNS0_4arch9wavefront6targetE1EEEvSM_.has_indirect_call, 0
	.section	.AMDGPU.csdata,"",@progbits
; Kernel info:
; codeLenInByte = 0
; TotalNumSgprs: 4
; NumVgprs: 0
; ScratchSize: 0
; MemoryBound: 0
; FloatMode: 240
; IeeeMode: 1
; LDSByteSize: 0 bytes/workgroup (compile time only)
; SGPRBlocks: 0
; VGPRBlocks: 0
; NumSGPRsForWavesPerEU: 4
; NumVGPRsForWavesPerEU: 1
; Occupancy: 10
; WaveLimiterHint : 0
; COMPUTE_PGM_RSRC2:SCRATCH_EN: 0
; COMPUTE_PGM_RSRC2:USER_SGPR: 6
; COMPUTE_PGM_RSRC2:TRAP_HANDLER: 0
; COMPUTE_PGM_RSRC2:TGID_X_EN: 1
; COMPUTE_PGM_RSRC2:TGID_Y_EN: 0
; COMPUTE_PGM_RSRC2:TGID_Z_EN: 0
; COMPUTE_PGM_RSRC2:TIDIG_COMP_CNT: 0
	.section	.text._ZN7rocprim17ROCPRIM_400000_NS6detail17trampoline_kernelINS0_14default_configENS1_22reduce_config_selectorIbEEZNS1_11reduce_implILb1ES3_N6hipcub16HIPCUB_304000_NS22TransformInputIteratorIb7NonZeroIsEPslEEPllNS8_6detail34convert_binary_result_type_wrapperINS8_3SumESD_lEEEE10hipError_tPvRmT1_T2_T3_mT4_P12ihipStream_tbEUlT_E0_NS1_11comp_targetILNS1_3genE8ELNS1_11target_archE1030ELNS1_3gpuE2ELNS1_3repE0EEENS1_30default_config_static_selectorELNS0_4arch9wavefront6targetE1EEEvSM_,"axG",@progbits,_ZN7rocprim17ROCPRIM_400000_NS6detail17trampoline_kernelINS0_14default_configENS1_22reduce_config_selectorIbEEZNS1_11reduce_implILb1ES3_N6hipcub16HIPCUB_304000_NS22TransformInputIteratorIb7NonZeroIsEPslEEPllNS8_6detail34convert_binary_result_type_wrapperINS8_3SumESD_lEEEE10hipError_tPvRmT1_T2_T3_mT4_P12ihipStream_tbEUlT_E0_NS1_11comp_targetILNS1_3genE8ELNS1_11target_archE1030ELNS1_3gpuE2ELNS1_3repE0EEENS1_30default_config_static_selectorELNS0_4arch9wavefront6targetE1EEEvSM_,comdat
	.protected	_ZN7rocprim17ROCPRIM_400000_NS6detail17trampoline_kernelINS0_14default_configENS1_22reduce_config_selectorIbEEZNS1_11reduce_implILb1ES3_N6hipcub16HIPCUB_304000_NS22TransformInputIteratorIb7NonZeroIsEPslEEPllNS8_6detail34convert_binary_result_type_wrapperINS8_3SumESD_lEEEE10hipError_tPvRmT1_T2_T3_mT4_P12ihipStream_tbEUlT_E0_NS1_11comp_targetILNS1_3genE8ELNS1_11target_archE1030ELNS1_3gpuE2ELNS1_3repE0EEENS1_30default_config_static_selectorELNS0_4arch9wavefront6targetE1EEEvSM_ ; -- Begin function _ZN7rocprim17ROCPRIM_400000_NS6detail17trampoline_kernelINS0_14default_configENS1_22reduce_config_selectorIbEEZNS1_11reduce_implILb1ES3_N6hipcub16HIPCUB_304000_NS22TransformInputIteratorIb7NonZeroIsEPslEEPllNS8_6detail34convert_binary_result_type_wrapperINS8_3SumESD_lEEEE10hipError_tPvRmT1_T2_T3_mT4_P12ihipStream_tbEUlT_E0_NS1_11comp_targetILNS1_3genE8ELNS1_11target_archE1030ELNS1_3gpuE2ELNS1_3repE0EEENS1_30default_config_static_selectorELNS0_4arch9wavefront6targetE1EEEvSM_
	.globl	_ZN7rocprim17ROCPRIM_400000_NS6detail17trampoline_kernelINS0_14default_configENS1_22reduce_config_selectorIbEEZNS1_11reduce_implILb1ES3_N6hipcub16HIPCUB_304000_NS22TransformInputIteratorIb7NonZeroIsEPslEEPllNS8_6detail34convert_binary_result_type_wrapperINS8_3SumESD_lEEEE10hipError_tPvRmT1_T2_T3_mT4_P12ihipStream_tbEUlT_E0_NS1_11comp_targetILNS1_3genE8ELNS1_11target_archE1030ELNS1_3gpuE2ELNS1_3repE0EEENS1_30default_config_static_selectorELNS0_4arch9wavefront6targetE1EEEvSM_
	.p2align	8
	.type	_ZN7rocprim17ROCPRIM_400000_NS6detail17trampoline_kernelINS0_14default_configENS1_22reduce_config_selectorIbEEZNS1_11reduce_implILb1ES3_N6hipcub16HIPCUB_304000_NS22TransformInputIteratorIb7NonZeroIsEPslEEPllNS8_6detail34convert_binary_result_type_wrapperINS8_3SumESD_lEEEE10hipError_tPvRmT1_T2_T3_mT4_P12ihipStream_tbEUlT_E0_NS1_11comp_targetILNS1_3genE8ELNS1_11target_archE1030ELNS1_3gpuE2ELNS1_3repE0EEENS1_30default_config_static_selectorELNS0_4arch9wavefront6targetE1EEEvSM_,@function
_ZN7rocprim17ROCPRIM_400000_NS6detail17trampoline_kernelINS0_14default_configENS1_22reduce_config_selectorIbEEZNS1_11reduce_implILb1ES3_N6hipcub16HIPCUB_304000_NS22TransformInputIteratorIb7NonZeroIsEPslEEPllNS8_6detail34convert_binary_result_type_wrapperINS8_3SumESD_lEEEE10hipError_tPvRmT1_T2_T3_mT4_P12ihipStream_tbEUlT_E0_NS1_11comp_targetILNS1_3genE8ELNS1_11target_archE1030ELNS1_3gpuE2ELNS1_3repE0EEENS1_30default_config_static_selectorELNS0_4arch9wavefront6targetE1EEEvSM_: ; @_ZN7rocprim17ROCPRIM_400000_NS6detail17trampoline_kernelINS0_14default_configENS1_22reduce_config_selectorIbEEZNS1_11reduce_implILb1ES3_N6hipcub16HIPCUB_304000_NS22TransformInputIteratorIb7NonZeroIsEPslEEPllNS8_6detail34convert_binary_result_type_wrapperINS8_3SumESD_lEEEE10hipError_tPvRmT1_T2_T3_mT4_P12ihipStream_tbEUlT_E0_NS1_11comp_targetILNS1_3genE8ELNS1_11target_archE1030ELNS1_3gpuE2ELNS1_3repE0EEENS1_30default_config_static_selectorELNS0_4arch9wavefront6targetE1EEEvSM_
; %bb.0:
	.section	.rodata,"a",@progbits
	.p2align	6, 0x0
	.amdhsa_kernel _ZN7rocprim17ROCPRIM_400000_NS6detail17trampoline_kernelINS0_14default_configENS1_22reduce_config_selectorIbEEZNS1_11reduce_implILb1ES3_N6hipcub16HIPCUB_304000_NS22TransformInputIteratorIb7NonZeroIsEPslEEPllNS8_6detail34convert_binary_result_type_wrapperINS8_3SumESD_lEEEE10hipError_tPvRmT1_T2_T3_mT4_P12ihipStream_tbEUlT_E0_NS1_11comp_targetILNS1_3genE8ELNS1_11target_archE1030ELNS1_3gpuE2ELNS1_3repE0EEENS1_30default_config_static_selectorELNS0_4arch9wavefront6targetE1EEEvSM_
		.amdhsa_group_segment_fixed_size 0
		.amdhsa_private_segment_fixed_size 0
		.amdhsa_kernarg_size 72
		.amdhsa_user_sgpr_count 6
		.amdhsa_user_sgpr_private_segment_buffer 1
		.amdhsa_user_sgpr_dispatch_ptr 0
		.amdhsa_user_sgpr_queue_ptr 0
		.amdhsa_user_sgpr_kernarg_segment_ptr 1
		.amdhsa_user_sgpr_dispatch_id 0
		.amdhsa_user_sgpr_flat_scratch_init 0
		.amdhsa_user_sgpr_private_segment_size 0
		.amdhsa_uses_dynamic_stack 0
		.amdhsa_system_sgpr_private_segment_wavefront_offset 0
		.amdhsa_system_sgpr_workgroup_id_x 1
		.amdhsa_system_sgpr_workgroup_id_y 0
		.amdhsa_system_sgpr_workgroup_id_z 0
		.amdhsa_system_sgpr_workgroup_info 0
		.amdhsa_system_vgpr_workitem_id 0
		.amdhsa_next_free_vgpr 1
		.amdhsa_next_free_sgpr 0
		.amdhsa_reserve_vcc 0
		.amdhsa_reserve_flat_scratch 0
		.amdhsa_float_round_mode_32 0
		.amdhsa_float_round_mode_16_64 0
		.amdhsa_float_denorm_mode_32 3
		.amdhsa_float_denorm_mode_16_64 3
		.amdhsa_dx10_clamp 1
		.amdhsa_ieee_mode 1
		.amdhsa_fp16_overflow 0
		.amdhsa_exception_fp_ieee_invalid_op 0
		.amdhsa_exception_fp_denorm_src 0
		.amdhsa_exception_fp_ieee_div_zero 0
		.amdhsa_exception_fp_ieee_overflow 0
		.amdhsa_exception_fp_ieee_underflow 0
		.amdhsa_exception_fp_ieee_inexact 0
		.amdhsa_exception_int_div_zero 0
	.end_amdhsa_kernel
	.section	.text._ZN7rocprim17ROCPRIM_400000_NS6detail17trampoline_kernelINS0_14default_configENS1_22reduce_config_selectorIbEEZNS1_11reduce_implILb1ES3_N6hipcub16HIPCUB_304000_NS22TransformInputIteratorIb7NonZeroIsEPslEEPllNS8_6detail34convert_binary_result_type_wrapperINS8_3SumESD_lEEEE10hipError_tPvRmT1_T2_T3_mT4_P12ihipStream_tbEUlT_E0_NS1_11comp_targetILNS1_3genE8ELNS1_11target_archE1030ELNS1_3gpuE2ELNS1_3repE0EEENS1_30default_config_static_selectorELNS0_4arch9wavefront6targetE1EEEvSM_,"axG",@progbits,_ZN7rocprim17ROCPRIM_400000_NS6detail17trampoline_kernelINS0_14default_configENS1_22reduce_config_selectorIbEEZNS1_11reduce_implILb1ES3_N6hipcub16HIPCUB_304000_NS22TransformInputIteratorIb7NonZeroIsEPslEEPllNS8_6detail34convert_binary_result_type_wrapperINS8_3SumESD_lEEEE10hipError_tPvRmT1_T2_T3_mT4_P12ihipStream_tbEUlT_E0_NS1_11comp_targetILNS1_3genE8ELNS1_11target_archE1030ELNS1_3gpuE2ELNS1_3repE0EEENS1_30default_config_static_selectorELNS0_4arch9wavefront6targetE1EEEvSM_,comdat
.Lfunc_end107:
	.size	_ZN7rocprim17ROCPRIM_400000_NS6detail17trampoline_kernelINS0_14default_configENS1_22reduce_config_selectorIbEEZNS1_11reduce_implILb1ES3_N6hipcub16HIPCUB_304000_NS22TransformInputIteratorIb7NonZeroIsEPslEEPllNS8_6detail34convert_binary_result_type_wrapperINS8_3SumESD_lEEEE10hipError_tPvRmT1_T2_T3_mT4_P12ihipStream_tbEUlT_E0_NS1_11comp_targetILNS1_3genE8ELNS1_11target_archE1030ELNS1_3gpuE2ELNS1_3repE0EEENS1_30default_config_static_selectorELNS0_4arch9wavefront6targetE1EEEvSM_, .Lfunc_end107-_ZN7rocprim17ROCPRIM_400000_NS6detail17trampoline_kernelINS0_14default_configENS1_22reduce_config_selectorIbEEZNS1_11reduce_implILb1ES3_N6hipcub16HIPCUB_304000_NS22TransformInputIteratorIb7NonZeroIsEPslEEPllNS8_6detail34convert_binary_result_type_wrapperINS8_3SumESD_lEEEE10hipError_tPvRmT1_T2_T3_mT4_P12ihipStream_tbEUlT_E0_NS1_11comp_targetILNS1_3genE8ELNS1_11target_archE1030ELNS1_3gpuE2ELNS1_3repE0EEENS1_30default_config_static_selectorELNS0_4arch9wavefront6targetE1EEEvSM_
                                        ; -- End function
	.set _ZN7rocprim17ROCPRIM_400000_NS6detail17trampoline_kernelINS0_14default_configENS1_22reduce_config_selectorIbEEZNS1_11reduce_implILb1ES3_N6hipcub16HIPCUB_304000_NS22TransformInputIteratorIb7NonZeroIsEPslEEPllNS8_6detail34convert_binary_result_type_wrapperINS8_3SumESD_lEEEE10hipError_tPvRmT1_T2_T3_mT4_P12ihipStream_tbEUlT_E0_NS1_11comp_targetILNS1_3genE8ELNS1_11target_archE1030ELNS1_3gpuE2ELNS1_3repE0EEENS1_30default_config_static_selectorELNS0_4arch9wavefront6targetE1EEEvSM_.num_vgpr, 0
	.set _ZN7rocprim17ROCPRIM_400000_NS6detail17trampoline_kernelINS0_14default_configENS1_22reduce_config_selectorIbEEZNS1_11reduce_implILb1ES3_N6hipcub16HIPCUB_304000_NS22TransformInputIteratorIb7NonZeroIsEPslEEPllNS8_6detail34convert_binary_result_type_wrapperINS8_3SumESD_lEEEE10hipError_tPvRmT1_T2_T3_mT4_P12ihipStream_tbEUlT_E0_NS1_11comp_targetILNS1_3genE8ELNS1_11target_archE1030ELNS1_3gpuE2ELNS1_3repE0EEENS1_30default_config_static_selectorELNS0_4arch9wavefront6targetE1EEEvSM_.num_agpr, 0
	.set _ZN7rocprim17ROCPRIM_400000_NS6detail17trampoline_kernelINS0_14default_configENS1_22reduce_config_selectorIbEEZNS1_11reduce_implILb1ES3_N6hipcub16HIPCUB_304000_NS22TransformInputIteratorIb7NonZeroIsEPslEEPllNS8_6detail34convert_binary_result_type_wrapperINS8_3SumESD_lEEEE10hipError_tPvRmT1_T2_T3_mT4_P12ihipStream_tbEUlT_E0_NS1_11comp_targetILNS1_3genE8ELNS1_11target_archE1030ELNS1_3gpuE2ELNS1_3repE0EEENS1_30default_config_static_selectorELNS0_4arch9wavefront6targetE1EEEvSM_.numbered_sgpr, 0
	.set _ZN7rocprim17ROCPRIM_400000_NS6detail17trampoline_kernelINS0_14default_configENS1_22reduce_config_selectorIbEEZNS1_11reduce_implILb1ES3_N6hipcub16HIPCUB_304000_NS22TransformInputIteratorIb7NonZeroIsEPslEEPllNS8_6detail34convert_binary_result_type_wrapperINS8_3SumESD_lEEEE10hipError_tPvRmT1_T2_T3_mT4_P12ihipStream_tbEUlT_E0_NS1_11comp_targetILNS1_3genE8ELNS1_11target_archE1030ELNS1_3gpuE2ELNS1_3repE0EEENS1_30default_config_static_selectorELNS0_4arch9wavefront6targetE1EEEvSM_.num_named_barrier, 0
	.set _ZN7rocprim17ROCPRIM_400000_NS6detail17trampoline_kernelINS0_14default_configENS1_22reduce_config_selectorIbEEZNS1_11reduce_implILb1ES3_N6hipcub16HIPCUB_304000_NS22TransformInputIteratorIb7NonZeroIsEPslEEPllNS8_6detail34convert_binary_result_type_wrapperINS8_3SumESD_lEEEE10hipError_tPvRmT1_T2_T3_mT4_P12ihipStream_tbEUlT_E0_NS1_11comp_targetILNS1_3genE8ELNS1_11target_archE1030ELNS1_3gpuE2ELNS1_3repE0EEENS1_30default_config_static_selectorELNS0_4arch9wavefront6targetE1EEEvSM_.private_seg_size, 0
	.set _ZN7rocprim17ROCPRIM_400000_NS6detail17trampoline_kernelINS0_14default_configENS1_22reduce_config_selectorIbEEZNS1_11reduce_implILb1ES3_N6hipcub16HIPCUB_304000_NS22TransformInputIteratorIb7NonZeroIsEPslEEPllNS8_6detail34convert_binary_result_type_wrapperINS8_3SumESD_lEEEE10hipError_tPvRmT1_T2_T3_mT4_P12ihipStream_tbEUlT_E0_NS1_11comp_targetILNS1_3genE8ELNS1_11target_archE1030ELNS1_3gpuE2ELNS1_3repE0EEENS1_30default_config_static_selectorELNS0_4arch9wavefront6targetE1EEEvSM_.uses_vcc, 0
	.set _ZN7rocprim17ROCPRIM_400000_NS6detail17trampoline_kernelINS0_14default_configENS1_22reduce_config_selectorIbEEZNS1_11reduce_implILb1ES3_N6hipcub16HIPCUB_304000_NS22TransformInputIteratorIb7NonZeroIsEPslEEPllNS8_6detail34convert_binary_result_type_wrapperINS8_3SumESD_lEEEE10hipError_tPvRmT1_T2_T3_mT4_P12ihipStream_tbEUlT_E0_NS1_11comp_targetILNS1_3genE8ELNS1_11target_archE1030ELNS1_3gpuE2ELNS1_3repE0EEENS1_30default_config_static_selectorELNS0_4arch9wavefront6targetE1EEEvSM_.uses_flat_scratch, 0
	.set _ZN7rocprim17ROCPRIM_400000_NS6detail17trampoline_kernelINS0_14default_configENS1_22reduce_config_selectorIbEEZNS1_11reduce_implILb1ES3_N6hipcub16HIPCUB_304000_NS22TransformInputIteratorIb7NonZeroIsEPslEEPllNS8_6detail34convert_binary_result_type_wrapperINS8_3SumESD_lEEEE10hipError_tPvRmT1_T2_T3_mT4_P12ihipStream_tbEUlT_E0_NS1_11comp_targetILNS1_3genE8ELNS1_11target_archE1030ELNS1_3gpuE2ELNS1_3repE0EEENS1_30default_config_static_selectorELNS0_4arch9wavefront6targetE1EEEvSM_.has_dyn_sized_stack, 0
	.set _ZN7rocprim17ROCPRIM_400000_NS6detail17trampoline_kernelINS0_14default_configENS1_22reduce_config_selectorIbEEZNS1_11reduce_implILb1ES3_N6hipcub16HIPCUB_304000_NS22TransformInputIteratorIb7NonZeroIsEPslEEPllNS8_6detail34convert_binary_result_type_wrapperINS8_3SumESD_lEEEE10hipError_tPvRmT1_T2_T3_mT4_P12ihipStream_tbEUlT_E0_NS1_11comp_targetILNS1_3genE8ELNS1_11target_archE1030ELNS1_3gpuE2ELNS1_3repE0EEENS1_30default_config_static_selectorELNS0_4arch9wavefront6targetE1EEEvSM_.has_recursion, 0
	.set _ZN7rocprim17ROCPRIM_400000_NS6detail17trampoline_kernelINS0_14default_configENS1_22reduce_config_selectorIbEEZNS1_11reduce_implILb1ES3_N6hipcub16HIPCUB_304000_NS22TransformInputIteratorIb7NonZeroIsEPslEEPllNS8_6detail34convert_binary_result_type_wrapperINS8_3SumESD_lEEEE10hipError_tPvRmT1_T2_T3_mT4_P12ihipStream_tbEUlT_E0_NS1_11comp_targetILNS1_3genE8ELNS1_11target_archE1030ELNS1_3gpuE2ELNS1_3repE0EEENS1_30default_config_static_selectorELNS0_4arch9wavefront6targetE1EEEvSM_.has_indirect_call, 0
	.section	.AMDGPU.csdata,"",@progbits
; Kernel info:
; codeLenInByte = 0
; TotalNumSgprs: 4
; NumVgprs: 0
; ScratchSize: 0
; MemoryBound: 0
; FloatMode: 240
; IeeeMode: 1
; LDSByteSize: 0 bytes/workgroup (compile time only)
; SGPRBlocks: 0
; VGPRBlocks: 0
; NumSGPRsForWavesPerEU: 4
; NumVGPRsForWavesPerEU: 1
; Occupancy: 10
; WaveLimiterHint : 0
; COMPUTE_PGM_RSRC2:SCRATCH_EN: 0
; COMPUTE_PGM_RSRC2:USER_SGPR: 6
; COMPUTE_PGM_RSRC2:TRAP_HANDLER: 0
; COMPUTE_PGM_RSRC2:TGID_X_EN: 1
; COMPUTE_PGM_RSRC2:TGID_Y_EN: 0
; COMPUTE_PGM_RSRC2:TGID_Z_EN: 0
; COMPUTE_PGM_RSRC2:TIDIG_COMP_CNT: 0
	.section	.text._ZN7rocprim17ROCPRIM_400000_NS6detail17trampoline_kernelINS0_14default_configENS1_22reduce_config_selectorIbEEZNS1_11reduce_implILb1ES3_N6hipcub16HIPCUB_304000_NS22TransformInputIteratorIb7NonZeroIsEPslEEPllNS8_6detail34convert_binary_result_type_wrapperINS8_3SumESD_lEEEE10hipError_tPvRmT1_T2_T3_mT4_P12ihipStream_tbEUlT_E1_NS1_11comp_targetILNS1_3genE0ELNS1_11target_archE4294967295ELNS1_3gpuE0ELNS1_3repE0EEENS1_30default_config_static_selectorELNS0_4arch9wavefront6targetE1EEEvSM_,"axG",@progbits,_ZN7rocprim17ROCPRIM_400000_NS6detail17trampoline_kernelINS0_14default_configENS1_22reduce_config_selectorIbEEZNS1_11reduce_implILb1ES3_N6hipcub16HIPCUB_304000_NS22TransformInputIteratorIb7NonZeroIsEPslEEPllNS8_6detail34convert_binary_result_type_wrapperINS8_3SumESD_lEEEE10hipError_tPvRmT1_T2_T3_mT4_P12ihipStream_tbEUlT_E1_NS1_11comp_targetILNS1_3genE0ELNS1_11target_archE4294967295ELNS1_3gpuE0ELNS1_3repE0EEENS1_30default_config_static_selectorELNS0_4arch9wavefront6targetE1EEEvSM_,comdat
	.protected	_ZN7rocprim17ROCPRIM_400000_NS6detail17trampoline_kernelINS0_14default_configENS1_22reduce_config_selectorIbEEZNS1_11reduce_implILb1ES3_N6hipcub16HIPCUB_304000_NS22TransformInputIteratorIb7NonZeroIsEPslEEPllNS8_6detail34convert_binary_result_type_wrapperINS8_3SumESD_lEEEE10hipError_tPvRmT1_T2_T3_mT4_P12ihipStream_tbEUlT_E1_NS1_11comp_targetILNS1_3genE0ELNS1_11target_archE4294967295ELNS1_3gpuE0ELNS1_3repE0EEENS1_30default_config_static_selectorELNS0_4arch9wavefront6targetE1EEEvSM_ ; -- Begin function _ZN7rocprim17ROCPRIM_400000_NS6detail17trampoline_kernelINS0_14default_configENS1_22reduce_config_selectorIbEEZNS1_11reduce_implILb1ES3_N6hipcub16HIPCUB_304000_NS22TransformInputIteratorIb7NonZeroIsEPslEEPllNS8_6detail34convert_binary_result_type_wrapperINS8_3SumESD_lEEEE10hipError_tPvRmT1_T2_T3_mT4_P12ihipStream_tbEUlT_E1_NS1_11comp_targetILNS1_3genE0ELNS1_11target_archE4294967295ELNS1_3gpuE0ELNS1_3repE0EEENS1_30default_config_static_selectorELNS0_4arch9wavefront6targetE1EEEvSM_
	.globl	_ZN7rocprim17ROCPRIM_400000_NS6detail17trampoline_kernelINS0_14default_configENS1_22reduce_config_selectorIbEEZNS1_11reduce_implILb1ES3_N6hipcub16HIPCUB_304000_NS22TransformInputIteratorIb7NonZeroIsEPslEEPllNS8_6detail34convert_binary_result_type_wrapperINS8_3SumESD_lEEEE10hipError_tPvRmT1_T2_T3_mT4_P12ihipStream_tbEUlT_E1_NS1_11comp_targetILNS1_3genE0ELNS1_11target_archE4294967295ELNS1_3gpuE0ELNS1_3repE0EEENS1_30default_config_static_selectorELNS0_4arch9wavefront6targetE1EEEvSM_
	.p2align	8
	.type	_ZN7rocprim17ROCPRIM_400000_NS6detail17trampoline_kernelINS0_14default_configENS1_22reduce_config_selectorIbEEZNS1_11reduce_implILb1ES3_N6hipcub16HIPCUB_304000_NS22TransformInputIteratorIb7NonZeroIsEPslEEPllNS8_6detail34convert_binary_result_type_wrapperINS8_3SumESD_lEEEE10hipError_tPvRmT1_T2_T3_mT4_P12ihipStream_tbEUlT_E1_NS1_11comp_targetILNS1_3genE0ELNS1_11target_archE4294967295ELNS1_3gpuE0ELNS1_3repE0EEENS1_30default_config_static_selectorELNS0_4arch9wavefront6targetE1EEEvSM_,@function
_ZN7rocprim17ROCPRIM_400000_NS6detail17trampoline_kernelINS0_14default_configENS1_22reduce_config_selectorIbEEZNS1_11reduce_implILb1ES3_N6hipcub16HIPCUB_304000_NS22TransformInputIteratorIb7NonZeroIsEPslEEPllNS8_6detail34convert_binary_result_type_wrapperINS8_3SumESD_lEEEE10hipError_tPvRmT1_T2_T3_mT4_P12ihipStream_tbEUlT_E1_NS1_11comp_targetILNS1_3genE0ELNS1_11target_archE4294967295ELNS1_3gpuE0ELNS1_3repE0EEENS1_30default_config_static_selectorELNS0_4arch9wavefront6targetE1EEEvSM_: ; @_ZN7rocprim17ROCPRIM_400000_NS6detail17trampoline_kernelINS0_14default_configENS1_22reduce_config_selectorIbEEZNS1_11reduce_implILb1ES3_N6hipcub16HIPCUB_304000_NS22TransformInputIteratorIb7NonZeroIsEPslEEPllNS8_6detail34convert_binary_result_type_wrapperINS8_3SumESD_lEEEE10hipError_tPvRmT1_T2_T3_mT4_P12ihipStream_tbEUlT_E1_NS1_11comp_targetILNS1_3genE0ELNS1_11target_archE4294967295ELNS1_3gpuE0ELNS1_3repE0EEENS1_30default_config_static_selectorELNS0_4arch9wavefront6targetE1EEEvSM_
; %bb.0:
	.section	.rodata,"a",@progbits
	.p2align	6, 0x0
	.amdhsa_kernel _ZN7rocprim17ROCPRIM_400000_NS6detail17trampoline_kernelINS0_14default_configENS1_22reduce_config_selectorIbEEZNS1_11reduce_implILb1ES3_N6hipcub16HIPCUB_304000_NS22TransformInputIteratorIb7NonZeroIsEPslEEPllNS8_6detail34convert_binary_result_type_wrapperINS8_3SumESD_lEEEE10hipError_tPvRmT1_T2_T3_mT4_P12ihipStream_tbEUlT_E1_NS1_11comp_targetILNS1_3genE0ELNS1_11target_archE4294967295ELNS1_3gpuE0ELNS1_3repE0EEENS1_30default_config_static_selectorELNS0_4arch9wavefront6targetE1EEEvSM_
		.amdhsa_group_segment_fixed_size 0
		.amdhsa_private_segment_fixed_size 0
		.amdhsa_kernarg_size 56
		.amdhsa_user_sgpr_count 6
		.amdhsa_user_sgpr_private_segment_buffer 1
		.amdhsa_user_sgpr_dispatch_ptr 0
		.amdhsa_user_sgpr_queue_ptr 0
		.amdhsa_user_sgpr_kernarg_segment_ptr 1
		.amdhsa_user_sgpr_dispatch_id 0
		.amdhsa_user_sgpr_flat_scratch_init 0
		.amdhsa_user_sgpr_private_segment_size 0
		.amdhsa_uses_dynamic_stack 0
		.amdhsa_system_sgpr_private_segment_wavefront_offset 0
		.amdhsa_system_sgpr_workgroup_id_x 1
		.amdhsa_system_sgpr_workgroup_id_y 0
		.amdhsa_system_sgpr_workgroup_id_z 0
		.amdhsa_system_sgpr_workgroup_info 0
		.amdhsa_system_vgpr_workitem_id 0
		.amdhsa_next_free_vgpr 1
		.amdhsa_next_free_sgpr 0
		.amdhsa_reserve_vcc 0
		.amdhsa_reserve_flat_scratch 0
		.amdhsa_float_round_mode_32 0
		.amdhsa_float_round_mode_16_64 0
		.amdhsa_float_denorm_mode_32 3
		.amdhsa_float_denorm_mode_16_64 3
		.amdhsa_dx10_clamp 1
		.amdhsa_ieee_mode 1
		.amdhsa_fp16_overflow 0
		.amdhsa_exception_fp_ieee_invalid_op 0
		.amdhsa_exception_fp_denorm_src 0
		.amdhsa_exception_fp_ieee_div_zero 0
		.amdhsa_exception_fp_ieee_overflow 0
		.amdhsa_exception_fp_ieee_underflow 0
		.amdhsa_exception_fp_ieee_inexact 0
		.amdhsa_exception_int_div_zero 0
	.end_amdhsa_kernel
	.section	.text._ZN7rocprim17ROCPRIM_400000_NS6detail17trampoline_kernelINS0_14default_configENS1_22reduce_config_selectorIbEEZNS1_11reduce_implILb1ES3_N6hipcub16HIPCUB_304000_NS22TransformInputIteratorIb7NonZeroIsEPslEEPllNS8_6detail34convert_binary_result_type_wrapperINS8_3SumESD_lEEEE10hipError_tPvRmT1_T2_T3_mT4_P12ihipStream_tbEUlT_E1_NS1_11comp_targetILNS1_3genE0ELNS1_11target_archE4294967295ELNS1_3gpuE0ELNS1_3repE0EEENS1_30default_config_static_selectorELNS0_4arch9wavefront6targetE1EEEvSM_,"axG",@progbits,_ZN7rocprim17ROCPRIM_400000_NS6detail17trampoline_kernelINS0_14default_configENS1_22reduce_config_selectorIbEEZNS1_11reduce_implILb1ES3_N6hipcub16HIPCUB_304000_NS22TransformInputIteratorIb7NonZeroIsEPslEEPllNS8_6detail34convert_binary_result_type_wrapperINS8_3SumESD_lEEEE10hipError_tPvRmT1_T2_T3_mT4_P12ihipStream_tbEUlT_E1_NS1_11comp_targetILNS1_3genE0ELNS1_11target_archE4294967295ELNS1_3gpuE0ELNS1_3repE0EEENS1_30default_config_static_selectorELNS0_4arch9wavefront6targetE1EEEvSM_,comdat
.Lfunc_end108:
	.size	_ZN7rocprim17ROCPRIM_400000_NS6detail17trampoline_kernelINS0_14default_configENS1_22reduce_config_selectorIbEEZNS1_11reduce_implILb1ES3_N6hipcub16HIPCUB_304000_NS22TransformInputIteratorIb7NonZeroIsEPslEEPllNS8_6detail34convert_binary_result_type_wrapperINS8_3SumESD_lEEEE10hipError_tPvRmT1_T2_T3_mT4_P12ihipStream_tbEUlT_E1_NS1_11comp_targetILNS1_3genE0ELNS1_11target_archE4294967295ELNS1_3gpuE0ELNS1_3repE0EEENS1_30default_config_static_selectorELNS0_4arch9wavefront6targetE1EEEvSM_, .Lfunc_end108-_ZN7rocprim17ROCPRIM_400000_NS6detail17trampoline_kernelINS0_14default_configENS1_22reduce_config_selectorIbEEZNS1_11reduce_implILb1ES3_N6hipcub16HIPCUB_304000_NS22TransformInputIteratorIb7NonZeroIsEPslEEPllNS8_6detail34convert_binary_result_type_wrapperINS8_3SumESD_lEEEE10hipError_tPvRmT1_T2_T3_mT4_P12ihipStream_tbEUlT_E1_NS1_11comp_targetILNS1_3genE0ELNS1_11target_archE4294967295ELNS1_3gpuE0ELNS1_3repE0EEENS1_30default_config_static_selectorELNS0_4arch9wavefront6targetE1EEEvSM_
                                        ; -- End function
	.set _ZN7rocprim17ROCPRIM_400000_NS6detail17trampoline_kernelINS0_14default_configENS1_22reduce_config_selectorIbEEZNS1_11reduce_implILb1ES3_N6hipcub16HIPCUB_304000_NS22TransformInputIteratorIb7NonZeroIsEPslEEPllNS8_6detail34convert_binary_result_type_wrapperINS8_3SumESD_lEEEE10hipError_tPvRmT1_T2_T3_mT4_P12ihipStream_tbEUlT_E1_NS1_11comp_targetILNS1_3genE0ELNS1_11target_archE4294967295ELNS1_3gpuE0ELNS1_3repE0EEENS1_30default_config_static_selectorELNS0_4arch9wavefront6targetE1EEEvSM_.num_vgpr, 0
	.set _ZN7rocprim17ROCPRIM_400000_NS6detail17trampoline_kernelINS0_14default_configENS1_22reduce_config_selectorIbEEZNS1_11reduce_implILb1ES3_N6hipcub16HIPCUB_304000_NS22TransformInputIteratorIb7NonZeroIsEPslEEPllNS8_6detail34convert_binary_result_type_wrapperINS8_3SumESD_lEEEE10hipError_tPvRmT1_T2_T3_mT4_P12ihipStream_tbEUlT_E1_NS1_11comp_targetILNS1_3genE0ELNS1_11target_archE4294967295ELNS1_3gpuE0ELNS1_3repE0EEENS1_30default_config_static_selectorELNS0_4arch9wavefront6targetE1EEEvSM_.num_agpr, 0
	.set _ZN7rocprim17ROCPRIM_400000_NS6detail17trampoline_kernelINS0_14default_configENS1_22reduce_config_selectorIbEEZNS1_11reduce_implILb1ES3_N6hipcub16HIPCUB_304000_NS22TransformInputIteratorIb7NonZeroIsEPslEEPllNS8_6detail34convert_binary_result_type_wrapperINS8_3SumESD_lEEEE10hipError_tPvRmT1_T2_T3_mT4_P12ihipStream_tbEUlT_E1_NS1_11comp_targetILNS1_3genE0ELNS1_11target_archE4294967295ELNS1_3gpuE0ELNS1_3repE0EEENS1_30default_config_static_selectorELNS0_4arch9wavefront6targetE1EEEvSM_.numbered_sgpr, 0
	.set _ZN7rocprim17ROCPRIM_400000_NS6detail17trampoline_kernelINS0_14default_configENS1_22reduce_config_selectorIbEEZNS1_11reduce_implILb1ES3_N6hipcub16HIPCUB_304000_NS22TransformInputIteratorIb7NonZeroIsEPslEEPllNS8_6detail34convert_binary_result_type_wrapperINS8_3SumESD_lEEEE10hipError_tPvRmT1_T2_T3_mT4_P12ihipStream_tbEUlT_E1_NS1_11comp_targetILNS1_3genE0ELNS1_11target_archE4294967295ELNS1_3gpuE0ELNS1_3repE0EEENS1_30default_config_static_selectorELNS0_4arch9wavefront6targetE1EEEvSM_.num_named_barrier, 0
	.set _ZN7rocprim17ROCPRIM_400000_NS6detail17trampoline_kernelINS0_14default_configENS1_22reduce_config_selectorIbEEZNS1_11reduce_implILb1ES3_N6hipcub16HIPCUB_304000_NS22TransformInputIteratorIb7NonZeroIsEPslEEPllNS8_6detail34convert_binary_result_type_wrapperINS8_3SumESD_lEEEE10hipError_tPvRmT1_T2_T3_mT4_P12ihipStream_tbEUlT_E1_NS1_11comp_targetILNS1_3genE0ELNS1_11target_archE4294967295ELNS1_3gpuE0ELNS1_3repE0EEENS1_30default_config_static_selectorELNS0_4arch9wavefront6targetE1EEEvSM_.private_seg_size, 0
	.set _ZN7rocprim17ROCPRIM_400000_NS6detail17trampoline_kernelINS0_14default_configENS1_22reduce_config_selectorIbEEZNS1_11reduce_implILb1ES3_N6hipcub16HIPCUB_304000_NS22TransformInputIteratorIb7NonZeroIsEPslEEPllNS8_6detail34convert_binary_result_type_wrapperINS8_3SumESD_lEEEE10hipError_tPvRmT1_T2_T3_mT4_P12ihipStream_tbEUlT_E1_NS1_11comp_targetILNS1_3genE0ELNS1_11target_archE4294967295ELNS1_3gpuE0ELNS1_3repE0EEENS1_30default_config_static_selectorELNS0_4arch9wavefront6targetE1EEEvSM_.uses_vcc, 0
	.set _ZN7rocprim17ROCPRIM_400000_NS6detail17trampoline_kernelINS0_14default_configENS1_22reduce_config_selectorIbEEZNS1_11reduce_implILb1ES3_N6hipcub16HIPCUB_304000_NS22TransformInputIteratorIb7NonZeroIsEPslEEPllNS8_6detail34convert_binary_result_type_wrapperINS8_3SumESD_lEEEE10hipError_tPvRmT1_T2_T3_mT4_P12ihipStream_tbEUlT_E1_NS1_11comp_targetILNS1_3genE0ELNS1_11target_archE4294967295ELNS1_3gpuE0ELNS1_3repE0EEENS1_30default_config_static_selectorELNS0_4arch9wavefront6targetE1EEEvSM_.uses_flat_scratch, 0
	.set _ZN7rocprim17ROCPRIM_400000_NS6detail17trampoline_kernelINS0_14default_configENS1_22reduce_config_selectorIbEEZNS1_11reduce_implILb1ES3_N6hipcub16HIPCUB_304000_NS22TransformInputIteratorIb7NonZeroIsEPslEEPllNS8_6detail34convert_binary_result_type_wrapperINS8_3SumESD_lEEEE10hipError_tPvRmT1_T2_T3_mT4_P12ihipStream_tbEUlT_E1_NS1_11comp_targetILNS1_3genE0ELNS1_11target_archE4294967295ELNS1_3gpuE0ELNS1_3repE0EEENS1_30default_config_static_selectorELNS0_4arch9wavefront6targetE1EEEvSM_.has_dyn_sized_stack, 0
	.set _ZN7rocprim17ROCPRIM_400000_NS6detail17trampoline_kernelINS0_14default_configENS1_22reduce_config_selectorIbEEZNS1_11reduce_implILb1ES3_N6hipcub16HIPCUB_304000_NS22TransformInputIteratorIb7NonZeroIsEPslEEPllNS8_6detail34convert_binary_result_type_wrapperINS8_3SumESD_lEEEE10hipError_tPvRmT1_T2_T3_mT4_P12ihipStream_tbEUlT_E1_NS1_11comp_targetILNS1_3genE0ELNS1_11target_archE4294967295ELNS1_3gpuE0ELNS1_3repE0EEENS1_30default_config_static_selectorELNS0_4arch9wavefront6targetE1EEEvSM_.has_recursion, 0
	.set _ZN7rocprim17ROCPRIM_400000_NS6detail17trampoline_kernelINS0_14default_configENS1_22reduce_config_selectorIbEEZNS1_11reduce_implILb1ES3_N6hipcub16HIPCUB_304000_NS22TransformInputIteratorIb7NonZeroIsEPslEEPllNS8_6detail34convert_binary_result_type_wrapperINS8_3SumESD_lEEEE10hipError_tPvRmT1_T2_T3_mT4_P12ihipStream_tbEUlT_E1_NS1_11comp_targetILNS1_3genE0ELNS1_11target_archE4294967295ELNS1_3gpuE0ELNS1_3repE0EEENS1_30default_config_static_selectorELNS0_4arch9wavefront6targetE1EEEvSM_.has_indirect_call, 0
	.section	.AMDGPU.csdata,"",@progbits
; Kernel info:
; codeLenInByte = 0
; TotalNumSgprs: 4
; NumVgprs: 0
; ScratchSize: 0
; MemoryBound: 0
; FloatMode: 240
; IeeeMode: 1
; LDSByteSize: 0 bytes/workgroup (compile time only)
; SGPRBlocks: 0
; VGPRBlocks: 0
; NumSGPRsForWavesPerEU: 4
; NumVGPRsForWavesPerEU: 1
; Occupancy: 10
; WaveLimiterHint : 0
; COMPUTE_PGM_RSRC2:SCRATCH_EN: 0
; COMPUTE_PGM_RSRC2:USER_SGPR: 6
; COMPUTE_PGM_RSRC2:TRAP_HANDLER: 0
; COMPUTE_PGM_RSRC2:TGID_X_EN: 1
; COMPUTE_PGM_RSRC2:TGID_Y_EN: 0
; COMPUTE_PGM_RSRC2:TGID_Z_EN: 0
; COMPUTE_PGM_RSRC2:TIDIG_COMP_CNT: 0
	.section	.text._ZN7rocprim17ROCPRIM_400000_NS6detail17trampoline_kernelINS0_14default_configENS1_22reduce_config_selectorIbEEZNS1_11reduce_implILb1ES3_N6hipcub16HIPCUB_304000_NS22TransformInputIteratorIb7NonZeroIsEPslEEPllNS8_6detail34convert_binary_result_type_wrapperINS8_3SumESD_lEEEE10hipError_tPvRmT1_T2_T3_mT4_P12ihipStream_tbEUlT_E1_NS1_11comp_targetILNS1_3genE5ELNS1_11target_archE942ELNS1_3gpuE9ELNS1_3repE0EEENS1_30default_config_static_selectorELNS0_4arch9wavefront6targetE1EEEvSM_,"axG",@progbits,_ZN7rocprim17ROCPRIM_400000_NS6detail17trampoline_kernelINS0_14default_configENS1_22reduce_config_selectorIbEEZNS1_11reduce_implILb1ES3_N6hipcub16HIPCUB_304000_NS22TransformInputIteratorIb7NonZeroIsEPslEEPllNS8_6detail34convert_binary_result_type_wrapperINS8_3SumESD_lEEEE10hipError_tPvRmT1_T2_T3_mT4_P12ihipStream_tbEUlT_E1_NS1_11comp_targetILNS1_3genE5ELNS1_11target_archE942ELNS1_3gpuE9ELNS1_3repE0EEENS1_30default_config_static_selectorELNS0_4arch9wavefront6targetE1EEEvSM_,comdat
	.protected	_ZN7rocprim17ROCPRIM_400000_NS6detail17trampoline_kernelINS0_14default_configENS1_22reduce_config_selectorIbEEZNS1_11reduce_implILb1ES3_N6hipcub16HIPCUB_304000_NS22TransformInputIteratorIb7NonZeroIsEPslEEPllNS8_6detail34convert_binary_result_type_wrapperINS8_3SumESD_lEEEE10hipError_tPvRmT1_T2_T3_mT4_P12ihipStream_tbEUlT_E1_NS1_11comp_targetILNS1_3genE5ELNS1_11target_archE942ELNS1_3gpuE9ELNS1_3repE0EEENS1_30default_config_static_selectorELNS0_4arch9wavefront6targetE1EEEvSM_ ; -- Begin function _ZN7rocprim17ROCPRIM_400000_NS6detail17trampoline_kernelINS0_14default_configENS1_22reduce_config_selectorIbEEZNS1_11reduce_implILb1ES3_N6hipcub16HIPCUB_304000_NS22TransformInputIteratorIb7NonZeroIsEPslEEPllNS8_6detail34convert_binary_result_type_wrapperINS8_3SumESD_lEEEE10hipError_tPvRmT1_T2_T3_mT4_P12ihipStream_tbEUlT_E1_NS1_11comp_targetILNS1_3genE5ELNS1_11target_archE942ELNS1_3gpuE9ELNS1_3repE0EEENS1_30default_config_static_selectorELNS0_4arch9wavefront6targetE1EEEvSM_
	.globl	_ZN7rocprim17ROCPRIM_400000_NS6detail17trampoline_kernelINS0_14default_configENS1_22reduce_config_selectorIbEEZNS1_11reduce_implILb1ES3_N6hipcub16HIPCUB_304000_NS22TransformInputIteratorIb7NonZeroIsEPslEEPllNS8_6detail34convert_binary_result_type_wrapperINS8_3SumESD_lEEEE10hipError_tPvRmT1_T2_T3_mT4_P12ihipStream_tbEUlT_E1_NS1_11comp_targetILNS1_3genE5ELNS1_11target_archE942ELNS1_3gpuE9ELNS1_3repE0EEENS1_30default_config_static_selectorELNS0_4arch9wavefront6targetE1EEEvSM_
	.p2align	8
	.type	_ZN7rocprim17ROCPRIM_400000_NS6detail17trampoline_kernelINS0_14default_configENS1_22reduce_config_selectorIbEEZNS1_11reduce_implILb1ES3_N6hipcub16HIPCUB_304000_NS22TransformInputIteratorIb7NonZeroIsEPslEEPllNS8_6detail34convert_binary_result_type_wrapperINS8_3SumESD_lEEEE10hipError_tPvRmT1_T2_T3_mT4_P12ihipStream_tbEUlT_E1_NS1_11comp_targetILNS1_3genE5ELNS1_11target_archE942ELNS1_3gpuE9ELNS1_3repE0EEENS1_30default_config_static_selectorELNS0_4arch9wavefront6targetE1EEEvSM_,@function
_ZN7rocprim17ROCPRIM_400000_NS6detail17trampoline_kernelINS0_14default_configENS1_22reduce_config_selectorIbEEZNS1_11reduce_implILb1ES3_N6hipcub16HIPCUB_304000_NS22TransformInputIteratorIb7NonZeroIsEPslEEPllNS8_6detail34convert_binary_result_type_wrapperINS8_3SumESD_lEEEE10hipError_tPvRmT1_T2_T3_mT4_P12ihipStream_tbEUlT_E1_NS1_11comp_targetILNS1_3genE5ELNS1_11target_archE942ELNS1_3gpuE9ELNS1_3repE0EEENS1_30default_config_static_selectorELNS0_4arch9wavefront6targetE1EEEvSM_: ; @_ZN7rocprim17ROCPRIM_400000_NS6detail17trampoline_kernelINS0_14default_configENS1_22reduce_config_selectorIbEEZNS1_11reduce_implILb1ES3_N6hipcub16HIPCUB_304000_NS22TransformInputIteratorIb7NonZeroIsEPslEEPllNS8_6detail34convert_binary_result_type_wrapperINS8_3SumESD_lEEEE10hipError_tPvRmT1_T2_T3_mT4_P12ihipStream_tbEUlT_E1_NS1_11comp_targetILNS1_3genE5ELNS1_11target_archE942ELNS1_3gpuE9ELNS1_3repE0EEENS1_30default_config_static_selectorELNS0_4arch9wavefront6targetE1EEEvSM_
; %bb.0:
	.section	.rodata,"a",@progbits
	.p2align	6, 0x0
	.amdhsa_kernel _ZN7rocprim17ROCPRIM_400000_NS6detail17trampoline_kernelINS0_14default_configENS1_22reduce_config_selectorIbEEZNS1_11reduce_implILb1ES3_N6hipcub16HIPCUB_304000_NS22TransformInputIteratorIb7NonZeroIsEPslEEPllNS8_6detail34convert_binary_result_type_wrapperINS8_3SumESD_lEEEE10hipError_tPvRmT1_T2_T3_mT4_P12ihipStream_tbEUlT_E1_NS1_11comp_targetILNS1_3genE5ELNS1_11target_archE942ELNS1_3gpuE9ELNS1_3repE0EEENS1_30default_config_static_selectorELNS0_4arch9wavefront6targetE1EEEvSM_
		.amdhsa_group_segment_fixed_size 0
		.amdhsa_private_segment_fixed_size 0
		.amdhsa_kernarg_size 56
		.amdhsa_user_sgpr_count 6
		.amdhsa_user_sgpr_private_segment_buffer 1
		.amdhsa_user_sgpr_dispatch_ptr 0
		.amdhsa_user_sgpr_queue_ptr 0
		.amdhsa_user_sgpr_kernarg_segment_ptr 1
		.amdhsa_user_sgpr_dispatch_id 0
		.amdhsa_user_sgpr_flat_scratch_init 0
		.amdhsa_user_sgpr_private_segment_size 0
		.amdhsa_uses_dynamic_stack 0
		.amdhsa_system_sgpr_private_segment_wavefront_offset 0
		.amdhsa_system_sgpr_workgroup_id_x 1
		.amdhsa_system_sgpr_workgroup_id_y 0
		.amdhsa_system_sgpr_workgroup_id_z 0
		.amdhsa_system_sgpr_workgroup_info 0
		.amdhsa_system_vgpr_workitem_id 0
		.amdhsa_next_free_vgpr 1
		.amdhsa_next_free_sgpr 0
		.amdhsa_reserve_vcc 0
		.amdhsa_reserve_flat_scratch 0
		.amdhsa_float_round_mode_32 0
		.amdhsa_float_round_mode_16_64 0
		.amdhsa_float_denorm_mode_32 3
		.amdhsa_float_denorm_mode_16_64 3
		.amdhsa_dx10_clamp 1
		.amdhsa_ieee_mode 1
		.amdhsa_fp16_overflow 0
		.amdhsa_exception_fp_ieee_invalid_op 0
		.amdhsa_exception_fp_denorm_src 0
		.amdhsa_exception_fp_ieee_div_zero 0
		.amdhsa_exception_fp_ieee_overflow 0
		.amdhsa_exception_fp_ieee_underflow 0
		.amdhsa_exception_fp_ieee_inexact 0
		.amdhsa_exception_int_div_zero 0
	.end_amdhsa_kernel
	.section	.text._ZN7rocprim17ROCPRIM_400000_NS6detail17trampoline_kernelINS0_14default_configENS1_22reduce_config_selectorIbEEZNS1_11reduce_implILb1ES3_N6hipcub16HIPCUB_304000_NS22TransformInputIteratorIb7NonZeroIsEPslEEPllNS8_6detail34convert_binary_result_type_wrapperINS8_3SumESD_lEEEE10hipError_tPvRmT1_T2_T3_mT4_P12ihipStream_tbEUlT_E1_NS1_11comp_targetILNS1_3genE5ELNS1_11target_archE942ELNS1_3gpuE9ELNS1_3repE0EEENS1_30default_config_static_selectorELNS0_4arch9wavefront6targetE1EEEvSM_,"axG",@progbits,_ZN7rocprim17ROCPRIM_400000_NS6detail17trampoline_kernelINS0_14default_configENS1_22reduce_config_selectorIbEEZNS1_11reduce_implILb1ES3_N6hipcub16HIPCUB_304000_NS22TransformInputIteratorIb7NonZeroIsEPslEEPllNS8_6detail34convert_binary_result_type_wrapperINS8_3SumESD_lEEEE10hipError_tPvRmT1_T2_T3_mT4_P12ihipStream_tbEUlT_E1_NS1_11comp_targetILNS1_3genE5ELNS1_11target_archE942ELNS1_3gpuE9ELNS1_3repE0EEENS1_30default_config_static_selectorELNS0_4arch9wavefront6targetE1EEEvSM_,comdat
.Lfunc_end109:
	.size	_ZN7rocprim17ROCPRIM_400000_NS6detail17trampoline_kernelINS0_14default_configENS1_22reduce_config_selectorIbEEZNS1_11reduce_implILb1ES3_N6hipcub16HIPCUB_304000_NS22TransformInputIteratorIb7NonZeroIsEPslEEPllNS8_6detail34convert_binary_result_type_wrapperINS8_3SumESD_lEEEE10hipError_tPvRmT1_T2_T3_mT4_P12ihipStream_tbEUlT_E1_NS1_11comp_targetILNS1_3genE5ELNS1_11target_archE942ELNS1_3gpuE9ELNS1_3repE0EEENS1_30default_config_static_selectorELNS0_4arch9wavefront6targetE1EEEvSM_, .Lfunc_end109-_ZN7rocprim17ROCPRIM_400000_NS6detail17trampoline_kernelINS0_14default_configENS1_22reduce_config_selectorIbEEZNS1_11reduce_implILb1ES3_N6hipcub16HIPCUB_304000_NS22TransformInputIteratorIb7NonZeroIsEPslEEPllNS8_6detail34convert_binary_result_type_wrapperINS8_3SumESD_lEEEE10hipError_tPvRmT1_T2_T3_mT4_P12ihipStream_tbEUlT_E1_NS1_11comp_targetILNS1_3genE5ELNS1_11target_archE942ELNS1_3gpuE9ELNS1_3repE0EEENS1_30default_config_static_selectorELNS0_4arch9wavefront6targetE1EEEvSM_
                                        ; -- End function
	.set _ZN7rocprim17ROCPRIM_400000_NS6detail17trampoline_kernelINS0_14default_configENS1_22reduce_config_selectorIbEEZNS1_11reduce_implILb1ES3_N6hipcub16HIPCUB_304000_NS22TransformInputIteratorIb7NonZeroIsEPslEEPllNS8_6detail34convert_binary_result_type_wrapperINS8_3SumESD_lEEEE10hipError_tPvRmT1_T2_T3_mT4_P12ihipStream_tbEUlT_E1_NS1_11comp_targetILNS1_3genE5ELNS1_11target_archE942ELNS1_3gpuE9ELNS1_3repE0EEENS1_30default_config_static_selectorELNS0_4arch9wavefront6targetE1EEEvSM_.num_vgpr, 0
	.set _ZN7rocprim17ROCPRIM_400000_NS6detail17trampoline_kernelINS0_14default_configENS1_22reduce_config_selectorIbEEZNS1_11reduce_implILb1ES3_N6hipcub16HIPCUB_304000_NS22TransformInputIteratorIb7NonZeroIsEPslEEPllNS8_6detail34convert_binary_result_type_wrapperINS8_3SumESD_lEEEE10hipError_tPvRmT1_T2_T3_mT4_P12ihipStream_tbEUlT_E1_NS1_11comp_targetILNS1_3genE5ELNS1_11target_archE942ELNS1_3gpuE9ELNS1_3repE0EEENS1_30default_config_static_selectorELNS0_4arch9wavefront6targetE1EEEvSM_.num_agpr, 0
	.set _ZN7rocprim17ROCPRIM_400000_NS6detail17trampoline_kernelINS0_14default_configENS1_22reduce_config_selectorIbEEZNS1_11reduce_implILb1ES3_N6hipcub16HIPCUB_304000_NS22TransformInputIteratorIb7NonZeroIsEPslEEPllNS8_6detail34convert_binary_result_type_wrapperINS8_3SumESD_lEEEE10hipError_tPvRmT1_T2_T3_mT4_P12ihipStream_tbEUlT_E1_NS1_11comp_targetILNS1_3genE5ELNS1_11target_archE942ELNS1_3gpuE9ELNS1_3repE0EEENS1_30default_config_static_selectorELNS0_4arch9wavefront6targetE1EEEvSM_.numbered_sgpr, 0
	.set _ZN7rocprim17ROCPRIM_400000_NS6detail17trampoline_kernelINS0_14default_configENS1_22reduce_config_selectorIbEEZNS1_11reduce_implILb1ES3_N6hipcub16HIPCUB_304000_NS22TransformInputIteratorIb7NonZeroIsEPslEEPllNS8_6detail34convert_binary_result_type_wrapperINS8_3SumESD_lEEEE10hipError_tPvRmT1_T2_T3_mT4_P12ihipStream_tbEUlT_E1_NS1_11comp_targetILNS1_3genE5ELNS1_11target_archE942ELNS1_3gpuE9ELNS1_3repE0EEENS1_30default_config_static_selectorELNS0_4arch9wavefront6targetE1EEEvSM_.num_named_barrier, 0
	.set _ZN7rocprim17ROCPRIM_400000_NS6detail17trampoline_kernelINS0_14default_configENS1_22reduce_config_selectorIbEEZNS1_11reduce_implILb1ES3_N6hipcub16HIPCUB_304000_NS22TransformInputIteratorIb7NonZeroIsEPslEEPllNS8_6detail34convert_binary_result_type_wrapperINS8_3SumESD_lEEEE10hipError_tPvRmT1_T2_T3_mT4_P12ihipStream_tbEUlT_E1_NS1_11comp_targetILNS1_3genE5ELNS1_11target_archE942ELNS1_3gpuE9ELNS1_3repE0EEENS1_30default_config_static_selectorELNS0_4arch9wavefront6targetE1EEEvSM_.private_seg_size, 0
	.set _ZN7rocprim17ROCPRIM_400000_NS6detail17trampoline_kernelINS0_14default_configENS1_22reduce_config_selectorIbEEZNS1_11reduce_implILb1ES3_N6hipcub16HIPCUB_304000_NS22TransformInputIteratorIb7NonZeroIsEPslEEPllNS8_6detail34convert_binary_result_type_wrapperINS8_3SumESD_lEEEE10hipError_tPvRmT1_T2_T3_mT4_P12ihipStream_tbEUlT_E1_NS1_11comp_targetILNS1_3genE5ELNS1_11target_archE942ELNS1_3gpuE9ELNS1_3repE0EEENS1_30default_config_static_selectorELNS0_4arch9wavefront6targetE1EEEvSM_.uses_vcc, 0
	.set _ZN7rocprim17ROCPRIM_400000_NS6detail17trampoline_kernelINS0_14default_configENS1_22reduce_config_selectorIbEEZNS1_11reduce_implILb1ES3_N6hipcub16HIPCUB_304000_NS22TransformInputIteratorIb7NonZeroIsEPslEEPllNS8_6detail34convert_binary_result_type_wrapperINS8_3SumESD_lEEEE10hipError_tPvRmT1_T2_T3_mT4_P12ihipStream_tbEUlT_E1_NS1_11comp_targetILNS1_3genE5ELNS1_11target_archE942ELNS1_3gpuE9ELNS1_3repE0EEENS1_30default_config_static_selectorELNS0_4arch9wavefront6targetE1EEEvSM_.uses_flat_scratch, 0
	.set _ZN7rocprim17ROCPRIM_400000_NS6detail17trampoline_kernelINS0_14default_configENS1_22reduce_config_selectorIbEEZNS1_11reduce_implILb1ES3_N6hipcub16HIPCUB_304000_NS22TransformInputIteratorIb7NonZeroIsEPslEEPllNS8_6detail34convert_binary_result_type_wrapperINS8_3SumESD_lEEEE10hipError_tPvRmT1_T2_T3_mT4_P12ihipStream_tbEUlT_E1_NS1_11comp_targetILNS1_3genE5ELNS1_11target_archE942ELNS1_3gpuE9ELNS1_3repE0EEENS1_30default_config_static_selectorELNS0_4arch9wavefront6targetE1EEEvSM_.has_dyn_sized_stack, 0
	.set _ZN7rocprim17ROCPRIM_400000_NS6detail17trampoline_kernelINS0_14default_configENS1_22reduce_config_selectorIbEEZNS1_11reduce_implILb1ES3_N6hipcub16HIPCUB_304000_NS22TransformInputIteratorIb7NonZeroIsEPslEEPllNS8_6detail34convert_binary_result_type_wrapperINS8_3SumESD_lEEEE10hipError_tPvRmT1_T2_T3_mT4_P12ihipStream_tbEUlT_E1_NS1_11comp_targetILNS1_3genE5ELNS1_11target_archE942ELNS1_3gpuE9ELNS1_3repE0EEENS1_30default_config_static_selectorELNS0_4arch9wavefront6targetE1EEEvSM_.has_recursion, 0
	.set _ZN7rocprim17ROCPRIM_400000_NS6detail17trampoline_kernelINS0_14default_configENS1_22reduce_config_selectorIbEEZNS1_11reduce_implILb1ES3_N6hipcub16HIPCUB_304000_NS22TransformInputIteratorIb7NonZeroIsEPslEEPllNS8_6detail34convert_binary_result_type_wrapperINS8_3SumESD_lEEEE10hipError_tPvRmT1_T2_T3_mT4_P12ihipStream_tbEUlT_E1_NS1_11comp_targetILNS1_3genE5ELNS1_11target_archE942ELNS1_3gpuE9ELNS1_3repE0EEENS1_30default_config_static_selectorELNS0_4arch9wavefront6targetE1EEEvSM_.has_indirect_call, 0
	.section	.AMDGPU.csdata,"",@progbits
; Kernel info:
; codeLenInByte = 0
; TotalNumSgprs: 4
; NumVgprs: 0
; ScratchSize: 0
; MemoryBound: 0
; FloatMode: 240
; IeeeMode: 1
; LDSByteSize: 0 bytes/workgroup (compile time only)
; SGPRBlocks: 0
; VGPRBlocks: 0
; NumSGPRsForWavesPerEU: 4
; NumVGPRsForWavesPerEU: 1
; Occupancy: 10
; WaveLimiterHint : 0
; COMPUTE_PGM_RSRC2:SCRATCH_EN: 0
; COMPUTE_PGM_RSRC2:USER_SGPR: 6
; COMPUTE_PGM_RSRC2:TRAP_HANDLER: 0
; COMPUTE_PGM_RSRC2:TGID_X_EN: 1
; COMPUTE_PGM_RSRC2:TGID_Y_EN: 0
; COMPUTE_PGM_RSRC2:TGID_Z_EN: 0
; COMPUTE_PGM_RSRC2:TIDIG_COMP_CNT: 0
	.section	.text._ZN7rocprim17ROCPRIM_400000_NS6detail17trampoline_kernelINS0_14default_configENS1_22reduce_config_selectorIbEEZNS1_11reduce_implILb1ES3_N6hipcub16HIPCUB_304000_NS22TransformInputIteratorIb7NonZeroIsEPslEEPllNS8_6detail34convert_binary_result_type_wrapperINS8_3SumESD_lEEEE10hipError_tPvRmT1_T2_T3_mT4_P12ihipStream_tbEUlT_E1_NS1_11comp_targetILNS1_3genE4ELNS1_11target_archE910ELNS1_3gpuE8ELNS1_3repE0EEENS1_30default_config_static_selectorELNS0_4arch9wavefront6targetE1EEEvSM_,"axG",@progbits,_ZN7rocprim17ROCPRIM_400000_NS6detail17trampoline_kernelINS0_14default_configENS1_22reduce_config_selectorIbEEZNS1_11reduce_implILb1ES3_N6hipcub16HIPCUB_304000_NS22TransformInputIteratorIb7NonZeroIsEPslEEPllNS8_6detail34convert_binary_result_type_wrapperINS8_3SumESD_lEEEE10hipError_tPvRmT1_T2_T3_mT4_P12ihipStream_tbEUlT_E1_NS1_11comp_targetILNS1_3genE4ELNS1_11target_archE910ELNS1_3gpuE8ELNS1_3repE0EEENS1_30default_config_static_selectorELNS0_4arch9wavefront6targetE1EEEvSM_,comdat
	.protected	_ZN7rocprim17ROCPRIM_400000_NS6detail17trampoline_kernelINS0_14default_configENS1_22reduce_config_selectorIbEEZNS1_11reduce_implILb1ES3_N6hipcub16HIPCUB_304000_NS22TransformInputIteratorIb7NonZeroIsEPslEEPllNS8_6detail34convert_binary_result_type_wrapperINS8_3SumESD_lEEEE10hipError_tPvRmT1_T2_T3_mT4_P12ihipStream_tbEUlT_E1_NS1_11comp_targetILNS1_3genE4ELNS1_11target_archE910ELNS1_3gpuE8ELNS1_3repE0EEENS1_30default_config_static_selectorELNS0_4arch9wavefront6targetE1EEEvSM_ ; -- Begin function _ZN7rocprim17ROCPRIM_400000_NS6detail17trampoline_kernelINS0_14default_configENS1_22reduce_config_selectorIbEEZNS1_11reduce_implILb1ES3_N6hipcub16HIPCUB_304000_NS22TransformInputIteratorIb7NonZeroIsEPslEEPllNS8_6detail34convert_binary_result_type_wrapperINS8_3SumESD_lEEEE10hipError_tPvRmT1_T2_T3_mT4_P12ihipStream_tbEUlT_E1_NS1_11comp_targetILNS1_3genE4ELNS1_11target_archE910ELNS1_3gpuE8ELNS1_3repE0EEENS1_30default_config_static_selectorELNS0_4arch9wavefront6targetE1EEEvSM_
	.globl	_ZN7rocprim17ROCPRIM_400000_NS6detail17trampoline_kernelINS0_14default_configENS1_22reduce_config_selectorIbEEZNS1_11reduce_implILb1ES3_N6hipcub16HIPCUB_304000_NS22TransformInputIteratorIb7NonZeroIsEPslEEPllNS8_6detail34convert_binary_result_type_wrapperINS8_3SumESD_lEEEE10hipError_tPvRmT1_T2_T3_mT4_P12ihipStream_tbEUlT_E1_NS1_11comp_targetILNS1_3genE4ELNS1_11target_archE910ELNS1_3gpuE8ELNS1_3repE0EEENS1_30default_config_static_selectorELNS0_4arch9wavefront6targetE1EEEvSM_
	.p2align	8
	.type	_ZN7rocprim17ROCPRIM_400000_NS6detail17trampoline_kernelINS0_14default_configENS1_22reduce_config_selectorIbEEZNS1_11reduce_implILb1ES3_N6hipcub16HIPCUB_304000_NS22TransformInputIteratorIb7NonZeroIsEPslEEPllNS8_6detail34convert_binary_result_type_wrapperINS8_3SumESD_lEEEE10hipError_tPvRmT1_T2_T3_mT4_P12ihipStream_tbEUlT_E1_NS1_11comp_targetILNS1_3genE4ELNS1_11target_archE910ELNS1_3gpuE8ELNS1_3repE0EEENS1_30default_config_static_selectorELNS0_4arch9wavefront6targetE1EEEvSM_,@function
_ZN7rocprim17ROCPRIM_400000_NS6detail17trampoline_kernelINS0_14default_configENS1_22reduce_config_selectorIbEEZNS1_11reduce_implILb1ES3_N6hipcub16HIPCUB_304000_NS22TransformInputIteratorIb7NonZeroIsEPslEEPllNS8_6detail34convert_binary_result_type_wrapperINS8_3SumESD_lEEEE10hipError_tPvRmT1_T2_T3_mT4_P12ihipStream_tbEUlT_E1_NS1_11comp_targetILNS1_3genE4ELNS1_11target_archE910ELNS1_3gpuE8ELNS1_3repE0EEENS1_30default_config_static_selectorELNS0_4arch9wavefront6targetE1EEEvSM_: ; @_ZN7rocprim17ROCPRIM_400000_NS6detail17trampoline_kernelINS0_14default_configENS1_22reduce_config_selectorIbEEZNS1_11reduce_implILb1ES3_N6hipcub16HIPCUB_304000_NS22TransformInputIteratorIb7NonZeroIsEPslEEPllNS8_6detail34convert_binary_result_type_wrapperINS8_3SumESD_lEEEE10hipError_tPvRmT1_T2_T3_mT4_P12ihipStream_tbEUlT_E1_NS1_11comp_targetILNS1_3genE4ELNS1_11target_archE910ELNS1_3gpuE8ELNS1_3repE0EEENS1_30default_config_static_selectorELNS0_4arch9wavefront6targetE1EEEvSM_
; %bb.0:
	.section	.rodata,"a",@progbits
	.p2align	6, 0x0
	.amdhsa_kernel _ZN7rocprim17ROCPRIM_400000_NS6detail17trampoline_kernelINS0_14default_configENS1_22reduce_config_selectorIbEEZNS1_11reduce_implILb1ES3_N6hipcub16HIPCUB_304000_NS22TransformInputIteratorIb7NonZeroIsEPslEEPllNS8_6detail34convert_binary_result_type_wrapperINS8_3SumESD_lEEEE10hipError_tPvRmT1_T2_T3_mT4_P12ihipStream_tbEUlT_E1_NS1_11comp_targetILNS1_3genE4ELNS1_11target_archE910ELNS1_3gpuE8ELNS1_3repE0EEENS1_30default_config_static_selectorELNS0_4arch9wavefront6targetE1EEEvSM_
		.amdhsa_group_segment_fixed_size 0
		.amdhsa_private_segment_fixed_size 0
		.amdhsa_kernarg_size 56
		.amdhsa_user_sgpr_count 6
		.amdhsa_user_sgpr_private_segment_buffer 1
		.amdhsa_user_sgpr_dispatch_ptr 0
		.amdhsa_user_sgpr_queue_ptr 0
		.amdhsa_user_sgpr_kernarg_segment_ptr 1
		.amdhsa_user_sgpr_dispatch_id 0
		.amdhsa_user_sgpr_flat_scratch_init 0
		.amdhsa_user_sgpr_private_segment_size 0
		.amdhsa_uses_dynamic_stack 0
		.amdhsa_system_sgpr_private_segment_wavefront_offset 0
		.amdhsa_system_sgpr_workgroup_id_x 1
		.amdhsa_system_sgpr_workgroup_id_y 0
		.amdhsa_system_sgpr_workgroup_id_z 0
		.amdhsa_system_sgpr_workgroup_info 0
		.amdhsa_system_vgpr_workitem_id 0
		.amdhsa_next_free_vgpr 1
		.amdhsa_next_free_sgpr 0
		.amdhsa_reserve_vcc 0
		.amdhsa_reserve_flat_scratch 0
		.amdhsa_float_round_mode_32 0
		.amdhsa_float_round_mode_16_64 0
		.amdhsa_float_denorm_mode_32 3
		.amdhsa_float_denorm_mode_16_64 3
		.amdhsa_dx10_clamp 1
		.amdhsa_ieee_mode 1
		.amdhsa_fp16_overflow 0
		.amdhsa_exception_fp_ieee_invalid_op 0
		.amdhsa_exception_fp_denorm_src 0
		.amdhsa_exception_fp_ieee_div_zero 0
		.amdhsa_exception_fp_ieee_overflow 0
		.amdhsa_exception_fp_ieee_underflow 0
		.amdhsa_exception_fp_ieee_inexact 0
		.amdhsa_exception_int_div_zero 0
	.end_amdhsa_kernel
	.section	.text._ZN7rocprim17ROCPRIM_400000_NS6detail17trampoline_kernelINS0_14default_configENS1_22reduce_config_selectorIbEEZNS1_11reduce_implILb1ES3_N6hipcub16HIPCUB_304000_NS22TransformInputIteratorIb7NonZeroIsEPslEEPllNS8_6detail34convert_binary_result_type_wrapperINS8_3SumESD_lEEEE10hipError_tPvRmT1_T2_T3_mT4_P12ihipStream_tbEUlT_E1_NS1_11comp_targetILNS1_3genE4ELNS1_11target_archE910ELNS1_3gpuE8ELNS1_3repE0EEENS1_30default_config_static_selectorELNS0_4arch9wavefront6targetE1EEEvSM_,"axG",@progbits,_ZN7rocprim17ROCPRIM_400000_NS6detail17trampoline_kernelINS0_14default_configENS1_22reduce_config_selectorIbEEZNS1_11reduce_implILb1ES3_N6hipcub16HIPCUB_304000_NS22TransformInputIteratorIb7NonZeroIsEPslEEPllNS8_6detail34convert_binary_result_type_wrapperINS8_3SumESD_lEEEE10hipError_tPvRmT1_T2_T3_mT4_P12ihipStream_tbEUlT_E1_NS1_11comp_targetILNS1_3genE4ELNS1_11target_archE910ELNS1_3gpuE8ELNS1_3repE0EEENS1_30default_config_static_selectorELNS0_4arch9wavefront6targetE1EEEvSM_,comdat
.Lfunc_end110:
	.size	_ZN7rocprim17ROCPRIM_400000_NS6detail17trampoline_kernelINS0_14default_configENS1_22reduce_config_selectorIbEEZNS1_11reduce_implILb1ES3_N6hipcub16HIPCUB_304000_NS22TransformInputIteratorIb7NonZeroIsEPslEEPllNS8_6detail34convert_binary_result_type_wrapperINS8_3SumESD_lEEEE10hipError_tPvRmT1_T2_T3_mT4_P12ihipStream_tbEUlT_E1_NS1_11comp_targetILNS1_3genE4ELNS1_11target_archE910ELNS1_3gpuE8ELNS1_3repE0EEENS1_30default_config_static_selectorELNS0_4arch9wavefront6targetE1EEEvSM_, .Lfunc_end110-_ZN7rocprim17ROCPRIM_400000_NS6detail17trampoline_kernelINS0_14default_configENS1_22reduce_config_selectorIbEEZNS1_11reduce_implILb1ES3_N6hipcub16HIPCUB_304000_NS22TransformInputIteratorIb7NonZeroIsEPslEEPllNS8_6detail34convert_binary_result_type_wrapperINS8_3SumESD_lEEEE10hipError_tPvRmT1_T2_T3_mT4_P12ihipStream_tbEUlT_E1_NS1_11comp_targetILNS1_3genE4ELNS1_11target_archE910ELNS1_3gpuE8ELNS1_3repE0EEENS1_30default_config_static_selectorELNS0_4arch9wavefront6targetE1EEEvSM_
                                        ; -- End function
	.set _ZN7rocprim17ROCPRIM_400000_NS6detail17trampoline_kernelINS0_14default_configENS1_22reduce_config_selectorIbEEZNS1_11reduce_implILb1ES3_N6hipcub16HIPCUB_304000_NS22TransformInputIteratorIb7NonZeroIsEPslEEPllNS8_6detail34convert_binary_result_type_wrapperINS8_3SumESD_lEEEE10hipError_tPvRmT1_T2_T3_mT4_P12ihipStream_tbEUlT_E1_NS1_11comp_targetILNS1_3genE4ELNS1_11target_archE910ELNS1_3gpuE8ELNS1_3repE0EEENS1_30default_config_static_selectorELNS0_4arch9wavefront6targetE1EEEvSM_.num_vgpr, 0
	.set _ZN7rocprim17ROCPRIM_400000_NS6detail17trampoline_kernelINS0_14default_configENS1_22reduce_config_selectorIbEEZNS1_11reduce_implILb1ES3_N6hipcub16HIPCUB_304000_NS22TransformInputIteratorIb7NonZeroIsEPslEEPllNS8_6detail34convert_binary_result_type_wrapperINS8_3SumESD_lEEEE10hipError_tPvRmT1_T2_T3_mT4_P12ihipStream_tbEUlT_E1_NS1_11comp_targetILNS1_3genE4ELNS1_11target_archE910ELNS1_3gpuE8ELNS1_3repE0EEENS1_30default_config_static_selectorELNS0_4arch9wavefront6targetE1EEEvSM_.num_agpr, 0
	.set _ZN7rocprim17ROCPRIM_400000_NS6detail17trampoline_kernelINS0_14default_configENS1_22reduce_config_selectorIbEEZNS1_11reduce_implILb1ES3_N6hipcub16HIPCUB_304000_NS22TransformInputIteratorIb7NonZeroIsEPslEEPllNS8_6detail34convert_binary_result_type_wrapperINS8_3SumESD_lEEEE10hipError_tPvRmT1_T2_T3_mT4_P12ihipStream_tbEUlT_E1_NS1_11comp_targetILNS1_3genE4ELNS1_11target_archE910ELNS1_3gpuE8ELNS1_3repE0EEENS1_30default_config_static_selectorELNS0_4arch9wavefront6targetE1EEEvSM_.numbered_sgpr, 0
	.set _ZN7rocprim17ROCPRIM_400000_NS6detail17trampoline_kernelINS0_14default_configENS1_22reduce_config_selectorIbEEZNS1_11reduce_implILb1ES3_N6hipcub16HIPCUB_304000_NS22TransformInputIteratorIb7NonZeroIsEPslEEPllNS8_6detail34convert_binary_result_type_wrapperINS8_3SumESD_lEEEE10hipError_tPvRmT1_T2_T3_mT4_P12ihipStream_tbEUlT_E1_NS1_11comp_targetILNS1_3genE4ELNS1_11target_archE910ELNS1_3gpuE8ELNS1_3repE0EEENS1_30default_config_static_selectorELNS0_4arch9wavefront6targetE1EEEvSM_.num_named_barrier, 0
	.set _ZN7rocprim17ROCPRIM_400000_NS6detail17trampoline_kernelINS0_14default_configENS1_22reduce_config_selectorIbEEZNS1_11reduce_implILb1ES3_N6hipcub16HIPCUB_304000_NS22TransformInputIteratorIb7NonZeroIsEPslEEPllNS8_6detail34convert_binary_result_type_wrapperINS8_3SumESD_lEEEE10hipError_tPvRmT1_T2_T3_mT4_P12ihipStream_tbEUlT_E1_NS1_11comp_targetILNS1_3genE4ELNS1_11target_archE910ELNS1_3gpuE8ELNS1_3repE0EEENS1_30default_config_static_selectorELNS0_4arch9wavefront6targetE1EEEvSM_.private_seg_size, 0
	.set _ZN7rocprim17ROCPRIM_400000_NS6detail17trampoline_kernelINS0_14default_configENS1_22reduce_config_selectorIbEEZNS1_11reduce_implILb1ES3_N6hipcub16HIPCUB_304000_NS22TransformInputIteratorIb7NonZeroIsEPslEEPllNS8_6detail34convert_binary_result_type_wrapperINS8_3SumESD_lEEEE10hipError_tPvRmT1_T2_T3_mT4_P12ihipStream_tbEUlT_E1_NS1_11comp_targetILNS1_3genE4ELNS1_11target_archE910ELNS1_3gpuE8ELNS1_3repE0EEENS1_30default_config_static_selectorELNS0_4arch9wavefront6targetE1EEEvSM_.uses_vcc, 0
	.set _ZN7rocprim17ROCPRIM_400000_NS6detail17trampoline_kernelINS0_14default_configENS1_22reduce_config_selectorIbEEZNS1_11reduce_implILb1ES3_N6hipcub16HIPCUB_304000_NS22TransformInputIteratorIb7NonZeroIsEPslEEPllNS8_6detail34convert_binary_result_type_wrapperINS8_3SumESD_lEEEE10hipError_tPvRmT1_T2_T3_mT4_P12ihipStream_tbEUlT_E1_NS1_11comp_targetILNS1_3genE4ELNS1_11target_archE910ELNS1_3gpuE8ELNS1_3repE0EEENS1_30default_config_static_selectorELNS0_4arch9wavefront6targetE1EEEvSM_.uses_flat_scratch, 0
	.set _ZN7rocprim17ROCPRIM_400000_NS6detail17trampoline_kernelINS0_14default_configENS1_22reduce_config_selectorIbEEZNS1_11reduce_implILb1ES3_N6hipcub16HIPCUB_304000_NS22TransformInputIteratorIb7NonZeroIsEPslEEPllNS8_6detail34convert_binary_result_type_wrapperINS8_3SumESD_lEEEE10hipError_tPvRmT1_T2_T3_mT4_P12ihipStream_tbEUlT_E1_NS1_11comp_targetILNS1_3genE4ELNS1_11target_archE910ELNS1_3gpuE8ELNS1_3repE0EEENS1_30default_config_static_selectorELNS0_4arch9wavefront6targetE1EEEvSM_.has_dyn_sized_stack, 0
	.set _ZN7rocprim17ROCPRIM_400000_NS6detail17trampoline_kernelINS0_14default_configENS1_22reduce_config_selectorIbEEZNS1_11reduce_implILb1ES3_N6hipcub16HIPCUB_304000_NS22TransformInputIteratorIb7NonZeroIsEPslEEPllNS8_6detail34convert_binary_result_type_wrapperINS8_3SumESD_lEEEE10hipError_tPvRmT1_T2_T3_mT4_P12ihipStream_tbEUlT_E1_NS1_11comp_targetILNS1_3genE4ELNS1_11target_archE910ELNS1_3gpuE8ELNS1_3repE0EEENS1_30default_config_static_selectorELNS0_4arch9wavefront6targetE1EEEvSM_.has_recursion, 0
	.set _ZN7rocprim17ROCPRIM_400000_NS6detail17trampoline_kernelINS0_14default_configENS1_22reduce_config_selectorIbEEZNS1_11reduce_implILb1ES3_N6hipcub16HIPCUB_304000_NS22TransformInputIteratorIb7NonZeroIsEPslEEPllNS8_6detail34convert_binary_result_type_wrapperINS8_3SumESD_lEEEE10hipError_tPvRmT1_T2_T3_mT4_P12ihipStream_tbEUlT_E1_NS1_11comp_targetILNS1_3genE4ELNS1_11target_archE910ELNS1_3gpuE8ELNS1_3repE0EEENS1_30default_config_static_selectorELNS0_4arch9wavefront6targetE1EEEvSM_.has_indirect_call, 0
	.section	.AMDGPU.csdata,"",@progbits
; Kernel info:
; codeLenInByte = 0
; TotalNumSgprs: 4
; NumVgprs: 0
; ScratchSize: 0
; MemoryBound: 0
; FloatMode: 240
; IeeeMode: 1
; LDSByteSize: 0 bytes/workgroup (compile time only)
; SGPRBlocks: 0
; VGPRBlocks: 0
; NumSGPRsForWavesPerEU: 4
; NumVGPRsForWavesPerEU: 1
; Occupancy: 10
; WaveLimiterHint : 0
; COMPUTE_PGM_RSRC2:SCRATCH_EN: 0
; COMPUTE_PGM_RSRC2:USER_SGPR: 6
; COMPUTE_PGM_RSRC2:TRAP_HANDLER: 0
; COMPUTE_PGM_RSRC2:TGID_X_EN: 1
; COMPUTE_PGM_RSRC2:TGID_Y_EN: 0
; COMPUTE_PGM_RSRC2:TGID_Z_EN: 0
; COMPUTE_PGM_RSRC2:TIDIG_COMP_CNT: 0
	.section	.text._ZN7rocprim17ROCPRIM_400000_NS6detail17trampoline_kernelINS0_14default_configENS1_22reduce_config_selectorIbEEZNS1_11reduce_implILb1ES3_N6hipcub16HIPCUB_304000_NS22TransformInputIteratorIb7NonZeroIsEPslEEPllNS8_6detail34convert_binary_result_type_wrapperINS8_3SumESD_lEEEE10hipError_tPvRmT1_T2_T3_mT4_P12ihipStream_tbEUlT_E1_NS1_11comp_targetILNS1_3genE3ELNS1_11target_archE908ELNS1_3gpuE7ELNS1_3repE0EEENS1_30default_config_static_selectorELNS0_4arch9wavefront6targetE1EEEvSM_,"axG",@progbits,_ZN7rocprim17ROCPRIM_400000_NS6detail17trampoline_kernelINS0_14default_configENS1_22reduce_config_selectorIbEEZNS1_11reduce_implILb1ES3_N6hipcub16HIPCUB_304000_NS22TransformInputIteratorIb7NonZeroIsEPslEEPllNS8_6detail34convert_binary_result_type_wrapperINS8_3SumESD_lEEEE10hipError_tPvRmT1_T2_T3_mT4_P12ihipStream_tbEUlT_E1_NS1_11comp_targetILNS1_3genE3ELNS1_11target_archE908ELNS1_3gpuE7ELNS1_3repE0EEENS1_30default_config_static_selectorELNS0_4arch9wavefront6targetE1EEEvSM_,comdat
	.protected	_ZN7rocprim17ROCPRIM_400000_NS6detail17trampoline_kernelINS0_14default_configENS1_22reduce_config_selectorIbEEZNS1_11reduce_implILb1ES3_N6hipcub16HIPCUB_304000_NS22TransformInputIteratorIb7NonZeroIsEPslEEPllNS8_6detail34convert_binary_result_type_wrapperINS8_3SumESD_lEEEE10hipError_tPvRmT1_T2_T3_mT4_P12ihipStream_tbEUlT_E1_NS1_11comp_targetILNS1_3genE3ELNS1_11target_archE908ELNS1_3gpuE7ELNS1_3repE0EEENS1_30default_config_static_selectorELNS0_4arch9wavefront6targetE1EEEvSM_ ; -- Begin function _ZN7rocprim17ROCPRIM_400000_NS6detail17trampoline_kernelINS0_14default_configENS1_22reduce_config_selectorIbEEZNS1_11reduce_implILb1ES3_N6hipcub16HIPCUB_304000_NS22TransformInputIteratorIb7NonZeroIsEPslEEPllNS8_6detail34convert_binary_result_type_wrapperINS8_3SumESD_lEEEE10hipError_tPvRmT1_T2_T3_mT4_P12ihipStream_tbEUlT_E1_NS1_11comp_targetILNS1_3genE3ELNS1_11target_archE908ELNS1_3gpuE7ELNS1_3repE0EEENS1_30default_config_static_selectorELNS0_4arch9wavefront6targetE1EEEvSM_
	.globl	_ZN7rocprim17ROCPRIM_400000_NS6detail17trampoline_kernelINS0_14default_configENS1_22reduce_config_selectorIbEEZNS1_11reduce_implILb1ES3_N6hipcub16HIPCUB_304000_NS22TransformInputIteratorIb7NonZeroIsEPslEEPllNS8_6detail34convert_binary_result_type_wrapperINS8_3SumESD_lEEEE10hipError_tPvRmT1_T2_T3_mT4_P12ihipStream_tbEUlT_E1_NS1_11comp_targetILNS1_3genE3ELNS1_11target_archE908ELNS1_3gpuE7ELNS1_3repE0EEENS1_30default_config_static_selectorELNS0_4arch9wavefront6targetE1EEEvSM_
	.p2align	8
	.type	_ZN7rocprim17ROCPRIM_400000_NS6detail17trampoline_kernelINS0_14default_configENS1_22reduce_config_selectorIbEEZNS1_11reduce_implILb1ES3_N6hipcub16HIPCUB_304000_NS22TransformInputIteratorIb7NonZeroIsEPslEEPllNS8_6detail34convert_binary_result_type_wrapperINS8_3SumESD_lEEEE10hipError_tPvRmT1_T2_T3_mT4_P12ihipStream_tbEUlT_E1_NS1_11comp_targetILNS1_3genE3ELNS1_11target_archE908ELNS1_3gpuE7ELNS1_3repE0EEENS1_30default_config_static_selectorELNS0_4arch9wavefront6targetE1EEEvSM_,@function
_ZN7rocprim17ROCPRIM_400000_NS6detail17trampoline_kernelINS0_14default_configENS1_22reduce_config_selectorIbEEZNS1_11reduce_implILb1ES3_N6hipcub16HIPCUB_304000_NS22TransformInputIteratorIb7NonZeroIsEPslEEPllNS8_6detail34convert_binary_result_type_wrapperINS8_3SumESD_lEEEE10hipError_tPvRmT1_T2_T3_mT4_P12ihipStream_tbEUlT_E1_NS1_11comp_targetILNS1_3genE3ELNS1_11target_archE908ELNS1_3gpuE7ELNS1_3repE0EEENS1_30default_config_static_selectorELNS0_4arch9wavefront6targetE1EEEvSM_: ; @_ZN7rocprim17ROCPRIM_400000_NS6detail17trampoline_kernelINS0_14default_configENS1_22reduce_config_selectorIbEEZNS1_11reduce_implILb1ES3_N6hipcub16HIPCUB_304000_NS22TransformInputIteratorIb7NonZeroIsEPslEEPllNS8_6detail34convert_binary_result_type_wrapperINS8_3SumESD_lEEEE10hipError_tPvRmT1_T2_T3_mT4_P12ihipStream_tbEUlT_E1_NS1_11comp_targetILNS1_3genE3ELNS1_11target_archE908ELNS1_3gpuE7ELNS1_3repE0EEENS1_30default_config_static_selectorELNS0_4arch9wavefront6targetE1EEEvSM_
; %bb.0:
	.section	.rodata,"a",@progbits
	.p2align	6, 0x0
	.amdhsa_kernel _ZN7rocprim17ROCPRIM_400000_NS6detail17trampoline_kernelINS0_14default_configENS1_22reduce_config_selectorIbEEZNS1_11reduce_implILb1ES3_N6hipcub16HIPCUB_304000_NS22TransformInputIteratorIb7NonZeroIsEPslEEPllNS8_6detail34convert_binary_result_type_wrapperINS8_3SumESD_lEEEE10hipError_tPvRmT1_T2_T3_mT4_P12ihipStream_tbEUlT_E1_NS1_11comp_targetILNS1_3genE3ELNS1_11target_archE908ELNS1_3gpuE7ELNS1_3repE0EEENS1_30default_config_static_selectorELNS0_4arch9wavefront6targetE1EEEvSM_
		.amdhsa_group_segment_fixed_size 0
		.amdhsa_private_segment_fixed_size 0
		.amdhsa_kernarg_size 56
		.amdhsa_user_sgpr_count 6
		.amdhsa_user_sgpr_private_segment_buffer 1
		.amdhsa_user_sgpr_dispatch_ptr 0
		.amdhsa_user_sgpr_queue_ptr 0
		.amdhsa_user_sgpr_kernarg_segment_ptr 1
		.amdhsa_user_sgpr_dispatch_id 0
		.amdhsa_user_sgpr_flat_scratch_init 0
		.amdhsa_user_sgpr_private_segment_size 0
		.amdhsa_uses_dynamic_stack 0
		.amdhsa_system_sgpr_private_segment_wavefront_offset 0
		.amdhsa_system_sgpr_workgroup_id_x 1
		.amdhsa_system_sgpr_workgroup_id_y 0
		.amdhsa_system_sgpr_workgroup_id_z 0
		.amdhsa_system_sgpr_workgroup_info 0
		.amdhsa_system_vgpr_workitem_id 0
		.amdhsa_next_free_vgpr 1
		.amdhsa_next_free_sgpr 0
		.amdhsa_reserve_vcc 0
		.amdhsa_reserve_flat_scratch 0
		.amdhsa_float_round_mode_32 0
		.amdhsa_float_round_mode_16_64 0
		.amdhsa_float_denorm_mode_32 3
		.amdhsa_float_denorm_mode_16_64 3
		.amdhsa_dx10_clamp 1
		.amdhsa_ieee_mode 1
		.amdhsa_fp16_overflow 0
		.amdhsa_exception_fp_ieee_invalid_op 0
		.amdhsa_exception_fp_denorm_src 0
		.amdhsa_exception_fp_ieee_div_zero 0
		.amdhsa_exception_fp_ieee_overflow 0
		.amdhsa_exception_fp_ieee_underflow 0
		.amdhsa_exception_fp_ieee_inexact 0
		.amdhsa_exception_int_div_zero 0
	.end_amdhsa_kernel
	.section	.text._ZN7rocprim17ROCPRIM_400000_NS6detail17trampoline_kernelINS0_14default_configENS1_22reduce_config_selectorIbEEZNS1_11reduce_implILb1ES3_N6hipcub16HIPCUB_304000_NS22TransformInputIteratorIb7NonZeroIsEPslEEPllNS8_6detail34convert_binary_result_type_wrapperINS8_3SumESD_lEEEE10hipError_tPvRmT1_T2_T3_mT4_P12ihipStream_tbEUlT_E1_NS1_11comp_targetILNS1_3genE3ELNS1_11target_archE908ELNS1_3gpuE7ELNS1_3repE0EEENS1_30default_config_static_selectorELNS0_4arch9wavefront6targetE1EEEvSM_,"axG",@progbits,_ZN7rocprim17ROCPRIM_400000_NS6detail17trampoline_kernelINS0_14default_configENS1_22reduce_config_selectorIbEEZNS1_11reduce_implILb1ES3_N6hipcub16HIPCUB_304000_NS22TransformInputIteratorIb7NonZeroIsEPslEEPllNS8_6detail34convert_binary_result_type_wrapperINS8_3SumESD_lEEEE10hipError_tPvRmT1_T2_T3_mT4_P12ihipStream_tbEUlT_E1_NS1_11comp_targetILNS1_3genE3ELNS1_11target_archE908ELNS1_3gpuE7ELNS1_3repE0EEENS1_30default_config_static_selectorELNS0_4arch9wavefront6targetE1EEEvSM_,comdat
.Lfunc_end111:
	.size	_ZN7rocprim17ROCPRIM_400000_NS6detail17trampoline_kernelINS0_14default_configENS1_22reduce_config_selectorIbEEZNS1_11reduce_implILb1ES3_N6hipcub16HIPCUB_304000_NS22TransformInputIteratorIb7NonZeroIsEPslEEPllNS8_6detail34convert_binary_result_type_wrapperINS8_3SumESD_lEEEE10hipError_tPvRmT1_T2_T3_mT4_P12ihipStream_tbEUlT_E1_NS1_11comp_targetILNS1_3genE3ELNS1_11target_archE908ELNS1_3gpuE7ELNS1_3repE0EEENS1_30default_config_static_selectorELNS0_4arch9wavefront6targetE1EEEvSM_, .Lfunc_end111-_ZN7rocprim17ROCPRIM_400000_NS6detail17trampoline_kernelINS0_14default_configENS1_22reduce_config_selectorIbEEZNS1_11reduce_implILb1ES3_N6hipcub16HIPCUB_304000_NS22TransformInputIteratorIb7NonZeroIsEPslEEPllNS8_6detail34convert_binary_result_type_wrapperINS8_3SumESD_lEEEE10hipError_tPvRmT1_T2_T3_mT4_P12ihipStream_tbEUlT_E1_NS1_11comp_targetILNS1_3genE3ELNS1_11target_archE908ELNS1_3gpuE7ELNS1_3repE0EEENS1_30default_config_static_selectorELNS0_4arch9wavefront6targetE1EEEvSM_
                                        ; -- End function
	.set _ZN7rocprim17ROCPRIM_400000_NS6detail17trampoline_kernelINS0_14default_configENS1_22reduce_config_selectorIbEEZNS1_11reduce_implILb1ES3_N6hipcub16HIPCUB_304000_NS22TransformInputIteratorIb7NonZeroIsEPslEEPllNS8_6detail34convert_binary_result_type_wrapperINS8_3SumESD_lEEEE10hipError_tPvRmT1_T2_T3_mT4_P12ihipStream_tbEUlT_E1_NS1_11comp_targetILNS1_3genE3ELNS1_11target_archE908ELNS1_3gpuE7ELNS1_3repE0EEENS1_30default_config_static_selectorELNS0_4arch9wavefront6targetE1EEEvSM_.num_vgpr, 0
	.set _ZN7rocprim17ROCPRIM_400000_NS6detail17trampoline_kernelINS0_14default_configENS1_22reduce_config_selectorIbEEZNS1_11reduce_implILb1ES3_N6hipcub16HIPCUB_304000_NS22TransformInputIteratorIb7NonZeroIsEPslEEPllNS8_6detail34convert_binary_result_type_wrapperINS8_3SumESD_lEEEE10hipError_tPvRmT1_T2_T3_mT4_P12ihipStream_tbEUlT_E1_NS1_11comp_targetILNS1_3genE3ELNS1_11target_archE908ELNS1_3gpuE7ELNS1_3repE0EEENS1_30default_config_static_selectorELNS0_4arch9wavefront6targetE1EEEvSM_.num_agpr, 0
	.set _ZN7rocprim17ROCPRIM_400000_NS6detail17trampoline_kernelINS0_14default_configENS1_22reduce_config_selectorIbEEZNS1_11reduce_implILb1ES3_N6hipcub16HIPCUB_304000_NS22TransformInputIteratorIb7NonZeroIsEPslEEPllNS8_6detail34convert_binary_result_type_wrapperINS8_3SumESD_lEEEE10hipError_tPvRmT1_T2_T3_mT4_P12ihipStream_tbEUlT_E1_NS1_11comp_targetILNS1_3genE3ELNS1_11target_archE908ELNS1_3gpuE7ELNS1_3repE0EEENS1_30default_config_static_selectorELNS0_4arch9wavefront6targetE1EEEvSM_.numbered_sgpr, 0
	.set _ZN7rocprim17ROCPRIM_400000_NS6detail17trampoline_kernelINS0_14default_configENS1_22reduce_config_selectorIbEEZNS1_11reduce_implILb1ES3_N6hipcub16HIPCUB_304000_NS22TransformInputIteratorIb7NonZeroIsEPslEEPllNS8_6detail34convert_binary_result_type_wrapperINS8_3SumESD_lEEEE10hipError_tPvRmT1_T2_T3_mT4_P12ihipStream_tbEUlT_E1_NS1_11comp_targetILNS1_3genE3ELNS1_11target_archE908ELNS1_3gpuE7ELNS1_3repE0EEENS1_30default_config_static_selectorELNS0_4arch9wavefront6targetE1EEEvSM_.num_named_barrier, 0
	.set _ZN7rocprim17ROCPRIM_400000_NS6detail17trampoline_kernelINS0_14default_configENS1_22reduce_config_selectorIbEEZNS1_11reduce_implILb1ES3_N6hipcub16HIPCUB_304000_NS22TransformInputIteratorIb7NonZeroIsEPslEEPllNS8_6detail34convert_binary_result_type_wrapperINS8_3SumESD_lEEEE10hipError_tPvRmT1_T2_T3_mT4_P12ihipStream_tbEUlT_E1_NS1_11comp_targetILNS1_3genE3ELNS1_11target_archE908ELNS1_3gpuE7ELNS1_3repE0EEENS1_30default_config_static_selectorELNS0_4arch9wavefront6targetE1EEEvSM_.private_seg_size, 0
	.set _ZN7rocprim17ROCPRIM_400000_NS6detail17trampoline_kernelINS0_14default_configENS1_22reduce_config_selectorIbEEZNS1_11reduce_implILb1ES3_N6hipcub16HIPCUB_304000_NS22TransformInputIteratorIb7NonZeroIsEPslEEPllNS8_6detail34convert_binary_result_type_wrapperINS8_3SumESD_lEEEE10hipError_tPvRmT1_T2_T3_mT4_P12ihipStream_tbEUlT_E1_NS1_11comp_targetILNS1_3genE3ELNS1_11target_archE908ELNS1_3gpuE7ELNS1_3repE0EEENS1_30default_config_static_selectorELNS0_4arch9wavefront6targetE1EEEvSM_.uses_vcc, 0
	.set _ZN7rocprim17ROCPRIM_400000_NS6detail17trampoline_kernelINS0_14default_configENS1_22reduce_config_selectorIbEEZNS1_11reduce_implILb1ES3_N6hipcub16HIPCUB_304000_NS22TransformInputIteratorIb7NonZeroIsEPslEEPllNS8_6detail34convert_binary_result_type_wrapperINS8_3SumESD_lEEEE10hipError_tPvRmT1_T2_T3_mT4_P12ihipStream_tbEUlT_E1_NS1_11comp_targetILNS1_3genE3ELNS1_11target_archE908ELNS1_3gpuE7ELNS1_3repE0EEENS1_30default_config_static_selectorELNS0_4arch9wavefront6targetE1EEEvSM_.uses_flat_scratch, 0
	.set _ZN7rocprim17ROCPRIM_400000_NS6detail17trampoline_kernelINS0_14default_configENS1_22reduce_config_selectorIbEEZNS1_11reduce_implILb1ES3_N6hipcub16HIPCUB_304000_NS22TransformInputIteratorIb7NonZeroIsEPslEEPllNS8_6detail34convert_binary_result_type_wrapperINS8_3SumESD_lEEEE10hipError_tPvRmT1_T2_T3_mT4_P12ihipStream_tbEUlT_E1_NS1_11comp_targetILNS1_3genE3ELNS1_11target_archE908ELNS1_3gpuE7ELNS1_3repE0EEENS1_30default_config_static_selectorELNS0_4arch9wavefront6targetE1EEEvSM_.has_dyn_sized_stack, 0
	.set _ZN7rocprim17ROCPRIM_400000_NS6detail17trampoline_kernelINS0_14default_configENS1_22reduce_config_selectorIbEEZNS1_11reduce_implILb1ES3_N6hipcub16HIPCUB_304000_NS22TransformInputIteratorIb7NonZeroIsEPslEEPllNS8_6detail34convert_binary_result_type_wrapperINS8_3SumESD_lEEEE10hipError_tPvRmT1_T2_T3_mT4_P12ihipStream_tbEUlT_E1_NS1_11comp_targetILNS1_3genE3ELNS1_11target_archE908ELNS1_3gpuE7ELNS1_3repE0EEENS1_30default_config_static_selectorELNS0_4arch9wavefront6targetE1EEEvSM_.has_recursion, 0
	.set _ZN7rocprim17ROCPRIM_400000_NS6detail17trampoline_kernelINS0_14default_configENS1_22reduce_config_selectorIbEEZNS1_11reduce_implILb1ES3_N6hipcub16HIPCUB_304000_NS22TransformInputIteratorIb7NonZeroIsEPslEEPllNS8_6detail34convert_binary_result_type_wrapperINS8_3SumESD_lEEEE10hipError_tPvRmT1_T2_T3_mT4_P12ihipStream_tbEUlT_E1_NS1_11comp_targetILNS1_3genE3ELNS1_11target_archE908ELNS1_3gpuE7ELNS1_3repE0EEENS1_30default_config_static_selectorELNS0_4arch9wavefront6targetE1EEEvSM_.has_indirect_call, 0
	.section	.AMDGPU.csdata,"",@progbits
; Kernel info:
; codeLenInByte = 0
; TotalNumSgprs: 4
; NumVgprs: 0
; ScratchSize: 0
; MemoryBound: 0
; FloatMode: 240
; IeeeMode: 1
; LDSByteSize: 0 bytes/workgroup (compile time only)
; SGPRBlocks: 0
; VGPRBlocks: 0
; NumSGPRsForWavesPerEU: 4
; NumVGPRsForWavesPerEU: 1
; Occupancy: 10
; WaveLimiterHint : 0
; COMPUTE_PGM_RSRC2:SCRATCH_EN: 0
; COMPUTE_PGM_RSRC2:USER_SGPR: 6
; COMPUTE_PGM_RSRC2:TRAP_HANDLER: 0
; COMPUTE_PGM_RSRC2:TGID_X_EN: 1
; COMPUTE_PGM_RSRC2:TGID_Y_EN: 0
; COMPUTE_PGM_RSRC2:TGID_Z_EN: 0
; COMPUTE_PGM_RSRC2:TIDIG_COMP_CNT: 0
	.section	.text._ZN7rocprim17ROCPRIM_400000_NS6detail17trampoline_kernelINS0_14default_configENS1_22reduce_config_selectorIbEEZNS1_11reduce_implILb1ES3_N6hipcub16HIPCUB_304000_NS22TransformInputIteratorIb7NonZeroIsEPslEEPllNS8_6detail34convert_binary_result_type_wrapperINS8_3SumESD_lEEEE10hipError_tPvRmT1_T2_T3_mT4_P12ihipStream_tbEUlT_E1_NS1_11comp_targetILNS1_3genE2ELNS1_11target_archE906ELNS1_3gpuE6ELNS1_3repE0EEENS1_30default_config_static_selectorELNS0_4arch9wavefront6targetE1EEEvSM_,"axG",@progbits,_ZN7rocprim17ROCPRIM_400000_NS6detail17trampoline_kernelINS0_14default_configENS1_22reduce_config_selectorIbEEZNS1_11reduce_implILb1ES3_N6hipcub16HIPCUB_304000_NS22TransformInputIteratorIb7NonZeroIsEPslEEPllNS8_6detail34convert_binary_result_type_wrapperINS8_3SumESD_lEEEE10hipError_tPvRmT1_T2_T3_mT4_P12ihipStream_tbEUlT_E1_NS1_11comp_targetILNS1_3genE2ELNS1_11target_archE906ELNS1_3gpuE6ELNS1_3repE0EEENS1_30default_config_static_selectorELNS0_4arch9wavefront6targetE1EEEvSM_,comdat
	.protected	_ZN7rocprim17ROCPRIM_400000_NS6detail17trampoline_kernelINS0_14default_configENS1_22reduce_config_selectorIbEEZNS1_11reduce_implILb1ES3_N6hipcub16HIPCUB_304000_NS22TransformInputIteratorIb7NonZeroIsEPslEEPllNS8_6detail34convert_binary_result_type_wrapperINS8_3SumESD_lEEEE10hipError_tPvRmT1_T2_T3_mT4_P12ihipStream_tbEUlT_E1_NS1_11comp_targetILNS1_3genE2ELNS1_11target_archE906ELNS1_3gpuE6ELNS1_3repE0EEENS1_30default_config_static_selectorELNS0_4arch9wavefront6targetE1EEEvSM_ ; -- Begin function _ZN7rocprim17ROCPRIM_400000_NS6detail17trampoline_kernelINS0_14default_configENS1_22reduce_config_selectorIbEEZNS1_11reduce_implILb1ES3_N6hipcub16HIPCUB_304000_NS22TransformInputIteratorIb7NonZeroIsEPslEEPllNS8_6detail34convert_binary_result_type_wrapperINS8_3SumESD_lEEEE10hipError_tPvRmT1_T2_T3_mT4_P12ihipStream_tbEUlT_E1_NS1_11comp_targetILNS1_3genE2ELNS1_11target_archE906ELNS1_3gpuE6ELNS1_3repE0EEENS1_30default_config_static_selectorELNS0_4arch9wavefront6targetE1EEEvSM_
	.globl	_ZN7rocprim17ROCPRIM_400000_NS6detail17trampoline_kernelINS0_14default_configENS1_22reduce_config_selectorIbEEZNS1_11reduce_implILb1ES3_N6hipcub16HIPCUB_304000_NS22TransformInputIteratorIb7NonZeroIsEPslEEPllNS8_6detail34convert_binary_result_type_wrapperINS8_3SumESD_lEEEE10hipError_tPvRmT1_T2_T3_mT4_P12ihipStream_tbEUlT_E1_NS1_11comp_targetILNS1_3genE2ELNS1_11target_archE906ELNS1_3gpuE6ELNS1_3repE0EEENS1_30default_config_static_selectorELNS0_4arch9wavefront6targetE1EEEvSM_
	.p2align	8
	.type	_ZN7rocprim17ROCPRIM_400000_NS6detail17trampoline_kernelINS0_14default_configENS1_22reduce_config_selectorIbEEZNS1_11reduce_implILb1ES3_N6hipcub16HIPCUB_304000_NS22TransformInputIteratorIb7NonZeroIsEPslEEPllNS8_6detail34convert_binary_result_type_wrapperINS8_3SumESD_lEEEE10hipError_tPvRmT1_T2_T3_mT4_P12ihipStream_tbEUlT_E1_NS1_11comp_targetILNS1_3genE2ELNS1_11target_archE906ELNS1_3gpuE6ELNS1_3repE0EEENS1_30default_config_static_selectorELNS0_4arch9wavefront6targetE1EEEvSM_,@function
_ZN7rocprim17ROCPRIM_400000_NS6detail17trampoline_kernelINS0_14default_configENS1_22reduce_config_selectorIbEEZNS1_11reduce_implILb1ES3_N6hipcub16HIPCUB_304000_NS22TransformInputIteratorIb7NonZeroIsEPslEEPllNS8_6detail34convert_binary_result_type_wrapperINS8_3SumESD_lEEEE10hipError_tPvRmT1_T2_T3_mT4_P12ihipStream_tbEUlT_E1_NS1_11comp_targetILNS1_3genE2ELNS1_11target_archE906ELNS1_3gpuE6ELNS1_3repE0EEENS1_30default_config_static_selectorELNS0_4arch9wavefront6targetE1EEEvSM_: ; @_ZN7rocprim17ROCPRIM_400000_NS6detail17trampoline_kernelINS0_14default_configENS1_22reduce_config_selectorIbEEZNS1_11reduce_implILb1ES3_N6hipcub16HIPCUB_304000_NS22TransformInputIteratorIb7NonZeroIsEPslEEPllNS8_6detail34convert_binary_result_type_wrapperINS8_3SumESD_lEEEE10hipError_tPvRmT1_T2_T3_mT4_P12ihipStream_tbEUlT_E1_NS1_11comp_targetILNS1_3genE2ELNS1_11target_archE906ELNS1_3gpuE6ELNS1_3repE0EEENS1_30default_config_static_selectorELNS0_4arch9wavefront6targetE1EEEvSM_
; %bb.0:
	s_mov_b64 s[38:39], s[2:3]
	s_mov_b64 s[36:37], s[0:1]
	s_load_dword s26, s[4:5], 0x4
	s_load_dwordx2 s[18:19], s[4:5], 0x8
	s_load_dwordx4 s[20:23], s[4:5], 0x18
	s_add_u32 s36, s36, s7
	s_addc_u32 s37, s37, 0
	s_waitcnt lgkmcnt(0)
	s_cmp_lt_i32 s26, 16
	s_cbranch_scc1 .LBB112_10
; %bb.1:
	s_cmp_gt_i32 s26, 63
	s_cbranch_scc0 .LBB112_11
; %bb.2:
	s_cmpk_gt_i32 s26, 0x7f
	s_cbranch_scc0 .LBB112_12
; %bb.3:
	s_mov_b64 s[0:1], 0
	s_cmpk_eq_i32 s26, 0x80
	s_mov_b64 s[2:3], 0
                                        ; implicit-def: $vgpr1_vgpr2
                                        ; implicit-def: $vgpr3_vgpr4
	s_cbranch_scc0 .LBB112_13
; %bb.4:
	s_mov_b32 s7, 0
	s_lshl_b32 s8, s6, 14
	s_mov_b32 s9, s7
	s_lshr_b64 s[10:11], s[20:21], 14
	s_lshl_b64 s[2:3], s[8:9], 1
	s_add_u32 s2, s18, s2
	s_addc_u32 s3, s19, s3
	s_cmp_lg_u64 s[10:11], s[6:7]
	s_cbranch_scc0 .LBB112_21
; %bb.5:
	v_lshlrev_b32_e32 v1, 1, v0
	global_load_ushort v7, v1, s[2:3] offset:768
	global_load_ushort v8, v1, s[2:3] offset:1024
	;; [unrolled: 1-line block ×13, first 2 shown]
	v_mov_b32_e32 v2, s3
	v_add_co_u32_e32 v18, vcc, s2, v1
	s_movk_i32 s10, 0x2000
	v_addc_co_u32_e32 v19, vcc, 0, v2, vcc
	v_add_co_u32_e32 v20, vcc, s10, v18
	v_addc_co_u32_e32 v21, vcc, 0, v19, vcc
	global_load_ushort v24, v[20:21], off offset:-4096
	s_movk_i32 s9, 0x1000
	v_add_co_u32_e32 v5, vcc, s9, v18
	v_addc_co_u32_e32 v6, vcc, 0, v19, vcc
	global_load_ushort v25, v[5:6], off offset:256
	global_load_ushort v26, v[5:6], off offset:512
	global_load_ushort v27, v[5:6], off offset:768
	global_load_ushort v2, v1, s[2:3]
	global_load_ushort v4, v1, s[2:3] offset:256
	global_load_ushort v3, v1, s[2:3] offset:512
	global_load_ushort v28, v[5:6], off offset:1024
	global_load_ushort v29, v[5:6], off offset:1280
	;; [unrolled: 1-line block ×12, first 2 shown]
	global_load_ushort v40, v[20:21], off
	global_load_ushort v41, v[20:21], off offset:256
	s_movk_i32 s9, 0x7000
	global_load_ushort v42, v[20:21], off offset:512
	global_load_ushort v43, v[20:21], off offset:768
	;; [unrolled: 1-line block ×6, first 2 shown]
	s_movk_i32 s10, 0x4000
	v_mov_b32_e32 v1, 0
	s_waitcnt vmcnt(39)
	v_cmp_ne_u16_e32 vcc, 0, v7
	v_cndmask_b32_e64 v5, 0, 1, vcc
	s_waitcnt vmcnt(38)
	v_cmp_ne_u16_e32 vcc, 0, v8
	v_cndmask_b32_e64 v6, 0, 1, vcc
	;; [unrolled: 3-line block ×13, first 2 shown]
	v_add_co_u32_e32 v22, vcc, s9, v18
	v_addc_co_u32_e32 v23, vcc, 0, v19, vcc
	global_load_ushort v48, v[22:23], off offset:2816
	global_load_ushort v49, v[22:23], off offset:3072
	;; [unrolled: 1-line block ×8, first 2 shown]
	s_waitcnt vmcnt(34)
	v_cmp_ne_u16_e32 vcc, 0, v24
	v_cndmask_b32_e64 v53, 0, 1, vcc
	s_waitcnt vmcnt(33)
	v_cmp_ne_u16_e32 vcc, 0, v25
	v_cndmask_b32_e64 v55, 0, 1, vcc
	;; [unrolled: 3-line block ×4, first 2 shown]
	global_load_ushort v58, v[20:21], off offset:2816
	global_load_ushort v59, v[20:21], off offset:3072
	;; [unrolled: 1-line block ×4, first 2 shown]
	v_add_co_u32_e32 v24, vcc, s10, v18
	s_movk_i32 s9, 0x3000
	v_addc_co_u32_e32 v25, vcc, 0, v19, vcc
	global_load_ushort v62, v[20:21], off offset:3840
	global_load_ushort v63, v[24:25], off offset:-4096
	v_add_co_u32_e32 v20, vcc, s9, v18
	v_addc_co_u32_e32 v21, vcc, 0, v19, vcc
	global_load_ushort v64, v[20:21], off offset:256
	global_load_ushort v65, v[20:21], off offset:512
	;; [unrolled: 1-line block ×15, first 2 shown]
	global_load_ushort v79, v[24:25], off
	global_load_ushort v80, v[24:25], off offset:256
	global_load_ushort v81, v[24:25], off offset:512
	;; [unrolled: 1-line block ×14, first 2 shown]
	s_waitcnt vmcnt(62)
	v_cmp_ne_u16_e32 vcc, 0, v28
	v_cndmask_b32_e64 v28, 0, 1, vcc
	v_cmp_ne_u16_e32 vcc, 0, v29
	v_cndmask_b32_e64 v29, 0, 1, vcc
	s_waitcnt vmcnt(61)
	v_cmp_ne_u16_e32 vcc, 0, v30
	v_cndmask_b32_e64 v30, 0, 1, vcc
	s_waitcnt vmcnt(60)
	;; [unrolled: 3-line block ×36, first 2 shown]
	v_cmp_ne_u16_e32 vcc, 0, v72
	s_movk_i32 s9, 0x5000
	v_cndmask_b32_e64 v72, 0, 1, vcc
	v_add_co_u32_e32 v20, vcc, s9, v18
	v_addc_co_u32_e32 v21, vcc, 0, v19, vcc
	s_movk_i32 s9, 0x6000
	v_add_co_u32_e32 v18, vcc, s9, v18
	v_addc_co_u32_e32 v19, vcc, 0, v19, vcc
	s_waitcnt vmcnt(20)
	v_cmp_ne_u16_e32 vcc, 0, v73
	global_load_ushort v94, v[24:25], off offset:3840
	global_load_ushort v95, v[18:19], off offset:-4096
	global_load_ushort v96, v[20:21], off offset:256
	global_load_ushort v97, v[20:21], off offset:512
	v_cndmask_b32_e64 v24, 0, 1, vcc
	s_waitcnt vmcnt(23)
	v_cmp_ne_u16_e32 vcc, 0, v74
	v_cndmask_b32_e64 v25, 0, 1, vcc
	s_waitcnt vmcnt(22)
	v_cmp_ne_u16_e32 vcc, 0, v75
	;; [unrolled: 3-line block ×4, first 2 shown]
	global_load_ushort v76, v[20:21], off offset:768
	global_load_ushort v77, v[20:21], off offset:1024
	;; [unrolled: 1-line block ×8, first 2 shown]
	v_cndmask_b32_e64 v75, 0, 1, vcc
	s_waitcnt vmcnt(27)
	v_cmp_ne_u16_e32 vcc, 0, v78
	global_load_ushort v104, v[20:21], off offset:2816
	global_load_ushort v105, v[20:21], off offset:3072
	v_cndmask_b32_e64 v78, 0, 1, vcc
	s_waitcnt vmcnt(28)
	v_cmp_ne_u16_e32 vcc, 0, v79
	v_cndmask_b32_e64 v79, 0, 1, vcc
	s_waitcnt vmcnt(27)
	v_cmp_ne_u16_e32 vcc, 0, v80
	global_load_ushort v106, v[20:21], off offset:3328
	global_load_ushort v107, v[20:21], off offset:3584
	v_cndmask_b32_e64 v80, 0, 1, vcc
	s_waitcnt vmcnt(28)
	v_cmp_ne_u16_e32 vcc, 0, v81
	v_cndmask_b32_e64 v81, 0, 1, vcc
	s_waitcnt vmcnt(27)
	v_cmp_ne_u16_e32 vcc, 0, v82
	global_load_ushort v108, v[20:21], off offset:3840
	global_load_ushort v109, v[18:19], off
	v_cndmask_b32_e64 v82, 0, 1, vcc
	s_waitcnt vmcnt(28)
	v_cmp_ne_u16_e32 vcc, 0, v83
	v_cndmask_b32_e64 v83, 0, 1, vcc
	s_waitcnt vmcnt(27)
	v_cmp_ne_u16_e32 vcc, 0, v84
	global_load_ushort v21, v[18:19], off offset:256
	global_load_ushort v84, v[18:19], off offset:512
	;; [unrolled: 1-line block ×10, first 2 shown]
	v_cndmask_b32_e64 v20, 0, 1, vcc
	s_waitcnt vmcnt(36)
	v_cmp_ne_u16_e32 vcc, 0, v85
	v_cndmask_b32_e64 v85, 0, 1, vcc
	s_waitcnt vmcnt(35)
	v_cmp_ne_u16_e32 vcc, 0, v86
	global_load_ushort v118, v[18:19], off offset:2816
	global_load_ushort v119, v[18:19], off offset:3072
	v_cndmask_b32_e64 v86, 0, 1, vcc
	s_waitcnt vmcnt(36)
	v_cmp_ne_u16_e32 vcc, 0, v87
	v_cndmask_b32_e64 v87, 0, 1, vcc
	s_waitcnt vmcnt(35)
	v_cmp_ne_u16_e32 vcc, 0, v88
	global_load_ushort v120, v[18:19], off offset:3328
	global_load_ushort v121, v[18:19], off offset:3584
	v_cndmask_b32_e64 v88, 0, 1, vcc
	s_waitcnt vmcnt(36)
	v_cmp_ne_u16_e32 vcc, 0, v89
	v_cndmask_b32_e64 v89, 0, 1, vcc
	s_waitcnt vmcnt(35)
	v_cmp_ne_u16_e32 vcc, 0, v90
	global_load_ushort v122, v[18:19], off offset:3840
	global_load_ushort v123, v[22:23], off
	v_cndmask_b32_e64 v90, 0, 1, vcc
	s_waitcnt vmcnt(36)
	v_cmp_ne_u16_e32 vcc, 0, v91
	v_cndmask_b32_e64 v91, 0, 1, vcc
	s_waitcnt vmcnt(35)
	v_cmp_ne_u16_e32 vcc, 0, v92
	global_load_ushort v19, v[22:23], off offset:256
	global_load_ushort v92, v[22:23], off offset:512
	;; [unrolled: 1-line block ×9, first 2 shown]
	s_nop 0
	global_load_ushort v22, v[22:23], off offset:2560
	v_cndmask_b32_e64 v18, 0, 1, vcc
	s_waitcnt vmcnt(44)
	v_cmp_ne_u16_e32 vcc, 0, v93
	v_cndmask_b32_e64 v93, 0, 1, vcc
	v_mov_b32_dpp v1, v1 quad_perm:[1,0,3,2] row_mask:0xf bank_mask:0xf bound_ctrl:1
	s_waitcnt vmcnt(43)
	v_cmp_ne_u16_e32 vcc, 0, v94
	v_cndmask_b32_e64 v94, 0, 1, vcc
	s_waitcnt vmcnt(42)
	v_cmp_ne_u16_e32 vcc, 0, v95
	v_cndmask_b32_e64 v95, 0, 1, vcc
	;; [unrolled: 3-line block ×44, first 2 shown]
	v_cmp_ne_u16_e32 vcc, 0, v48
	v_cndmask_b32_e64 v48, 0, 1, vcc
	v_cmp_ne_u16_e32 vcc, 0, v49
	v_cndmask_b32_e64 v49, 0, 1, vcc
	;; [unrolled: 2-line block ×7, first 2 shown]
	v_cmp_ne_u16_e32 vcc, 0, v3
	v_addc_co_u32_e32 v2, vcc, v4, v2, vcc
	v_add_co_u32_e32 v2, vcc, v2, v5
	v_addc_co_u32_e64 v3, s[10:11], 0, 0, vcc
	v_add_co_u32_e32 v2, vcc, v2, v6
	v_addc_co_u32_e32 v3, vcc, 0, v3, vcc
	v_add_co_u32_e32 v2, vcc, v2, v7
	v_addc_co_u32_e32 v3, vcc, 0, v3, vcc
	;; [unrolled: 2-line block ×124, first 2 shown]
	s_nop 0
	v_mov_b32_dpp v5, v2 quad_perm:[1,0,3,2] row_mask:0xf bank_mask:0xf bound_ctrl:1
	v_add_co_u32_e32 v2, vcc, v2, v5
	v_addc_co_u32_e32 v4, vcc, 0, v4, vcc
	v_add_co_u32_e32 v5, vcc, 0, v2
	v_addc_co_u32_e32 v1, vcc, v1, v4, vcc
	v_mov_b32_dpp v2, v2 quad_perm:[2,3,0,1] row_mask:0xf bank_mask:0xf bound_ctrl:1
	v_add_co_u32_e32 v2, vcc, v5, v2
	v_mov_b32_dpp v4, v1 quad_perm:[2,3,0,1] row_mask:0xf bank_mask:0xf bound_ctrl:1
	v_addc_co_u32_e32 v1, vcc, 0, v1, vcc
	v_add_co_u32_e32 v5, vcc, 0, v2
	v_addc_co_u32_e32 v1, vcc, v1, v4, vcc
	v_mov_b32_dpp v2, v2 row_ror:4 row_mask:0xf bank_mask:0xf bound_ctrl:1
	v_add_co_u32_e32 v2, vcc, v5, v2
	v_mov_b32_dpp v4, v1 row_ror:4 row_mask:0xf bank_mask:0xf bound_ctrl:1
	v_addc_co_u32_e32 v1, vcc, 0, v1, vcc
	v_add_co_u32_e32 v5, vcc, 0, v2
	v_addc_co_u32_e32 v1, vcc, v1, v4, vcc
	v_mov_b32_dpp v2, v2 row_ror:8 row_mask:0xf bank_mask:0xf bound_ctrl:1
	v_add_co_u32_e32 v2, vcc, v5, v2
	v_mov_b32_dpp v4, v1 row_ror:8 row_mask:0xf bank_mask:0xf bound_ctrl:1
	v_addc_co_u32_e32 v1, vcc, 0, v1, vcc
	v_add_co_u32_e32 v5, vcc, 0, v2
	v_addc_co_u32_e32 v1, vcc, v1, v4, vcc
	v_mov_b32_dpp v2, v2 row_bcast:15 row_mask:0xf bank_mask:0xf bound_ctrl:1
	v_add_co_u32_e32 v2, vcc, v5, v2
	v_mov_b32_dpp v4, v1 row_bcast:15 row_mask:0xf bank_mask:0xf bound_ctrl:1
	v_addc_co_u32_e32 v1, vcc, 0, v1, vcc
	v_add_co_u32_e32 v5, vcc, 0, v2
	v_addc_co_u32_e32 v1, vcc, v1, v4, vcc
	v_mov_b32_dpp v2, v2 row_bcast:31 row_mask:0xf bank_mask:0xf bound_ctrl:1
	v_mbcnt_lo_u32_b32 v3, -1, 0
	v_add_co_u32_e32 v2, vcc, v5, v2
	v_mbcnt_hi_u32_b32 v3, -1, v3
	v_addc_co_u32_e32 v4, vcc, 0, v1, vcc
	v_cmp_eq_u32_e32 vcc, 0, v3
	s_nop 0
	v_add_u32_dpp v5, v1, v4 row_bcast:31 row_mask:0xf bank_mask:0xf bound_ctrl:1
	v_lshlrev_b32_e32 v4, 2, v3
	v_or_b32_e32 v6, 0xfc, v4
	ds_bpermute_b32 v1, v6, v2
	ds_bpermute_b32 v2, v6, v5
	s_and_saveexec_b64 s[10:11], vcc
	s_cbranch_execz .LBB112_7
; %bb.6:
	v_lshrrev_b32_e32 v5, 3, v0
	v_and_b32_e32 v5, 8, v5
	s_waitcnt lgkmcnt(0)
	ds_write_b64 v5, v[1:2]
.LBB112_7:
	s_or_b64 exec, exec, s[10:11]
	v_cmp_gt_u32_e32 vcc, 64, v0
	s_waitcnt lgkmcnt(0)
	s_barrier
	s_and_saveexec_b64 s[10:11], vcc
	s_cbranch_execz .LBB112_9
; %bb.8:
	v_and_b32_e32 v1, 1, v3
	v_lshlrev_b32_e32 v1, 3, v1
	ds_read_b64 v[1:2], v1
	v_or_b32_e32 v3, 4, v4
	s_waitcnt lgkmcnt(0)
	ds_bpermute_b32 v4, v3, v1
	ds_bpermute_b32 v3, v3, v2
	s_waitcnt lgkmcnt(1)
	v_add_co_u32_e32 v1, vcc, v1, v4
	v_addc_co_u32_e32 v2, vcc, 0, v2, vcc
	v_add_co_u32_e32 v1, vcc, 0, v1
	s_waitcnt lgkmcnt(0)
	v_addc_co_u32_e32 v2, vcc, v2, v3, vcc
.LBB112_9:
	s_or_b64 exec, exec, s[10:11]
	s_mov_b64 s[10:11], 0
	s_branch .LBB112_22
.LBB112_10:
	s_mov_b64 s[2:3], 0
                                        ; implicit-def: $vgpr1_vgpr2
                                        ; implicit-def: $vgpr3_vgpr4
	s_cbranch_execnz .LBB112_592
	s_branch .LBB112_731
.LBB112_11:
	s_mov_b64 s[2:3], 0
                                        ; implicit-def: $vgpr1_vgpr2
                                        ; implicit-def: $vgpr3_vgpr4
	s_cbranch_execnz .LBB112_442
	s_branch .LBB112_591
.LBB112_12:
	s_mov_b64 s[0:1], -1
	s_mov_b64 s[2:3], 0
                                        ; implicit-def: $vgpr1_vgpr2
                                        ; implicit-def: $vgpr3_vgpr4
.LBB112_13:
	s_and_b64 vcc, exec, s[0:1]
	s_cbranch_vccz .LBB112_441
.LBB112_14:
	s_cmp_eq_u32 s26, 64
                                        ; implicit-def: $vgpr1_vgpr2
                                        ; implicit-def: $vgpr3_vgpr4
	s_cbranch_scc0 .LBB112_441
; %bb.15:
	s_mov_b32 s7, 0
	s_lshl_b32 s2, s6, 13
	s_mov_b32 s3, s7
	s_lshr_b64 s[8:9], s[20:21], 13
	s_lshl_b64 s[0:1], s[2:3], 1
	s_add_u32 s0, s18, s0
	s_addc_u32 s1, s19, s1
	s_cmp_lg_u64 s[8:9], s[6:7]
	s_cbranch_scc0 .LBB112_295
; %bb.16:
	v_lshlrev_b32_e32 v1, 1, v0
	global_load_ushort v5, v1, s[0:1] offset:768
	global_load_ushort v6, v1, s[0:1] offset:1024
	;; [unrolled: 1-line block ×13, first 2 shown]
	global_load_ushort v18, v1, s[0:1]
	global_load_ushort v19, v1, s[0:1] offset:256
	global_load_ushort v20, v1, s[0:1] offset:512
	v_mov_b32_e32 v2, s1
	v_add_co_u32_e32 v22, vcc, s0, v1
	s_movk_i32 s8, 0x2000
	v_addc_co_u32_e32 v23, vcc, 0, v2, vcc
	v_add_co_u32_e32 v1, vcc, s8, v22
	v_addc_co_u32_e32 v2, vcc, 0, v23, vcc
	global_load_ushort v24, v[1:2], off offset:-4096
	s_movk_i32 s3, 0x1000
	v_add_co_u32_e32 v3, vcc, s3, v22
	v_addc_co_u32_e32 v4, vcc, 0, v23, vcc
	global_load_ushort v25, v[3:4], off offset:256
	global_load_ushort v26, v[3:4], off offset:512
	;; [unrolled: 1-line block ×15, first 2 shown]
                                        ; kill: killed $vgpr3 killed $vgpr4
	s_nop 0
	global_load_ushort v3, v[1:2], off
	global_load_ushort v4, v[1:2], off offset:256
	global_load_ushort v40, v[1:2], off offset:512
	;; [unrolled: 1-line block ×15, first 2 shown]
	s_movk_i32 s3, 0x3000
	v_mov_b32_e32 v21, 0
	s_waitcnt vmcnt(47)
	v_cmp_ne_u16_e32 vcc, 0, v5
	v_cndmask_b32_e64 v5, 0, 1, vcc
	s_waitcnt vmcnt(46)
	v_cmp_ne_u16_e32 vcc, 0, v6
	v_cndmask_b32_e64 v6, 0, 1, vcc
	;; [unrolled: 3-line block ×13, first 2 shown]
	v_add_co_u32_e32 v1, vcc, s3, v22
	v_addc_co_u32_e32 v2, vcc, 0, v23, vcc
	global_load_ushort v22, v[1:2], off
	global_load_ushort v23, v[1:2], off offset:256
	global_load_ushort v54, v[1:2], off offset:512
	;; [unrolled: 1-line block ×14, first 2 shown]
	s_nop 0
	global_load_ushort v1, v[1:2], off offset:3840
	s_waitcnt vmcnt(47)
	v_cmp_ne_u16_e32 vcc, 0, v24
	v_cndmask_b32_e64 v2, 0, 1, vcc
	s_waitcnt vmcnt(46)
	v_cmp_ne_u16_e32 vcc, 0, v25
	v_cndmask_b32_e64 v24, 0, 1, vcc
	;; [unrolled: 3-line block ×48, first 2 shown]
	v_cmp_ne_u16_e32 vcc, 0, v19
	v_cndmask_b32_e64 v19, 0, 1, vcc
	v_cmp_ne_u16_e32 vcc, 0, v18
	v_cndmask_b32_e64 v18, 0, 1, vcc
	v_cmp_ne_u16_e32 vcc, 0, v20
	v_addc_co_u32_e32 v18, vcc, v19, v18, vcc
	v_add_co_u32_e32 v5, vcc, v18, v5
	v_addc_co_u32_e64 v18, s[8:9], 0, 0, vcc
	v_add_co_u32_e32 v5, vcc, v5, v6
	v_addc_co_u32_e32 v6, vcc, 0, v18, vcc
	v_add_co_u32_e32 v5, vcc, v5, v7
	v_addc_co_u32_e32 v6, vcc, 0, v6, vcc
	;; [unrolled: 2-line block ×60, first 2 shown]
	s_nop 0
	v_mov_b32_dpp v4, v1 quad_perm:[1,0,3,2] row_mask:0xf bank_mask:0xf bound_ctrl:1
	v_add_co_u32_e32 v1, vcc, v1, v4
	v_addc_co_u32_e32 v2, vcc, 0, v2, vcc
	v_mov_b32_dpp v5, v21 quad_perm:[1,0,3,2] row_mask:0xf bank_mask:0xf bound_ctrl:1
	v_add_co_u32_e32 v4, vcc, 0, v1
	v_addc_co_u32_e32 v2, vcc, v5, v2, vcc
	v_mov_b32_dpp v1, v1 quad_perm:[2,3,0,1] row_mask:0xf bank_mask:0xf bound_ctrl:1
	v_add_co_u32_e32 v1, vcc, v4, v1
	v_mov_b32_dpp v5, v2 quad_perm:[2,3,0,1] row_mask:0xf bank_mask:0xf bound_ctrl:1
	v_addc_co_u32_e32 v2, vcc, 0, v2, vcc
	v_add_co_u32_e32 v4, vcc, 0, v1
	v_addc_co_u32_e32 v2, vcc, v2, v5, vcc
	v_mov_b32_dpp v1, v1 row_ror:4 row_mask:0xf bank_mask:0xf bound_ctrl:1
	v_add_co_u32_e32 v1, vcc, v4, v1
	v_mov_b32_dpp v5, v2 row_ror:4 row_mask:0xf bank_mask:0xf bound_ctrl:1
	v_addc_co_u32_e32 v2, vcc, 0, v2, vcc
	v_add_co_u32_e32 v4, vcc, 0, v1
	v_addc_co_u32_e32 v2, vcc, v2, v5, vcc
	v_mov_b32_dpp v1, v1 row_ror:8 row_mask:0xf bank_mask:0xf bound_ctrl:1
	v_add_co_u32_e32 v1, vcc, v4, v1
	v_mov_b32_dpp v5, v2 row_ror:8 row_mask:0xf bank_mask:0xf bound_ctrl:1
	v_addc_co_u32_e32 v2, vcc, 0, v2, vcc
	v_add_co_u32_e32 v4, vcc, 0, v1
	v_addc_co_u32_e32 v2, vcc, v2, v5, vcc
	v_mov_b32_dpp v1, v1 row_bcast:15 row_mask:0xf bank_mask:0xf bound_ctrl:1
	v_add_co_u32_e32 v1, vcc, v4, v1
	v_mov_b32_dpp v5, v2 row_bcast:15 row_mask:0xf bank_mask:0xf bound_ctrl:1
	v_addc_co_u32_e32 v2, vcc, 0, v2, vcc
	v_add_co_u32_e32 v4, vcc, 0, v1
	v_addc_co_u32_e32 v2, vcc, v2, v5, vcc
	v_mov_b32_dpp v1, v1 row_bcast:31 row_mask:0xf bank_mask:0xf bound_ctrl:1
	v_mbcnt_lo_u32_b32 v3, -1, 0
	v_add_co_u32_e32 v1, vcc, v4, v1
	v_mbcnt_hi_u32_b32 v3, -1, v3
	v_addc_co_u32_e32 v4, vcc, 0, v2, vcc
	v_cmp_eq_u32_e32 vcc, 0, v3
	s_nop 0
	v_add_u32_dpp v2, v2, v4 row_bcast:31 row_mask:0xf bank_mask:0xf bound_ctrl:1
	v_lshlrev_b32_e32 v4, 2, v3
	v_or_b32_e32 v5, 0xfc, v4
	ds_bpermute_b32 v1, v5, v1
	ds_bpermute_b32 v2, v5, v2
	s_and_saveexec_b64 s[8:9], vcc
	s_cbranch_execz .LBB112_18
; %bb.17:
	v_lshrrev_b32_e32 v5, 3, v0
	v_and_b32_e32 v5, 8, v5
	s_waitcnt lgkmcnt(0)
	ds_write_b64 v5, v[1:2] offset:96
.LBB112_18:
	s_or_b64 exec, exec, s[8:9]
	v_cmp_gt_u32_e32 vcc, 64, v0
	s_waitcnt lgkmcnt(0)
	s_barrier
	s_and_saveexec_b64 s[8:9], vcc
	s_cbranch_execz .LBB112_20
; %bb.19:
	v_and_b32_e32 v1, 1, v3
	v_lshlrev_b32_e32 v1, 3, v1
	ds_read_b64 v[1:2], v1 offset:96
	v_or_b32_e32 v3, 4, v4
	s_waitcnt lgkmcnt(0)
	ds_bpermute_b32 v4, v3, v1
	ds_bpermute_b32 v3, v3, v2
	s_waitcnt lgkmcnt(1)
	v_add_co_u32_e32 v1, vcc, v1, v4
	v_addc_co_u32_e32 v2, vcc, 0, v2, vcc
	v_add_co_u32_e32 v1, vcc, 0, v1
	s_waitcnt lgkmcnt(0)
	v_addc_co_u32_e32 v2, vcc, v2, v3, vcc
.LBB112_20:
	s_or_b64 exec, exec, s[8:9]
	s_mov_b64 s[8:9], 0
	s_branch .LBB112_296
.LBB112_21:
	s_mov_b64 s[10:11], -1
                                        ; implicit-def: $vgpr1_vgpr2
.LBB112_22:
	s_and_b64 vcc, exec, s[10:11]
	s_cbranch_vccz .LBB112_294
; %bb.23:
	s_sub_i32 s10, s20, s8
	v_cmp_gt_u32_e32 vcc, s10, v0
                                        ; implicit-def: $vgpr1_vgpr2
                                        ; kill: killed $vgpr1_vgpr2
	s_and_saveexec_b64 s[8:9], vcc
	s_cbranch_execz .LBB112_25
; %bb.24:
	v_lshlrev_b32_e32 v1, 1, v0
	global_load_ushort v1, v1, s[2:3]
	s_mov_b32 s11, 0
	v_mov_b32_e32 v2, s11
	s_waitcnt vmcnt(0)
	v_cmp_ne_u16_e32 vcc, 0, v1
	v_cndmask_b32_e64 v1, 0, 1, vcc
	buffer_store_dword v1, off, s[36:39], 0 offset:8 ; 4-byte Folded Spill
	s_nop 0
	buffer_store_dword v2, off, s[36:39], 0 offset:12 ; 4-byte Folded Spill
.LBB112_25:
	s_or_b64 exec, exec, s[8:9]
	v_or_b32_e32 v1, 0x80, v0
	v_mov_b32_e32 v2, 0
	v_mov_b32_e32 v5, 0
	v_mov_b32_e32 v3, 0
	v_mov_b32_e32 v6, 0
	v_cmp_gt_u32_e32 vcc, s10, v1
	s_and_saveexec_b64 s[8:9], vcc
	s_cbranch_execz .LBB112_27
; %bb.26:
	v_lshlrev_b32_e32 v1, 1, v0
	global_load_ushort v1, v1, s[2:3] offset:256
	s_mov_b32 s11, 0
	v_mov_b32_e32 v6, s11
	s_waitcnt vmcnt(0)
	v_cmp_ne_u16_e32 vcc, 0, v1
	v_cndmask_b32_e64 v5, 0, 1, vcc
.LBB112_27:
	s_or_b64 exec, exec, s[8:9]
	v_or_b32_e32 v1, 0x100, v0
	v_cmp_gt_u32_e32 vcc, s10, v1
	s_and_saveexec_b64 s[8:9], vcc
	s_cbranch_execz .LBB112_29
; %bb.28:
	v_lshlrev_b32_e32 v1, 1, v0
	global_load_ushort v1, v1, s[2:3] offset:512
	s_mov_b32 s11, 0
	v_mov_b32_e32 v3, s11
	s_waitcnt vmcnt(0)
	v_cmp_ne_u16_e32 vcc, 0, v1
	v_cndmask_b32_e64 v2, 0, 1, vcc
.LBB112_29:
	s_or_b64 exec, exec, s[8:9]
	v_or_b32_e32 v1, 0x180, v0
	v_mov_b32_e32 v7, 0
	v_mov_b32_e32 v9, 0
	v_mov_b32_e32 v8, 0
	v_mov_b32_e32 v10, 0
	v_cmp_gt_u32_e32 vcc, s10, v1
	buffer_store_dword v7, off, s[36:39], 0 ; 4-byte Folded Spill
	s_nop 0
	buffer_store_dword v8, off, s[36:39], 0 offset:4 ; 4-byte Folded Spill
	s_and_saveexec_b64 s[8:9], vcc
	s_cbranch_execz .LBB112_31
; %bb.30:
	v_lshlrev_b32_e32 v1, 1, v0
	global_load_ushort v1, v1, s[2:3] offset:768
	s_mov_b32 s11, 0
	v_mov_b32_e32 v10, s11
	s_waitcnt vmcnt(0)
	v_cmp_ne_u16_e32 vcc, 0, v1
	v_cndmask_b32_e64 v9, 0, 1, vcc
.LBB112_31:
	s_or_b64 exec, exec, s[8:9]
	v_or_b32_e32 v1, 0x200, v0
	v_cmp_gt_u32_e32 vcc, s10, v1
	s_and_saveexec_b64 s[8:9], vcc
	s_cbranch_execz .LBB112_33
; %bb.32:
	v_lshlrev_b32_e32 v1, 1, v0
	global_load_ushort v1, v1, s[2:3] offset:1024
	s_mov_b32 s11, 0
	v_mov_b32_e32 v8, s11
	s_waitcnt vmcnt(0)
	v_cmp_ne_u16_e32 vcc, 0, v1
	v_cndmask_b32_e64 v7, 0, 1, vcc
	buffer_store_dword v7, off, s[36:39], 0 ; 4-byte Folded Spill
	s_nop 0
	buffer_store_dword v8, off, s[36:39], 0 offset:4 ; 4-byte Folded Spill
.LBB112_33:
	s_or_b64 exec, exec, s[8:9]
	v_or_b32_e32 v1, 0x280, v0
	v_mov_b32_e32 v11, 0
	v_mov_b32_e32 v13, 0
	v_mov_b32_e32 v12, 0
	v_mov_b32_e32 v14, 0
	v_cmp_gt_u32_e32 vcc, s10, v1
	s_and_saveexec_b64 s[8:9], vcc
	s_cbranch_execz .LBB112_35
; %bb.34:
	v_lshlrev_b32_e32 v1, 1, v0
	global_load_ushort v1, v1, s[2:3] offset:1280
	s_mov_b32 s11, 0
	v_mov_b32_e32 v14, s11
	s_waitcnt vmcnt(0)
	v_cmp_ne_u16_e32 vcc, 0, v1
	v_cndmask_b32_e64 v13, 0, 1, vcc
.LBB112_35:
	s_or_b64 exec, exec, s[8:9]
	v_or_b32_e32 v1, 0x300, v0
	v_cmp_gt_u32_e32 vcc, s10, v1
	s_and_saveexec_b64 s[8:9], vcc
	s_cbranch_execz .LBB112_37
; %bb.36:
	v_lshlrev_b32_e32 v1, 1, v0
	global_load_ushort v1, v1, s[2:3] offset:1536
	s_mov_b32 s11, 0
	v_mov_b32_e32 v12, s11
	s_waitcnt vmcnt(0)
	v_cmp_ne_u16_e32 vcc, 0, v1
	v_cndmask_b32_e64 v11, 0, 1, vcc
.LBB112_37:
	s_or_b64 exec, exec, s[8:9]
	v_or_b32_e32 v1, 0x380, v0
	v_mov_b32_e32 v15, 0
	v_mov_b32_e32 v17, 0
	v_mov_b32_e32 v16, 0
	v_mov_b32_e32 v18, 0
	v_cmp_gt_u32_e32 vcc, s10, v1
	s_and_saveexec_b64 s[8:9], vcc
	s_cbranch_execz .LBB112_39
; %bb.38:
	v_lshlrev_b32_e32 v1, 1, v0
	global_load_ushort v1, v1, s[2:3] offset:1792
	s_mov_b32 s11, 0
	v_mov_b32_e32 v18, s11
	s_waitcnt vmcnt(0)
	v_cmp_ne_u16_e32 vcc, 0, v1
	v_cndmask_b32_e64 v17, 0, 1, vcc
.LBB112_39:
	s_or_b64 exec, exec, s[8:9]
	v_or_b32_e32 v1, 0x400, v0
	v_cmp_gt_u32_e32 vcc, s10, v1
	s_and_saveexec_b64 s[8:9], vcc
	s_cbranch_execz .LBB112_41
; %bb.40:
	v_lshlrev_b32_e32 v1, 1, v0
	global_load_ushort v1, v1, s[2:3] offset:2048
	s_mov_b32 s11, 0
	v_mov_b32_e32 v16, s11
	s_waitcnt vmcnt(0)
	v_cmp_ne_u16_e32 vcc, 0, v1
	v_cndmask_b32_e64 v15, 0, 1, vcc
.LBB112_41:
	;; [unrolled: 32-line block ×5, first 2 shown]
	s_or_b64 exec, exec, s[8:9]
	v_or_b32_e32 v1, 0x780, v0
	v_mov_b32_e32 v31, 0
	v_mov_b32_e32 v33, 0
	;; [unrolled: 1-line block ×4, first 2 shown]
	v_cmp_gt_u32_e32 vcc, s10, v1
	s_and_saveexec_b64 s[8:9], vcc
	s_cbranch_execz .LBB112_55
; %bb.54:
	v_lshlrev_b32_e32 v1, 1, v0
	global_load_ushort v1, v1, s[2:3] offset:3840
	s_mov_b32 s11, 0
	v_mov_b32_e32 v34, s11
	s_waitcnt vmcnt(0)
	v_cmp_ne_u16_e32 vcc, 0, v1
	v_cndmask_b32_e64 v33, 0, 1, vcc
.LBB112_55:
	s_or_b64 exec, exec, s[8:9]
	v_or_b32_e32 v1, 0x800, v0
	v_cmp_gt_u32_e32 vcc, s10, v1
	s_and_saveexec_b64 s[8:9], vcc
	s_cbranch_execz .LBB112_57
; %bb.56:
	v_lshlrev_b32_e32 v1, 1, v1
	global_load_ushort v1, v1, s[2:3]
	s_mov_b32 s11, 0
	v_mov_b32_e32 v32, s11
	s_waitcnt vmcnt(0)
	v_cmp_ne_u16_e32 vcc, 0, v1
	v_cndmask_b32_e64 v31, 0, 1, vcc
.LBB112_57:
	s_or_b64 exec, exec, s[8:9]
	v_or_b32_e32 v1, 0x880, v0
	v_mov_b32_e32 v35, 0
	v_mov_b32_e32 v37, 0
	v_mov_b32_e32 v36, 0
	v_mov_b32_e32 v38, 0
	v_cmp_gt_u32_e32 vcc, s10, v1
	s_and_saveexec_b64 s[8:9], vcc
	s_cbranch_execz .LBB112_59
; %bb.58:
	v_lshlrev_b32_e32 v1, 1, v1
	global_load_ushort v1, v1, s[2:3]
	s_mov_b32 s11, 0
	v_mov_b32_e32 v38, s11
	s_waitcnt vmcnt(0)
	v_cmp_ne_u16_e32 vcc, 0, v1
	v_cndmask_b32_e64 v37, 0, 1, vcc
.LBB112_59:
	s_or_b64 exec, exec, s[8:9]
	v_or_b32_e32 v1, 0x900, v0
	v_cmp_gt_u32_e32 vcc, s10, v1
	s_and_saveexec_b64 s[8:9], vcc
	s_cbranch_execz .LBB112_61
; %bb.60:
	v_lshlrev_b32_e32 v1, 1, v1
	global_load_ushort v1, v1, s[2:3]
	s_mov_b32 s11, 0
	v_mov_b32_e32 v36, s11
	s_waitcnt vmcnt(0)
	v_cmp_ne_u16_e32 vcc, 0, v1
	v_cndmask_b32_e64 v35, 0, 1, vcc
.LBB112_61:
	s_or_b64 exec, exec, s[8:9]
	v_or_b32_e32 v1, 0x980, v0
	v_mov_b32_e32 v39, 0
	v_mov_b32_e32 v41, 0
	v_mov_b32_e32 v40, 0
	v_mov_b32_e32 v42, 0
	v_cmp_gt_u32_e32 vcc, s10, v1
	s_and_saveexec_b64 s[8:9], vcc
	s_cbranch_execz .LBB112_63
; %bb.62:
	v_lshlrev_b32_e32 v1, 1, v1
	global_load_ushort v1, v1, s[2:3]
	s_mov_b32 s11, 0
	v_mov_b32_e32 v42, s11
	s_waitcnt vmcnt(0)
	v_cmp_ne_u16_e32 vcc, 0, v1
	v_cndmask_b32_e64 v41, 0, 1, vcc
.LBB112_63:
	;; [unrolled: 32-line block ×55, first 2 shown]
	s_or_b64 exec, exec, s[8:9]
	v_or_b32_e32 v1, 0x3f00, v0
	v_cmp_gt_u32_e32 vcc, s10, v1
	s_and_saveexec_b64 s[8:9], vcc
	s_cbranch_execz .LBB112_277
; %bb.276:
	v_lshlrev_b32_e32 v1, 1, v1
	global_load_ushort v1, v1, s[2:3]
	s_mov_b32 s11, 0
	v_mov_b32_e32 v252, s11
	s_waitcnt vmcnt(0)
	v_cmp_ne_u16_e32 vcc, 0, v1
	v_cndmask_b32_e64 v251, 0, 1, vcc
.LBB112_277:
	s_or_b64 exec, exec, s[8:9]
	v_mov_b32_e32 v8, v3
	v_mov_b32_e32 v7, v2
	v_or_b32_e32 v255, 0x3f80, v0
	v_mov_b32_e32 v1, 0
	v_mov_b32_e32 v2, 0
	v_cmp_gt_u32_e32 vcc, s10, v255
	s_and_saveexec_b64 s[8:9], vcc
	s_cbranch_execz .LBB112_279
; %bb.278:
	v_lshlrev_b32_e32 v1, 1, v255
	global_load_ushort v1, v1, s[2:3]
	s_mov_b32 s2, 0
	v_mov_b32_e32 v2, s2
	s_waitcnt vmcnt(0)
	v_cmp_ne_u16_e32 vcc, 0, v1
	v_cndmask_b32_e64 v1, 0, 1, vcc
.LBB112_279:
	s_or_b64 exec, exec, s[8:9]
	buffer_load_dword v3, off, s[36:39], 0 offset:8 ; 4-byte Folded Reload
	buffer_load_dword v4, off, s[36:39], 0 offset:12 ; 4-byte Folded Reload
	s_min_u32 s8, s10, 0x80
	s_waitcnt vmcnt(1)
	v_add_co_u32_e32 v5, vcc, v5, v3
	s_waitcnt vmcnt(0)
	v_addc_co_u32_e32 v6, vcc, v6, v4, vcc
	v_add_co_u32_e32 v3, vcc, v5, v7
	v_addc_co_u32_e32 v4, vcc, v6, v8, vcc
	buffer_load_dword v5, off, s[36:39], 0  ; 4-byte Folded Reload
	buffer_load_dword v6, off, s[36:39], 0 offset:4 ; 4-byte Folded Reload
	v_add_co_u32_e32 v3, vcc, v3, v9
	v_addc_co_u32_e32 v4, vcc, v4, v10, vcc
	s_waitcnt vmcnt(1)
	v_add_co_u32_e32 v3, vcc, v3, v5
	s_waitcnt vmcnt(0)
	v_addc_co_u32_e32 v4, vcc, v4, v6, vcc
	v_add_co_u32_e32 v3, vcc, v3, v13
	v_addc_co_u32_e32 v4, vcc, v4, v14, vcc
	v_add_co_u32_e32 v3, vcc, v3, v11
	;; [unrolled: 2-line block ×123, first 2 shown]
	v_mbcnt_lo_u32_b32 v3, -1, 0
	v_mbcnt_hi_u32_b32 v3, -1, v3
	v_addc_co_u32_e32 v2, vcc, v4, v2, vcc
	v_and_b32_e32 v4, 63, v3
	v_cmp_ne_u32_e32 vcc, 63, v4
	v_addc_co_u32_e32 v6, vcc, 0, v3, vcc
	v_lshlrev_b32_e32 v6, 2, v6
	ds_bpermute_b32 v8, v6, v1
	ds_bpermute_b32 v7, v6, v2
	v_and_b32_e32 v5, 64, v0
	v_sub_u32_e64 v5, s8, v5 clamp
	v_add_u32_e32 v6, 1, v4
	v_cmp_lt_u32_e32 vcc, v6, v5
	v_mov_b32_e32 v6, v1
	s_and_saveexec_b64 s[2:3], vcc
	s_cbranch_execz .LBB112_281
; %bb.280:
	s_waitcnt lgkmcnt(1)
	v_add_co_u32_e32 v6, vcc, v1, v8
	v_addc_co_u32_e32 v2, vcc, 0, v2, vcc
	v_add_co_u32_e32 v1, vcc, 0, v6
	s_waitcnt lgkmcnt(0)
	v_addc_co_u32_e32 v2, vcc, v7, v2, vcc
.LBB112_281:
	s_or_b64 exec, exec, s[2:3]
	v_cmp_gt_u32_e32 vcc, 62, v4
	s_waitcnt lgkmcnt(0)
	v_cndmask_b32_e64 v7, 0, 2, vcc
	v_add_lshl_u32 v7, v7, v3, 2
	ds_bpermute_b32 v8, v7, v6
	ds_bpermute_b32 v7, v7, v2
	v_add_u32_e32 v9, 2, v4
	v_cmp_lt_u32_e32 vcc, v9, v5
	s_and_saveexec_b64 s[2:3], vcc
	s_cbranch_execz .LBB112_283
; %bb.282:
	s_waitcnt lgkmcnt(1)
	v_add_co_u32_e32 v6, vcc, v1, v8
	v_addc_co_u32_e32 v2, vcc, 0, v2, vcc
	v_add_co_u32_e32 v1, vcc, 0, v6
	s_waitcnt lgkmcnt(0)
	v_addc_co_u32_e32 v2, vcc, v7, v2, vcc
.LBB112_283:
	s_or_b64 exec, exec, s[2:3]
	v_cmp_gt_u32_e32 vcc, 60, v4
	s_waitcnt lgkmcnt(0)
	v_cndmask_b32_e64 v7, 0, 4, vcc
	v_add_lshl_u32 v7, v7, v3, 2
	ds_bpermute_b32 v8, v7, v6
	ds_bpermute_b32 v7, v7, v2
	v_add_u32_e32 v9, 4, v4
	v_cmp_lt_u32_e32 vcc, v9, v5
	;; [unrolled: 19-line block ×4, first 2 shown]
	s_and_saveexec_b64 s[2:3], vcc
	s_cbranch_execz .LBB112_289
; %bb.288:
	s_waitcnt lgkmcnt(1)
	v_add_co_u32_e32 v6, vcc, v1, v8
	v_addc_co_u32_e32 v2, vcc, 0, v2, vcc
	v_add_co_u32_e32 v1, vcc, 0, v6
	s_waitcnt lgkmcnt(0)
	v_addc_co_u32_e32 v2, vcc, v7, v2, vcc
.LBB112_289:
	s_or_b64 exec, exec, s[2:3]
	s_waitcnt lgkmcnt(0)
	v_lshlrev_b32_e32 v7, 2, v3
	v_or_b32_e32 v8, 0x80, v7
	ds_bpermute_b32 v6, v8, v6
	ds_bpermute_b32 v8, v8, v2
	v_add_u32_e32 v4, 32, v4
	s_waitcnt lgkmcnt(1)
	v_add_co_u32_e32 v6, vcc, v1, v6
	v_addc_co_u32_e32 v9, vcc, 0, v2, vcc
	v_add_co_u32_e32 v6, vcc, 0, v6
	s_waitcnt lgkmcnt(0)
	v_addc_co_u32_e32 v8, vcc, v9, v8, vcc
	v_cmp_lt_u32_e32 vcc, v4, v5
	v_cndmask_b32_e32 v2, v2, v8, vcc
	v_cndmask_b32_e32 v1, v1, v6, vcc
	v_cmp_eq_u32_e32 vcc, 0, v3
	s_and_saveexec_b64 s[2:3], vcc
; %bb.290:
	v_lshrrev_b32_e32 v4, 3, v0
	v_and_b32_e32 v4, 8, v4
	ds_write_b64 v4, v[1:2] offset:128
; %bb.291:
	s_or_b64 exec, exec, s[2:3]
	v_cmp_gt_u32_e32 vcc, 2, v0
	s_waitcnt lgkmcnt(0)
	s_barrier
	s_and_saveexec_b64 s[2:3], vcc
	s_cbranch_execz .LBB112_293
; %bb.292:
	v_lshlrev_b32_e32 v1, 3, v3
	ds_read_b64 v[1:2], v1 offset:128
	v_or_b32_e32 v4, 4, v7
	s_add_i32 s8, s8, 63
	v_and_b32_e32 v3, 1, v3
	s_lshr_b32 s8, s8, 6
	s_waitcnt lgkmcnt(0)
	ds_bpermute_b32 v5, v4, v2
	ds_bpermute_b32 v4, v4, v1
	v_add_u32_e32 v3, 1, v3
	v_cmp_gt_u32_e32 vcc, s8, v3
	s_waitcnt lgkmcnt(1)
	v_cndmask_b32_e32 v3, 0, v5, vcc
	s_waitcnt lgkmcnt(0)
	v_cndmask_b32_e32 v4, 0, v4, vcc
	v_add_co_u32_e32 v1, vcc, v4, v1
	v_addc_co_u32_e32 v2, vcc, v3, v2, vcc
.LBB112_293:
	s_or_b64 exec, exec, s[2:3]
.LBB112_294:
	v_mov_b32_e32 v3, s6
	v_cmp_eq_u32_e64 s[2:3], 0, v0
	v_mov_b32_e32 v4, s7
	s_and_b64 vcc, exec, s[0:1]
	s_cbranch_vccnz .LBB112_14
	s_branch .LBB112_441
.LBB112_295:
	s_mov_b64 s[8:9], -1
                                        ; implicit-def: $vgpr1_vgpr2
.LBB112_296:
	s_and_b64 vcc, exec, s[8:9]
	s_cbranch_vccz .LBB112_440
; %bb.297:
	s_sub_i32 s8, s20, s2
	v_cmp_gt_u32_e32 vcc, s8, v0
                                        ; implicit-def: $vgpr1_vgpr2
	s_and_saveexec_b64 s[2:3], vcc
	s_cbranch_execz .LBB112_299
; %bb.298:
	v_lshlrev_b32_e32 v1, 1, v0
	global_load_ushort v1, v1, s[0:1]
	s_mov_b32 s9, 0
	v_mov_b32_e32 v2, s9
	s_waitcnt vmcnt(0)
	v_cmp_ne_u16_e32 vcc, 0, v1
	v_cndmask_b32_e64 v1, 0, 1, vcc
.LBB112_299:
	s_or_b64 exec, exec, s[2:3]
	v_or_b32_e32 v7, 0x80, v0
	v_mov_b32_e32 v3, 0
	v_mov_b32_e32 v5, 0
	v_mov_b32_e32 v4, 0
	v_mov_b32_e32 v6, 0
	v_cmp_gt_u32_e32 vcc, s8, v7
	s_and_saveexec_b64 s[2:3], vcc
	s_cbranch_execz .LBB112_301
; %bb.300:
	v_lshlrev_b32_e32 v5, 1, v0
	global_load_ushort v5, v5, s[0:1] offset:256
	s_mov_b32 s9, 0
	v_mov_b32_e32 v6, s9
	s_waitcnt vmcnt(0)
	v_cmp_ne_u16_e32 vcc, 0, v5
	v_cndmask_b32_e64 v5, 0, 1, vcc
.LBB112_301:
	s_or_b64 exec, exec, s[2:3]
	v_or_b32_e32 v7, 0x100, v0
	v_cmp_gt_u32_e32 vcc, s8, v7
	s_and_saveexec_b64 s[2:3], vcc
	s_cbranch_execz .LBB112_303
; %bb.302:
	v_lshlrev_b32_e32 v3, 1, v0
	global_load_ushort v3, v3, s[0:1] offset:512
	s_mov_b32 s9, 0
	v_mov_b32_e32 v4, s9
	s_waitcnt vmcnt(0)
	v_cmp_ne_u16_e32 vcc, 0, v3
	v_cndmask_b32_e64 v3, 0, 1, vcc
.LBB112_303:
	s_or_b64 exec, exec, s[2:3]
	v_or_b32_e32 v11, 0x180, v0
	v_mov_b32_e32 v7, 0
	v_mov_b32_e32 v9, 0
	v_mov_b32_e32 v8, 0
	v_mov_b32_e32 v10, 0
	v_cmp_gt_u32_e32 vcc, s8, v11
	s_and_saveexec_b64 s[2:3], vcc
	s_cbranch_execz .LBB112_305
; %bb.304:
	v_lshlrev_b32_e32 v9, 1, v0
	global_load_ushort v9, v9, s[0:1] offset:768
	s_mov_b32 s9, 0
	v_mov_b32_e32 v10, s9
	s_waitcnt vmcnt(0)
	v_cmp_ne_u16_e32 vcc, 0, v9
	v_cndmask_b32_e64 v9, 0, 1, vcc
.LBB112_305:
	s_or_b64 exec, exec, s[2:3]
	v_or_b32_e32 v11, 0x200, v0
	v_cmp_gt_u32_e32 vcc, s8, v11
	s_and_saveexec_b64 s[2:3], vcc
	s_cbranch_execz .LBB112_307
; %bb.306:
	v_lshlrev_b32_e32 v7, 1, v0
	global_load_ushort v7, v7, s[0:1] offset:1024
	s_mov_b32 s9, 0
	v_mov_b32_e32 v8, s9
	s_waitcnt vmcnt(0)
	v_cmp_ne_u16_e32 vcc, 0, v7
	v_cndmask_b32_e64 v7, 0, 1, vcc
.LBB112_307:
	;; [unrolled: 32-line block ×7, first 2 shown]
	s_or_b64 exec, exec, s[2:3]
	v_or_b32_e32 v35, 0x780, v0
	v_mov_b32_e32 v31, 0
	v_mov_b32_e32 v33, 0
	;; [unrolled: 1-line block ×4, first 2 shown]
	v_cmp_gt_u32_e32 vcc, s8, v35
	s_and_saveexec_b64 s[2:3], vcc
	s_cbranch_execz .LBB112_329
; %bb.328:
	v_lshlrev_b32_e32 v33, 1, v0
	global_load_ushort v33, v33, s[0:1] offset:3840
	s_mov_b32 s9, 0
	v_mov_b32_e32 v34, s9
	s_waitcnt vmcnt(0)
	v_cmp_ne_u16_e32 vcc, 0, v33
	v_cndmask_b32_e64 v33, 0, 1, vcc
.LBB112_329:
	s_or_b64 exec, exec, s[2:3]
	v_or_b32_e32 v35, 0x800, v0
	v_cmp_gt_u32_e32 vcc, s8, v35
	s_and_saveexec_b64 s[2:3], vcc
	s_cbranch_execz .LBB112_331
; %bb.330:
	v_lshlrev_b32_e32 v31, 1, v35
	global_load_ushort v31, v31, s[0:1]
	s_mov_b32 s9, 0
	v_mov_b32_e32 v32, s9
	s_waitcnt vmcnt(0)
	v_cmp_ne_u16_e32 vcc, 0, v31
	v_cndmask_b32_e64 v31, 0, 1, vcc
.LBB112_331:
	s_or_b64 exec, exec, s[2:3]
	v_or_b32_e32 v39, 0x880, v0
	v_mov_b32_e32 v35, 0
	v_mov_b32_e32 v37, 0
	v_mov_b32_e32 v36, 0
	v_mov_b32_e32 v38, 0
	v_cmp_gt_u32_e32 vcc, s8, v39
	s_and_saveexec_b64 s[2:3], vcc
	s_cbranch_execz .LBB112_333
; %bb.332:
	v_lshlrev_b32_e32 v37, 1, v39
	global_load_ushort v37, v37, s[0:1]
	s_mov_b32 s9, 0
	v_mov_b32_e32 v38, s9
	s_waitcnt vmcnt(0)
	v_cmp_ne_u16_e32 vcc, 0, v37
	v_cndmask_b32_e64 v37, 0, 1, vcc
.LBB112_333:
	s_or_b64 exec, exec, s[2:3]
	v_or_b32_e32 v39, 0x900, v0
	v_cmp_gt_u32_e32 vcc, s8, v39
	s_and_saveexec_b64 s[2:3], vcc
	s_cbranch_execz .LBB112_335
; %bb.334:
	v_lshlrev_b32_e32 v35, 1, v39
	global_load_ushort v35, v35, s[0:1]
	s_mov_b32 s9, 0
	v_mov_b32_e32 v36, s9
	s_waitcnt vmcnt(0)
	v_cmp_ne_u16_e32 vcc, 0, v35
	v_cndmask_b32_e64 v35, 0, 1, vcc
.LBB112_335:
	s_or_b64 exec, exec, s[2:3]
	v_or_b32_e32 v43, 0x980, v0
	v_mov_b32_e32 v39, 0
	v_mov_b32_e32 v41, 0
	v_mov_b32_e32 v40, 0
	v_mov_b32_e32 v42, 0
	v_cmp_gt_u32_e32 vcc, s8, v43
	s_and_saveexec_b64 s[2:3], vcc
	s_cbranch_execz .LBB112_337
; %bb.336:
	v_lshlrev_b32_e32 v41, 1, v43
	global_load_ushort v41, v41, s[0:1]
	s_mov_b32 s9, 0
	v_mov_b32_e32 v42, s9
	s_waitcnt vmcnt(0)
	v_cmp_ne_u16_e32 vcc, 0, v41
	v_cndmask_b32_e64 v41, 0, 1, vcc
.LBB112_337:
	s_or_b64 exec, exec, s[2:3]
	v_or_b32_e32 v43, 0xa00, v0
	v_cmp_gt_u32_e32 vcc, s8, v43
	s_and_saveexec_b64 s[2:3], vcc
	s_cbranch_execz .LBB112_339
; %bb.338:
	v_lshlrev_b32_e32 v39, 1, v43
	global_load_ushort v39, v39, s[0:1]
	s_mov_b32 s9, 0
	v_mov_b32_e32 v40, s9
	s_waitcnt vmcnt(0)
	v_cmp_ne_u16_e32 vcc, 0, v39
	v_cndmask_b32_e64 v39, 0, 1, vcc
.LBB112_339:
	s_or_b64 exec, exec, s[2:3]
	v_or_b32_e32 v47, 0xa80, v0
	v_mov_b32_e32 v43, 0
	v_mov_b32_e32 v45, 0
	v_mov_b32_e32 v44, 0
	v_mov_b32_e32 v46, 0
	v_cmp_gt_u32_e32 vcc, s8, v47
	s_and_saveexec_b64 s[2:3], vcc
	s_cbranch_execz .LBB112_341
; %bb.340:
	v_lshlrev_b32_e32 v45, 1, v47
	global_load_ushort v45, v45, s[0:1]
	s_mov_b32 s9, 0
	v_mov_b32_e32 v46, s9
	s_waitcnt vmcnt(0)
	v_cmp_ne_u16_e32 vcc, 0, v45
	v_cndmask_b32_e64 v45, 0, 1, vcc
.LBB112_341:
	s_or_b64 exec, exec, s[2:3]
	v_or_b32_e32 v47, 0xb00, v0
	v_cmp_gt_u32_e32 vcc, s8, v47
	s_and_saveexec_b64 s[2:3], vcc
	s_cbranch_execz .LBB112_343
; %bb.342:
	v_lshlrev_b32_e32 v43, 1, v47
	global_load_ushort v43, v43, s[0:1]
	s_mov_b32 s9, 0
	v_mov_b32_e32 v44, s9
	s_waitcnt vmcnt(0)
	v_cmp_ne_u16_e32 vcc, 0, v43
	v_cndmask_b32_e64 v43, 0, 1, vcc
.LBB112_343:
	s_or_b64 exec, exec, s[2:3]
	v_or_b32_e32 v51, 0xb80, v0
	v_mov_b32_e32 v47, 0
	v_mov_b32_e32 v49, 0
	v_mov_b32_e32 v48, 0
	v_mov_b32_e32 v50, 0
	v_cmp_gt_u32_e32 vcc, s8, v51
	s_and_saveexec_b64 s[2:3], vcc
	s_cbranch_execz .LBB112_345
; %bb.344:
	v_lshlrev_b32_e32 v49, 1, v51
	global_load_ushort v49, v49, s[0:1]
	s_mov_b32 s9, 0
	v_mov_b32_e32 v50, s9
	s_waitcnt vmcnt(0)
	v_cmp_ne_u16_e32 vcc, 0, v49
	v_cndmask_b32_e64 v49, 0, 1, vcc
.LBB112_345:
	s_or_b64 exec, exec, s[2:3]
	v_or_b32_e32 v51, 0xc00, v0
	v_cmp_gt_u32_e32 vcc, s8, v51
	s_and_saveexec_b64 s[2:3], vcc
	s_cbranch_execz .LBB112_347
; %bb.346:
	v_lshlrev_b32_e32 v47, 1, v51
	global_load_ushort v47, v47, s[0:1]
	s_mov_b32 s9, 0
	v_mov_b32_e32 v48, s9
	s_waitcnt vmcnt(0)
	v_cmp_ne_u16_e32 vcc, 0, v47
	v_cndmask_b32_e64 v47, 0, 1, vcc
.LBB112_347:
	s_or_b64 exec, exec, s[2:3]
	v_or_b32_e32 v55, 0xc80, v0
	v_mov_b32_e32 v51, 0
	v_mov_b32_e32 v53, 0
	v_mov_b32_e32 v52, 0
	v_mov_b32_e32 v54, 0
	v_cmp_gt_u32_e32 vcc, s8, v55
	s_and_saveexec_b64 s[2:3], vcc
	s_cbranch_execz .LBB112_349
; %bb.348:
	v_lshlrev_b32_e32 v53, 1, v55
	global_load_ushort v53, v53, s[0:1]
	s_mov_b32 s9, 0
	v_mov_b32_e32 v54, s9
	s_waitcnt vmcnt(0)
	v_cmp_ne_u16_e32 vcc, 0, v53
	v_cndmask_b32_e64 v53, 0, 1, vcc
.LBB112_349:
	s_or_b64 exec, exec, s[2:3]
	v_or_b32_e32 v55, 0xd00, v0
	v_cmp_gt_u32_e32 vcc, s8, v55
	s_and_saveexec_b64 s[2:3], vcc
	s_cbranch_execz .LBB112_351
; %bb.350:
	v_lshlrev_b32_e32 v51, 1, v55
	global_load_ushort v51, v51, s[0:1]
	s_mov_b32 s9, 0
	v_mov_b32_e32 v52, s9
	s_waitcnt vmcnt(0)
	v_cmp_ne_u16_e32 vcc, 0, v51
	v_cndmask_b32_e64 v51, 0, 1, vcc
.LBB112_351:
	s_or_b64 exec, exec, s[2:3]
	v_or_b32_e32 v59, 0xd80, v0
	v_mov_b32_e32 v55, 0
	v_mov_b32_e32 v57, 0
	v_mov_b32_e32 v56, 0
	v_mov_b32_e32 v58, 0
	v_cmp_gt_u32_e32 vcc, s8, v59
	s_and_saveexec_b64 s[2:3], vcc
	s_cbranch_execz .LBB112_353
; %bb.352:
	v_lshlrev_b32_e32 v57, 1, v59
	global_load_ushort v57, v57, s[0:1]
	s_mov_b32 s9, 0
	v_mov_b32_e32 v58, s9
	s_waitcnt vmcnt(0)
	v_cmp_ne_u16_e32 vcc, 0, v57
	v_cndmask_b32_e64 v57, 0, 1, vcc
.LBB112_353:
	s_or_b64 exec, exec, s[2:3]
	v_or_b32_e32 v59, 0xe00, v0
	v_cmp_gt_u32_e32 vcc, s8, v59
	s_and_saveexec_b64 s[2:3], vcc
	s_cbranch_execz .LBB112_355
; %bb.354:
	v_lshlrev_b32_e32 v55, 1, v59
	global_load_ushort v55, v55, s[0:1]
	s_mov_b32 s9, 0
	v_mov_b32_e32 v56, s9
	s_waitcnt vmcnt(0)
	v_cmp_ne_u16_e32 vcc, 0, v55
	v_cndmask_b32_e64 v55, 0, 1, vcc
.LBB112_355:
	s_or_b64 exec, exec, s[2:3]
	v_or_b32_e32 v63, 0xe80, v0
	v_mov_b32_e32 v59, 0
	v_mov_b32_e32 v61, 0
	v_mov_b32_e32 v60, 0
	v_mov_b32_e32 v62, 0
	v_cmp_gt_u32_e32 vcc, s8, v63
	s_and_saveexec_b64 s[2:3], vcc
	s_cbranch_execz .LBB112_357
; %bb.356:
	v_lshlrev_b32_e32 v61, 1, v63
	global_load_ushort v61, v61, s[0:1]
	s_mov_b32 s9, 0
	v_mov_b32_e32 v62, s9
	s_waitcnt vmcnt(0)
	v_cmp_ne_u16_e32 vcc, 0, v61
	v_cndmask_b32_e64 v61, 0, 1, vcc
.LBB112_357:
	s_or_b64 exec, exec, s[2:3]
	v_or_b32_e32 v63, 0xf00, v0
	v_cmp_gt_u32_e32 vcc, s8, v63
	s_and_saveexec_b64 s[2:3], vcc
	s_cbranch_execz .LBB112_359
; %bb.358:
	v_lshlrev_b32_e32 v59, 1, v63
	global_load_ushort v59, v59, s[0:1]
	s_mov_b32 s9, 0
	v_mov_b32_e32 v60, s9
	s_waitcnt vmcnt(0)
	v_cmp_ne_u16_e32 vcc, 0, v59
	v_cndmask_b32_e64 v59, 0, 1, vcc
.LBB112_359:
	s_or_b64 exec, exec, s[2:3]
	v_or_b32_e32 v67, 0xf80, v0
	v_mov_b32_e32 v63, 0
	v_mov_b32_e32 v65, 0
	v_mov_b32_e32 v64, 0
	v_mov_b32_e32 v66, 0
	v_cmp_gt_u32_e32 vcc, s8, v67
	s_and_saveexec_b64 s[2:3], vcc
	s_cbranch_execz .LBB112_361
; %bb.360:
	v_lshlrev_b32_e32 v65, 1, v67
	global_load_ushort v65, v65, s[0:1]
	s_mov_b32 s9, 0
	v_mov_b32_e32 v66, s9
	s_waitcnt vmcnt(0)
	v_cmp_ne_u16_e32 vcc, 0, v65
	v_cndmask_b32_e64 v65, 0, 1, vcc
.LBB112_361:
	s_or_b64 exec, exec, s[2:3]
	v_or_b32_e32 v67, 0x1000, v0
	v_cmp_gt_u32_e32 vcc, s8, v67
	s_and_saveexec_b64 s[2:3], vcc
	s_cbranch_execz .LBB112_363
; %bb.362:
	v_lshlrev_b32_e32 v63, 1, v67
	global_load_ushort v63, v63, s[0:1]
	s_mov_b32 s9, 0
	v_mov_b32_e32 v64, s9
	s_waitcnt vmcnt(0)
	v_cmp_ne_u16_e32 vcc, 0, v63
	v_cndmask_b32_e64 v63, 0, 1, vcc
.LBB112_363:
	s_or_b64 exec, exec, s[2:3]
	v_or_b32_e32 v71, 0x1080, v0
	v_mov_b32_e32 v67, 0
	v_mov_b32_e32 v69, 0
	v_mov_b32_e32 v68, 0
	v_mov_b32_e32 v70, 0
	v_cmp_gt_u32_e32 vcc, s8, v71
	s_and_saveexec_b64 s[2:3], vcc
	s_cbranch_execz .LBB112_365
; %bb.364:
	v_lshlrev_b32_e32 v69, 1, v71
	global_load_ushort v69, v69, s[0:1]
	s_mov_b32 s9, 0
	v_mov_b32_e32 v70, s9
	s_waitcnt vmcnt(0)
	v_cmp_ne_u16_e32 vcc, 0, v69
	v_cndmask_b32_e64 v69, 0, 1, vcc
.LBB112_365:
	s_or_b64 exec, exec, s[2:3]
	v_or_b32_e32 v71, 0x1100, v0
	v_cmp_gt_u32_e32 vcc, s8, v71
	s_and_saveexec_b64 s[2:3], vcc
	s_cbranch_execz .LBB112_367
; %bb.366:
	v_lshlrev_b32_e32 v67, 1, v71
	global_load_ushort v67, v67, s[0:1]
	s_mov_b32 s9, 0
	v_mov_b32_e32 v68, s9
	s_waitcnt vmcnt(0)
	v_cmp_ne_u16_e32 vcc, 0, v67
	v_cndmask_b32_e64 v67, 0, 1, vcc
.LBB112_367:
	s_or_b64 exec, exec, s[2:3]
	v_or_b32_e32 v75, 0x1180, v0
	v_mov_b32_e32 v71, 0
	v_mov_b32_e32 v73, 0
	v_mov_b32_e32 v72, 0
	v_mov_b32_e32 v74, 0
	v_cmp_gt_u32_e32 vcc, s8, v75
	s_and_saveexec_b64 s[2:3], vcc
	s_cbranch_execz .LBB112_369
; %bb.368:
	v_lshlrev_b32_e32 v73, 1, v75
	global_load_ushort v73, v73, s[0:1]
	s_mov_b32 s9, 0
	v_mov_b32_e32 v74, s9
	s_waitcnt vmcnt(0)
	v_cmp_ne_u16_e32 vcc, 0, v73
	v_cndmask_b32_e64 v73, 0, 1, vcc
.LBB112_369:
	s_or_b64 exec, exec, s[2:3]
	v_or_b32_e32 v75, 0x1200, v0
	v_cmp_gt_u32_e32 vcc, s8, v75
	s_and_saveexec_b64 s[2:3], vcc
	s_cbranch_execz .LBB112_371
; %bb.370:
	v_lshlrev_b32_e32 v71, 1, v75
	global_load_ushort v71, v71, s[0:1]
	s_mov_b32 s9, 0
	v_mov_b32_e32 v72, s9
	s_waitcnt vmcnt(0)
	v_cmp_ne_u16_e32 vcc, 0, v71
	v_cndmask_b32_e64 v71, 0, 1, vcc
.LBB112_371:
	s_or_b64 exec, exec, s[2:3]
	v_or_b32_e32 v79, 0x1280, v0
	v_mov_b32_e32 v75, 0
	v_mov_b32_e32 v77, 0
	v_mov_b32_e32 v76, 0
	v_mov_b32_e32 v78, 0
	v_cmp_gt_u32_e32 vcc, s8, v79
	s_and_saveexec_b64 s[2:3], vcc
	s_cbranch_execz .LBB112_373
; %bb.372:
	v_lshlrev_b32_e32 v77, 1, v79
	global_load_ushort v77, v77, s[0:1]
	s_mov_b32 s9, 0
	v_mov_b32_e32 v78, s9
	s_waitcnt vmcnt(0)
	v_cmp_ne_u16_e32 vcc, 0, v77
	v_cndmask_b32_e64 v77, 0, 1, vcc
.LBB112_373:
	s_or_b64 exec, exec, s[2:3]
	v_or_b32_e32 v79, 0x1300, v0
	v_cmp_gt_u32_e32 vcc, s8, v79
	s_and_saveexec_b64 s[2:3], vcc
	s_cbranch_execz .LBB112_375
; %bb.374:
	v_lshlrev_b32_e32 v75, 1, v79
	global_load_ushort v75, v75, s[0:1]
	s_mov_b32 s9, 0
	v_mov_b32_e32 v76, s9
	s_waitcnt vmcnt(0)
	v_cmp_ne_u16_e32 vcc, 0, v75
	v_cndmask_b32_e64 v75, 0, 1, vcc
.LBB112_375:
	s_or_b64 exec, exec, s[2:3]
	v_or_b32_e32 v83, 0x1380, v0
	v_mov_b32_e32 v79, 0
	v_mov_b32_e32 v81, 0
	v_mov_b32_e32 v80, 0
	v_mov_b32_e32 v82, 0
	v_cmp_gt_u32_e32 vcc, s8, v83
	s_and_saveexec_b64 s[2:3], vcc
	s_cbranch_execz .LBB112_377
; %bb.376:
	v_lshlrev_b32_e32 v81, 1, v83
	global_load_ushort v81, v81, s[0:1]
	s_mov_b32 s9, 0
	v_mov_b32_e32 v82, s9
	s_waitcnt vmcnt(0)
	v_cmp_ne_u16_e32 vcc, 0, v81
	v_cndmask_b32_e64 v81, 0, 1, vcc
.LBB112_377:
	s_or_b64 exec, exec, s[2:3]
	v_or_b32_e32 v83, 0x1400, v0
	v_cmp_gt_u32_e32 vcc, s8, v83
	s_and_saveexec_b64 s[2:3], vcc
	s_cbranch_execz .LBB112_379
; %bb.378:
	v_lshlrev_b32_e32 v79, 1, v83
	global_load_ushort v79, v79, s[0:1]
	s_mov_b32 s9, 0
	v_mov_b32_e32 v80, s9
	s_waitcnt vmcnt(0)
	v_cmp_ne_u16_e32 vcc, 0, v79
	v_cndmask_b32_e64 v79, 0, 1, vcc
.LBB112_379:
	s_or_b64 exec, exec, s[2:3]
	v_or_b32_e32 v87, 0x1480, v0
	v_mov_b32_e32 v83, 0
	v_mov_b32_e32 v85, 0
	v_mov_b32_e32 v84, 0
	v_mov_b32_e32 v86, 0
	v_cmp_gt_u32_e32 vcc, s8, v87
	s_and_saveexec_b64 s[2:3], vcc
	s_cbranch_execz .LBB112_381
; %bb.380:
	v_lshlrev_b32_e32 v85, 1, v87
	global_load_ushort v85, v85, s[0:1]
	s_mov_b32 s9, 0
	v_mov_b32_e32 v86, s9
	s_waitcnt vmcnt(0)
	v_cmp_ne_u16_e32 vcc, 0, v85
	v_cndmask_b32_e64 v85, 0, 1, vcc
.LBB112_381:
	s_or_b64 exec, exec, s[2:3]
	v_or_b32_e32 v87, 0x1500, v0
	v_cmp_gt_u32_e32 vcc, s8, v87
	s_and_saveexec_b64 s[2:3], vcc
	s_cbranch_execz .LBB112_383
; %bb.382:
	v_lshlrev_b32_e32 v83, 1, v87
	global_load_ushort v83, v83, s[0:1]
	s_mov_b32 s9, 0
	v_mov_b32_e32 v84, s9
	s_waitcnt vmcnt(0)
	v_cmp_ne_u16_e32 vcc, 0, v83
	v_cndmask_b32_e64 v83, 0, 1, vcc
.LBB112_383:
	s_or_b64 exec, exec, s[2:3]
	v_or_b32_e32 v91, 0x1580, v0
	v_mov_b32_e32 v87, 0
	v_mov_b32_e32 v89, 0
	v_mov_b32_e32 v88, 0
	v_mov_b32_e32 v90, 0
	v_cmp_gt_u32_e32 vcc, s8, v91
	s_and_saveexec_b64 s[2:3], vcc
	s_cbranch_execz .LBB112_385
; %bb.384:
	v_lshlrev_b32_e32 v89, 1, v91
	global_load_ushort v89, v89, s[0:1]
	s_mov_b32 s9, 0
	v_mov_b32_e32 v90, s9
	s_waitcnt vmcnt(0)
	v_cmp_ne_u16_e32 vcc, 0, v89
	v_cndmask_b32_e64 v89, 0, 1, vcc
.LBB112_385:
	s_or_b64 exec, exec, s[2:3]
	v_or_b32_e32 v91, 0x1600, v0
	v_cmp_gt_u32_e32 vcc, s8, v91
	s_and_saveexec_b64 s[2:3], vcc
	s_cbranch_execz .LBB112_387
; %bb.386:
	v_lshlrev_b32_e32 v87, 1, v91
	global_load_ushort v87, v87, s[0:1]
	s_mov_b32 s9, 0
	v_mov_b32_e32 v88, s9
	s_waitcnt vmcnt(0)
	v_cmp_ne_u16_e32 vcc, 0, v87
	v_cndmask_b32_e64 v87, 0, 1, vcc
.LBB112_387:
	s_or_b64 exec, exec, s[2:3]
	v_or_b32_e32 v95, 0x1680, v0
	v_mov_b32_e32 v91, 0
	v_mov_b32_e32 v93, 0
	v_mov_b32_e32 v92, 0
	v_mov_b32_e32 v94, 0
	v_cmp_gt_u32_e32 vcc, s8, v95
	s_and_saveexec_b64 s[2:3], vcc
	s_cbranch_execz .LBB112_389
; %bb.388:
	v_lshlrev_b32_e32 v93, 1, v95
	global_load_ushort v93, v93, s[0:1]
	s_mov_b32 s9, 0
	v_mov_b32_e32 v94, s9
	s_waitcnt vmcnt(0)
	v_cmp_ne_u16_e32 vcc, 0, v93
	v_cndmask_b32_e64 v93, 0, 1, vcc
.LBB112_389:
	s_or_b64 exec, exec, s[2:3]
	v_or_b32_e32 v95, 0x1700, v0
	v_cmp_gt_u32_e32 vcc, s8, v95
	s_and_saveexec_b64 s[2:3], vcc
	s_cbranch_execz .LBB112_391
; %bb.390:
	v_lshlrev_b32_e32 v91, 1, v95
	global_load_ushort v91, v91, s[0:1]
	s_mov_b32 s9, 0
	v_mov_b32_e32 v92, s9
	s_waitcnt vmcnt(0)
	v_cmp_ne_u16_e32 vcc, 0, v91
	v_cndmask_b32_e64 v91, 0, 1, vcc
.LBB112_391:
	s_or_b64 exec, exec, s[2:3]
	v_or_b32_e32 v99, 0x1780, v0
	v_mov_b32_e32 v95, 0
	v_mov_b32_e32 v97, 0
	v_mov_b32_e32 v96, 0
	v_mov_b32_e32 v98, 0
	v_cmp_gt_u32_e32 vcc, s8, v99
	s_and_saveexec_b64 s[2:3], vcc
	s_cbranch_execz .LBB112_393
; %bb.392:
	v_lshlrev_b32_e32 v97, 1, v99
	global_load_ushort v97, v97, s[0:1]
	s_mov_b32 s9, 0
	v_mov_b32_e32 v98, s9
	s_waitcnt vmcnt(0)
	v_cmp_ne_u16_e32 vcc, 0, v97
	v_cndmask_b32_e64 v97, 0, 1, vcc
.LBB112_393:
	s_or_b64 exec, exec, s[2:3]
	v_or_b32_e32 v99, 0x1800, v0
	v_cmp_gt_u32_e32 vcc, s8, v99
	s_and_saveexec_b64 s[2:3], vcc
	s_cbranch_execz .LBB112_395
; %bb.394:
	v_lshlrev_b32_e32 v95, 1, v99
	global_load_ushort v95, v95, s[0:1]
	s_mov_b32 s9, 0
	v_mov_b32_e32 v96, s9
	s_waitcnt vmcnt(0)
	v_cmp_ne_u16_e32 vcc, 0, v95
	v_cndmask_b32_e64 v95, 0, 1, vcc
.LBB112_395:
	s_or_b64 exec, exec, s[2:3]
	v_or_b32_e32 v103, 0x1880, v0
	v_mov_b32_e32 v99, 0
	v_mov_b32_e32 v101, 0
	v_mov_b32_e32 v100, 0
	v_mov_b32_e32 v102, 0
	v_cmp_gt_u32_e32 vcc, s8, v103
	s_and_saveexec_b64 s[2:3], vcc
	s_cbranch_execz .LBB112_397
; %bb.396:
	v_lshlrev_b32_e32 v101, 1, v103
	global_load_ushort v101, v101, s[0:1]
	s_mov_b32 s9, 0
	v_mov_b32_e32 v102, s9
	s_waitcnt vmcnt(0)
	v_cmp_ne_u16_e32 vcc, 0, v101
	v_cndmask_b32_e64 v101, 0, 1, vcc
.LBB112_397:
	s_or_b64 exec, exec, s[2:3]
	v_or_b32_e32 v103, 0x1900, v0
	v_cmp_gt_u32_e32 vcc, s8, v103
	s_and_saveexec_b64 s[2:3], vcc
	s_cbranch_execz .LBB112_399
; %bb.398:
	v_lshlrev_b32_e32 v99, 1, v103
	global_load_ushort v99, v99, s[0:1]
	s_mov_b32 s9, 0
	v_mov_b32_e32 v100, s9
	s_waitcnt vmcnt(0)
	v_cmp_ne_u16_e32 vcc, 0, v99
	v_cndmask_b32_e64 v99, 0, 1, vcc
.LBB112_399:
	s_or_b64 exec, exec, s[2:3]
	v_or_b32_e32 v107, 0x1980, v0
	v_mov_b32_e32 v103, 0
	v_mov_b32_e32 v105, 0
	v_mov_b32_e32 v104, 0
	v_mov_b32_e32 v106, 0
	v_cmp_gt_u32_e32 vcc, s8, v107
	s_and_saveexec_b64 s[2:3], vcc
	s_cbranch_execz .LBB112_401
; %bb.400:
	v_lshlrev_b32_e32 v105, 1, v107
	global_load_ushort v105, v105, s[0:1]
	s_mov_b32 s9, 0
	v_mov_b32_e32 v106, s9
	s_waitcnt vmcnt(0)
	v_cmp_ne_u16_e32 vcc, 0, v105
	v_cndmask_b32_e64 v105, 0, 1, vcc
.LBB112_401:
	s_or_b64 exec, exec, s[2:3]
	v_or_b32_e32 v107, 0x1a00, v0
	v_cmp_gt_u32_e32 vcc, s8, v107
	s_and_saveexec_b64 s[2:3], vcc
	s_cbranch_execz .LBB112_403
; %bb.402:
	v_lshlrev_b32_e32 v103, 1, v107
	global_load_ushort v103, v103, s[0:1]
	s_mov_b32 s9, 0
	v_mov_b32_e32 v104, s9
	s_waitcnt vmcnt(0)
	v_cmp_ne_u16_e32 vcc, 0, v103
	v_cndmask_b32_e64 v103, 0, 1, vcc
.LBB112_403:
	s_or_b64 exec, exec, s[2:3]
	v_or_b32_e32 v111, 0x1a80, v0
	v_mov_b32_e32 v107, 0
	v_mov_b32_e32 v109, 0
	v_mov_b32_e32 v108, 0
	v_mov_b32_e32 v110, 0
	v_cmp_gt_u32_e32 vcc, s8, v111
	s_and_saveexec_b64 s[2:3], vcc
	s_cbranch_execz .LBB112_405
; %bb.404:
	v_lshlrev_b32_e32 v109, 1, v111
	global_load_ushort v109, v109, s[0:1]
	s_mov_b32 s9, 0
	v_mov_b32_e32 v110, s9
	s_waitcnt vmcnt(0)
	v_cmp_ne_u16_e32 vcc, 0, v109
	v_cndmask_b32_e64 v109, 0, 1, vcc
.LBB112_405:
	s_or_b64 exec, exec, s[2:3]
	v_or_b32_e32 v111, 0x1b00, v0
	v_cmp_gt_u32_e32 vcc, s8, v111
	s_and_saveexec_b64 s[2:3], vcc
	s_cbranch_execz .LBB112_407
; %bb.406:
	v_lshlrev_b32_e32 v107, 1, v111
	global_load_ushort v107, v107, s[0:1]
	s_mov_b32 s9, 0
	v_mov_b32_e32 v108, s9
	s_waitcnt vmcnt(0)
	v_cmp_ne_u16_e32 vcc, 0, v107
	v_cndmask_b32_e64 v107, 0, 1, vcc
.LBB112_407:
	s_or_b64 exec, exec, s[2:3]
	v_or_b32_e32 v115, 0x1b80, v0
	v_mov_b32_e32 v111, 0
	v_mov_b32_e32 v113, 0
	v_mov_b32_e32 v112, 0
	v_mov_b32_e32 v114, 0
	v_cmp_gt_u32_e32 vcc, s8, v115
	s_and_saveexec_b64 s[2:3], vcc
	s_cbranch_execz .LBB112_409
; %bb.408:
	v_lshlrev_b32_e32 v113, 1, v115
	global_load_ushort v113, v113, s[0:1]
	s_mov_b32 s9, 0
	v_mov_b32_e32 v114, s9
	s_waitcnt vmcnt(0)
	v_cmp_ne_u16_e32 vcc, 0, v113
	v_cndmask_b32_e64 v113, 0, 1, vcc
.LBB112_409:
	s_or_b64 exec, exec, s[2:3]
	v_or_b32_e32 v115, 0x1c00, v0
	v_cmp_gt_u32_e32 vcc, s8, v115
	s_and_saveexec_b64 s[2:3], vcc
	s_cbranch_execz .LBB112_411
; %bb.410:
	v_lshlrev_b32_e32 v111, 1, v115
	global_load_ushort v111, v111, s[0:1]
	s_mov_b32 s9, 0
	v_mov_b32_e32 v112, s9
	s_waitcnt vmcnt(0)
	v_cmp_ne_u16_e32 vcc, 0, v111
	v_cndmask_b32_e64 v111, 0, 1, vcc
.LBB112_411:
	s_or_b64 exec, exec, s[2:3]
	v_or_b32_e32 v119, 0x1c80, v0
	v_mov_b32_e32 v115, 0
	v_mov_b32_e32 v117, 0
	v_mov_b32_e32 v116, 0
	v_mov_b32_e32 v118, 0
	v_cmp_gt_u32_e32 vcc, s8, v119
	s_and_saveexec_b64 s[2:3], vcc
	s_cbranch_execz .LBB112_413
; %bb.412:
	v_lshlrev_b32_e32 v117, 1, v119
	global_load_ushort v117, v117, s[0:1]
	s_mov_b32 s9, 0
	v_mov_b32_e32 v118, s9
	s_waitcnt vmcnt(0)
	v_cmp_ne_u16_e32 vcc, 0, v117
	v_cndmask_b32_e64 v117, 0, 1, vcc
.LBB112_413:
	s_or_b64 exec, exec, s[2:3]
	v_or_b32_e32 v119, 0x1d00, v0
	v_cmp_gt_u32_e32 vcc, s8, v119
	s_and_saveexec_b64 s[2:3], vcc
	s_cbranch_execz .LBB112_415
; %bb.414:
	v_lshlrev_b32_e32 v115, 1, v119
	global_load_ushort v115, v115, s[0:1]
	s_mov_b32 s9, 0
	v_mov_b32_e32 v116, s9
	s_waitcnt vmcnt(0)
	v_cmp_ne_u16_e32 vcc, 0, v115
	v_cndmask_b32_e64 v115, 0, 1, vcc
.LBB112_415:
	s_or_b64 exec, exec, s[2:3]
	v_or_b32_e32 v123, 0x1d80, v0
	v_mov_b32_e32 v119, 0
	v_mov_b32_e32 v121, 0
	v_mov_b32_e32 v120, 0
	v_mov_b32_e32 v122, 0
	v_cmp_gt_u32_e32 vcc, s8, v123
	s_and_saveexec_b64 s[2:3], vcc
	s_cbranch_execz .LBB112_417
; %bb.416:
	v_lshlrev_b32_e32 v121, 1, v123
	global_load_ushort v121, v121, s[0:1]
	s_mov_b32 s9, 0
	v_mov_b32_e32 v122, s9
	s_waitcnt vmcnt(0)
	v_cmp_ne_u16_e32 vcc, 0, v121
	v_cndmask_b32_e64 v121, 0, 1, vcc
.LBB112_417:
	s_or_b64 exec, exec, s[2:3]
	v_or_b32_e32 v123, 0x1e00, v0
	v_cmp_gt_u32_e32 vcc, s8, v123
	s_and_saveexec_b64 s[2:3], vcc
	s_cbranch_execz .LBB112_419
; %bb.418:
	v_lshlrev_b32_e32 v119, 1, v123
	global_load_ushort v119, v119, s[0:1]
	s_mov_b32 s9, 0
	v_mov_b32_e32 v120, s9
	s_waitcnt vmcnt(0)
	v_cmp_ne_u16_e32 vcc, 0, v119
	v_cndmask_b32_e64 v119, 0, 1, vcc
.LBB112_419:
	s_or_b64 exec, exec, s[2:3]
	v_or_b32_e32 v127, 0x1e80, v0
	v_mov_b32_e32 v123, 0
	v_mov_b32_e32 v125, 0
	v_mov_b32_e32 v124, 0
	v_mov_b32_e32 v126, 0
	v_cmp_gt_u32_e32 vcc, s8, v127
	s_and_saveexec_b64 s[2:3], vcc
	s_cbranch_execz .LBB112_421
; %bb.420:
	v_lshlrev_b32_e32 v125, 1, v127
	global_load_ushort v125, v125, s[0:1]
	s_mov_b32 s9, 0
	v_mov_b32_e32 v126, s9
	s_waitcnt vmcnt(0)
	v_cmp_ne_u16_e32 vcc, 0, v125
	v_cndmask_b32_e64 v125, 0, 1, vcc
.LBB112_421:
	s_or_b64 exec, exec, s[2:3]
	v_or_b32_e32 v127, 0x1f00, v0
	v_cmp_gt_u32_e32 vcc, s8, v127
	s_and_saveexec_b64 s[2:3], vcc
	s_cbranch_execz .LBB112_423
; %bb.422:
	v_lshlrev_b32_e32 v123, 1, v127
	global_load_ushort v123, v123, s[0:1]
	s_mov_b32 s9, 0
	v_mov_b32_e32 v124, s9
	s_waitcnt vmcnt(0)
	v_cmp_ne_u16_e32 vcc, 0, v123
	v_cndmask_b32_e64 v123, 0, 1, vcc
.LBB112_423:
	s_or_b64 exec, exec, s[2:3]
	v_or_b32_e32 v129, 0x1f80, v0
	v_mov_b32_e32 v127, 0
	v_mov_b32_e32 v128, 0
	v_cmp_gt_u32_e32 vcc, s8, v129
	s_and_saveexec_b64 s[2:3], vcc
	s_cbranch_execz .LBB112_425
; %bb.424:
	v_lshlrev_b32_e32 v127, 1, v129
	global_load_ushort v127, v127, s[0:1]
	s_mov_b32 s0, 0
	v_mov_b32_e32 v128, s0
	s_waitcnt vmcnt(0)
	v_cmp_ne_u16_e32 vcc, 0, v127
	v_cndmask_b32_e64 v127, 0, 1, vcc
.LBB112_425:
	s_or_b64 exec, exec, s[2:3]
	v_add_co_u32_e32 v1, vcc, v5, v1
	v_addc_co_u32_e32 v2, vcc, v6, v2, vcc
	v_add_co_u32_e32 v1, vcc, v1, v3
	v_addc_co_u32_e32 v2, vcc, v2, v4, vcc
	v_add_co_u32_e32 v1, vcc, v1, v9
	v_addc_co_u32_e32 v2, vcc, v2, v10, vcc
	v_add_co_u32_e32 v1, vcc, v1, v7
	v_addc_co_u32_e32 v2, vcc, v2, v8, vcc
	v_add_co_u32_e32 v1, vcc, v1, v13
	v_addc_co_u32_e32 v2, vcc, v2, v14, vcc
	v_add_co_u32_e32 v1, vcc, v1, v11
	v_addc_co_u32_e32 v2, vcc, v2, v12, vcc
	v_add_co_u32_e32 v1, vcc, v1, v17
	v_addc_co_u32_e32 v2, vcc, v2, v18, vcc
	v_add_co_u32_e32 v1, vcc, v1, v15
	v_addc_co_u32_e32 v2, vcc, v2, v16, vcc
	v_add_co_u32_e32 v1, vcc, v1, v21
	v_addc_co_u32_e32 v2, vcc, v2, v22, vcc
	v_add_co_u32_e32 v1, vcc, v1, v19
	v_addc_co_u32_e32 v2, vcc, v2, v20, vcc
	v_add_co_u32_e32 v1, vcc, v1, v25
	v_addc_co_u32_e32 v2, vcc, v2, v26, vcc
	v_add_co_u32_e32 v1, vcc, v1, v23
	v_addc_co_u32_e32 v2, vcc, v2, v24, vcc
	v_add_co_u32_e32 v1, vcc, v1, v29
	v_addc_co_u32_e32 v2, vcc, v2, v30, vcc
	v_add_co_u32_e32 v1, vcc, v1, v27
	v_addc_co_u32_e32 v2, vcc, v2, v28, vcc
	v_add_co_u32_e32 v1, vcc, v1, v33
	v_addc_co_u32_e32 v2, vcc, v2, v34, vcc
	v_add_co_u32_e32 v1, vcc, v1, v31
	v_addc_co_u32_e32 v2, vcc, v2, v32, vcc
	v_add_co_u32_e32 v1, vcc, v1, v37
	v_addc_co_u32_e32 v2, vcc, v2, v38, vcc
	v_add_co_u32_e32 v1, vcc, v1, v35
	v_addc_co_u32_e32 v2, vcc, v2, v36, vcc
	v_add_co_u32_e32 v1, vcc, v1, v41
	v_addc_co_u32_e32 v2, vcc, v2, v42, vcc
	v_add_co_u32_e32 v1, vcc, v1, v39
	v_addc_co_u32_e32 v2, vcc, v2, v40, vcc
	v_add_co_u32_e32 v1, vcc, v1, v45
	v_addc_co_u32_e32 v2, vcc, v2, v46, vcc
	v_add_co_u32_e32 v1, vcc, v1, v43
	v_addc_co_u32_e32 v2, vcc, v2, v44, vcc
	v_add_co_u32_e32 v1, vcc, v1, v49
	v_addc_co_u32_e32 v2, vcc, v2, v50, vcc
	v_add_co_u32_e32 v1, vcc, v1, v47
	v_addc_co_u32_e32 v2, vcc, v2, v48, vcc
	v_add_co_u32_e32 v1, vcc, v1, v53
	v_addc_co_u32_e32 v2, vcc, v2, v54, vcc
	v_add_co_u32_e32 v1, vcc, v1, v51
	v_addc_co_u32_e32 v2, vcc, v2, v52, vcc
	v_add_co_u32_e32 v1, vcc, v1, v57
	v_addc_co_u32_e32 v2, vcc, v2, v58, vcc
	v_add_co_u32_e32 v1, vcc, v1, v55
	v_addc_co_u32_e32 v2, vcc, v2, v56, vcc
	v_add_co_u32_e32 v1, vcc, v1, v61
	v_addc_co_u32_e32 v2, vcc, v2, v62, vcc
	v_add_co_u32_e32 v1, vcc, v1, v59
	v_addc_co_u32_e32 v2, vcc, v2, v60, vcc
	v_add_co_u32_e32 v1, vcc, v1, v65
	v_addc_co_u32_e32 v2, vcc, v2, v66, vcc
	v_add_co_u32_e32 v1, vcc, v1, v63
	v_addc_co_u32_e32 v2, vcc, v2, v64, vcc
	v_add_co_u32_e32 v1, vcc, v1, v69
	v_addc_co_u32_e32 v2, vcc, v2, v70, vcc
	v_add_co_u32_e32 v1, vcc, v1, v67
	v_addc_co_u32_e32 v2, vcc, v2, v68, vcc
	v_add_co_u32_e32 v1, vcc, v1, v73
	v_addc_co_u32_e32 v2, vcc, v2, v74, vcc
	v_add_co_u32_e32 v1, vcc, v1, v71
	v_addc_co_u32_e32 v2, vcc, v2, v72, vcc
	v_add_co_u32_e32 v1, vcc, v1, v77
	v_addc_co_u32_e32 v2, vcc, v2, v78, vcc
	v_add_co_u32_e32 v1, vcc, v1, v75
	v_addc_co_u32_e32 v2, vcc, v2, v76, vcc
	v_add_co_u32_e32 v1, vcc, v1, v81
	v_addc_co_u32_e32 v2, vcc, v2, v82, vcc
	v_add_co_u32_e32 v1, vcc, v1, v79
	v_addc_co_u32_e32 v2, vcc, v2, v80, vcc
	v_add_co_u32_e32 v1, vcc, v1, v85
	v_addc_co_u32_e32 v2, vcc, v2, v86, vcc
	v_add_co_u32_e32 v1, vcc, v1, v83
	v_addc_co_u32_e32 v2, vcc, v2, v84, vcc
	v_add_co_u32_e32 v1, vcc, v1, v89
	v_addc_co_u32_e32 v2, vcc, v2, v90, vcc
	v_add_co_u32_e32 v1, vcc, v1, v87
	v_addc_co_u32_e32 v2, vcc, v2, v88, vcc
	v_add_co_u32_e32 v1, vcc, v1, v93
	v_addc_co_u32_e32 v2, vcc, v2, v94, vcc
	v_add_co_u32_e32 v1, vcc, v1, v91
	v_addc_co_u32_e32 v2, vcc, v2, v92, vcc
	v_add_co_u32_e32 v1, vcc, v1, v97
	v_addc_co_u32_e32 v2, vcc, v2, v98, vcc
	v_add_co_u32_e32 v1, vcc, v1, v95
	v_addc_co_u32_e32 v2, vcc, v2, v96, vcc
	v_add_co_u32_e32 v1, vcc, v1, v101
	v_addc_co_u32_e32 v2, vcc, v2, v102, vcc
	v_add_co_u32_e32 v1, vcc, v1, v99
	v_addc_co_u32_e32 v2, vcc, v2, v100, vcc
	v_add_co_u32_e32 v1, vcc, v1, v105
	v_addc_co_u32_e32 v2, vcc, v2, v106, vcc
	v_add_co_u32_e32 v1, vcc, v1, v103
	v_addc_co_u32_e32 v2, vcc, v2, v104, vcc
	v_add_co_u32_e32 v1, vcc, v1, v109
	v_addc_co_u32_e32 v2, vcc, v2, v110, vcc
	v_add_co_u32_e32 v1, vcc, v1, v107
	v_addc_co_u32_e32 v2, vcc, v2, v108, vcc
	v_add_co_u32_e32 v1, vcc, v1, v113
	v_addc_co_u32_e32 v2, vcc, v2, v114, vcc
	v_add_co_u32_e32 v1, vcc, v1, v111
	v_addc_co_u32_e32 v2, vcc, v2, v112, vcc
	v_add_co_u32_e32 v1, vcc, v1, v117
	v_addc_co_u32_e32 v2, vcc, v2, v118, vcc
	v_add_co_u32_e32 v1, vcc, v1, v115
	v_addc_co_u32_e32 v2, vcc, v2, v116, vcc
	v_add_co_u32_e32 v1, vcc, v1, v121
	v_addc_co_u32_e32 v2, vcc, v2, v122, vcc
	v_add_co_u32_e32 v1, vcc, v1, v119
	v_addc_co_u32_e32 v2, vcc, v2, v120, vcc
	v_add_co_u32_e32 v1, vcc, v1, v125
	v_addc_co_u32_e32 v2, vcc, v2, v126, vcc
	v_add_co_u32_e32 v1, vcc, v1, v123
	v_addc_co_u32_e32 v2, vcc, v2, v124, vcc
	v_mbcnt_lo_u32_b32 v3, -1, 0
	v_add_co_u32_e32 v1, vcc, v1, v127
	v_mbcnt_hi_u32_b32 v3, -1, v3
	v_addc_co_u32_e32 v2, vcc, v2, v128, vcc
	v_and_b32_e32 v4, 63, v3
	v_cmp_ne_u32_e32 vcc, 63, v4
	v_addc_co_u32_e32 v6, vcc, 0, v3, vcc
	v_lshlrev_b32_e32 v6, 2, v6
	ds_bpermute_b32 v8, v6, v1
	ds_bpermute_b32 v7, v6, v2
	s_min_u32 s2, s8, 0x80
	v_and_b32_e32 v5, 64, v0
	v_sub_u32_e64 v5, s2, v5 clamp
	v_add_u32_e32 v6, 1, v4
	v_cmp_lt_u32_e32 vcc, v6, v5
	v_mov_b32_e32 v6, v1
	s_and_saveexec_b64 s[0:1], vcc
	s_cbranch_execz .LBB112_427
; %bb.426:
	s_waitcnt lgkmcnt(1)
	v_add_co_u32_e32 v6, vcc, v1, v8
	v_addc_co_u32_e32 v2, vcc, 0, v2, vcc
	v_add_co_u32_e32 v1, vcc, 0, v6
	s_waitcnt lgkmcnt(0)
	v_addc_co_u32_e32 v2, vcc, v7, v2, vcc
.LBB112_427:
	s_or_b64 exec, exec, s[0:1]
	v_cmp_gt_u32_e32 vcc, 62, v4
	s_waitcnt lgkmcnt(0)
	v_cndmask_b32_e64 v7, 0, 2, vcc
	v_add_lshl_u32 v7, v7, v3, 2
	ds_bpermute_b32 v8, v7, v6
	ds_bpermute_b32 v7, v7, v2
	v_add_u32_e32 v9, 2, v4
	v_cmp_lt_u32_e32 vcc, v9, v5
	s_and_saveexec_b64 s[0:1], vcc
	s_cbranch_execz .LBB112_429
; %bb.428:
	s_waitcnt lgkmcnt(1)
	v_add_co_u32_e32 v6, vcc, v1, v8
	v_addc_co_u32_e32 v2, vcc, 0, v2, vcc
	v_add_co_u32_e32 v1, vcc, 0, v6
	s_waitcnt lgkmcnt(0)
	v_addc_co_u32_e32 v2, vcc, v7, v2, vcc
.LBB112_429:
	s_or_b64 exec, exec, s[0:1]
	v_cmp_gt_u32_e32 vcc, 60, v4
	s_waitcnt lgkmcnt(0)
	v_cndmask_b32_e64 v7, 0, 4, vcc
	v_add_lshl_u32 v7, v7, v3, 2
	ds_bpermute_b32 v8, v7, v6
	ds_bpermute_b32 v7, v7, v2
	v_add_u32_e32 v9, 4, v4
	v_cmp_lt_u32_e32 vcc, v9, v5
	;; [unrolled: 19-line block ×4, first 2 shown]
	s_and_saveexec_b64 s[0:1], vcc
	s_cbranch_execz .LBB112_435
; %bb.434:
	s_waitcnt lgkmcnt(1)
	v_add_co_u32_e32 v6, vcc, v1, v8
	v_addc_co_u32_e32 v2, vcc, 0, v2, vcc
	v_add_co_u32_e32 v1, vcc, 0, v6
	s_waitcnt lgkmcnt(0)
	v_addc_co_u32_e32 v2, vcc, v7, v2, vcc
.LBB112_435:
	s_or_b64 exec, exec, s[0:1]
	s_waitcnt lgkmcnt(0)
	v_lshlrev_b32_e32 v7, 2, v3
	v_or_b32_e32 v8, 0x80, v7
	ds_bpermute_b32 v6, v8, v6
	ds_bpermute_b32 v8, v8, v2
	v_add_u32_e32 v4, 32, v4
	s_waitcnt lgkmcnt(1)
	v_add_co_u32_e32 v6, vcc, v1, v6
	v_addc_co_u32_e32 v9, vcc, 0, v2, vcc
	v_add_co_u32_e32 v6, vcc, 0, v6
	s_waitcnt lgkmcnt(0)
	v_addc_co_u32_e32 v8, vcc, v9, v8, vcc
	v_cmp_lt_u32_e32 vcc, v4, v5
	v_cndmask_b32_e32 v2, v2, v8, vcc
	v_cndmask_b32_e32 v1, v1, v6, vcc
	v_cmp_eq_u32_e32 vcc, 0, v3
	s_and_saveexec_b64 s[0:1], vcc
; %bb.436:
	v_lshrrev_b32_e32 v4, 3, v0
	v_and_b32_e32 v4, 8, v4
	ds_write_b64 v4, v[1:2] offset:128
; %bb.437:
	s_or_b64 exec, exec, s[0:1]
	v_cmp_gt_u32_e32 vcc, 2, v0
	s_waitcnt lgkmcnt(0)
	s_barrier
	s_and_saveexec_b64 s[0:1], vcc
	s_cbranch_execz .LBB112_439
; %bb.438:
	v_lshlrev_b32_e32 v1, 3, v3
	ds_read_b64 v[1:2], v1 offset:128
	v_or_b32_e32 v4, 4, v7
	s_add_i32 s2, s2, 63
	v_and_b32_e32 v3, 1, v3
	s_lshr_b32 s2, s2, 6
	s_waitcnt lgkmcnt(0)
	ds_bpermute_b32 v5, v4, v2
	ds_bpermute_b32 v4, v4, v1
	v_add_u32_e32 v3, 1, v3
	v_cmp_gt_u32_e32 vcc, s2, v3
	s_waitcnt lgkmcnt(1)
	v_cndmask_b32_e32 v3, 0, v5, vcc
	s_waitcnt lgkmcnt(0)
	v_cndmask_b32_e32 v4, 0, v4, vcc
	v_add_co_u32_e32 v1, vcc, v4, v1
	v_addc_co_u32_e32 v2, vcc, v3, v2, vcc
.LBB112_439:
	s_or_b64 exec, exec, s[0:1]
.LBB112_440:
	v_mov_b32_e32 v3, s6
	v_cmp_eq_u32_e64 s[2:3], 0, v0
	v_mov_b32_e32 v4, s7
.LBB112_441:
	s_branch .LBB112_591
.LBB112_442:
	s_cmp_gt_i32 s26, 31
	s_cbranch_scc0 .LBB112_450
; %bb.443:
	s_cmp_eq_u32 s26, 32
                                        ; implicit-def: $vgpr1_vgpr2
                                        ; implicit-def: $vgpr3_vgpr4
	s_cbranch_scc0 .LBB112_451
; %bb.444:
	s_mov_b32 s7, 0
	s_lshl_b32 s2, s6, 12
	s_mov_b32 s3, s7
	s_lshr_b64 s[8:9], s[20:21], 12
	s_lshl_b64 s[0:1], s[2:3], 1
	s_add_u32 s0, s18, s0
	s_addc_u32 s1, s19, s1
	s_cmp_lg_u64 s[8:9], s[6:7]
	s_cbranch_scc0 .LBB112_452
; %bb.445:
	v_lshlrev_b32_e32 v3, 1, v0
	global_load_ushort v4, v3, s[0:1] offset:768
	global_load_ushort v5, v3, s[0:1] offset:1024
	global_load_ushort v6, v3, s[0:1] offset:1280
	global_load_ushort v7, v3, s[0:1] offset:1536
	global_load_ushort v8, v3, s[0:1] offset:1792
	global_load_ushort v9, v3, s[0:1] offset:2048
	global_load_ushort v10, v3, s[0:1] offset:2304
	global_load_ushort v11, v3, s[0:1] offset:2560
	global_load_ushort v12, v3, s[0:1] offset:2816
	global_load_ushort v14, v3, s[0:1] offset:3072
	global_load_ushort v15, v3, s[0:1] offset:3328
	global_load_ushort v16, v3, s[0:1] offset:3584
	global_load_ushort v17, v3, s[0:1] offset:3840
	v_mov_b32_e32 v1, s1
	v_add_co_u32_e32 v2, vcc, s0, v3
	s_movk_i32 s3, 0x1000
	v_addc_co_u32_e32 v13, vcc, 0, v1, vcc
	v_add_co_u32_e32 v1, vcc, s3, v2
	v_addc_co_u32_e32 v2, vcc, 0, v13, vcc
	global_load_ushort v13, v[1:2], off
	global_load_ushort v18, v[1:2], off offset:256
	global_load_ushort v19, v[1:2], off offset:512
	;; [unrolled: 1-line block ×15, first 2 shown]
	global_load_ushort v33, v3, s[0:1] offset:256
	global_load_ushort v34, v3, s[0:1]
	global_load_ushort v35, v3, s[0:1] offset:512
	v_mov_b32_e32 v1, 0
	s_waitcnt vmcnt(31)
	v_cmp_ne_u16_e32 vcc, 0, v4
	v_cndmask_b32_e64 v2, 0, 1, vcc
	s_waitcnt vmcnt(30)
	v_cmp_ne_u16_e32 vcc, 0, v5
	v_cndmask_b32_e64 v3, 0, 1, vcc
	;; [unrolled: 3-line block ×31, first 2 shown]
	s_waitcnt vmcnt(0)
	v_cmp_ne_u16_e32 vcc, 0, v35
	v_addc_co_u32_e32 v31, vcc, v31, v32, vcc
	v_add_co_u32_e32 v2, vcc, v31, v2
	v_addc_co_u32_e64 v31, s[8:9], 0, 0, vcc
	v_add_co_u32_e32 v2, vcc, v2, v3
	v_addc_co_u32_e32 v3, vcc, 0, v31, vcc
	v_add_co_u32_e32 v2, vcc, v2, v4
	v_addc_co_u32_e32 v3, vcc, 0, v3, vcc
	;; [unrolled: 2-line block ×28, first 2 shown]
	s_nop 0
	v_mov_b32_dpp v5, v2 quad_perm:[1,0,3,2] row_mask:0xf bank_mask:0xf bound_ctrl:1
	v_add_co_u32_e32 v2, vcc, v2, v5
	v_addc_co_u32_e32 v4, vcc, 0, v4, vcc
	v_mov_b32_dpp v1, v1 quad_perm:[1,0,3,2] row_mask:0xf bank_mask:0xf bound_ctrl:1
	v_add_co_u32_e32 v5, vcc, 0, v2
	v_addc_co_u32_e32 v1, vcc, v1, v4, vcc
	v_mov_b32_dpp v2, v2 quad_perm:[2,3,0,1] row_mask:0xf bank_mask:0xf bound_ctrl:1
	v_add_co_u32_e32 v2, vcc, v5, v2
	v_mov_b32_dpp v4, v1 quad_perm:[2,3,0,1] row_mask:0xf bank_mask:0xf bound_ctrl:1
	v_addc_co_u32_e32 v1, vcc, 0, v1, vcc
	v_add_co_u32_e32 v5, vcc, 0, v2
	v_addc_co_u32_e32 v1, vcc, v1, v4, vcc
	v_mov_b32_dpp v2, v2 row_ror:4 row_mask:0xf bank_mask:0xf bound_ctrl:1
	v_add_co_u32_e32 v2, vcc, v5, v2
	v_mov_b32_dpp v4, v1 row_ror:4 row_mask:0xf bank_mask:0xf bound_ctrl:1
	v_addc_co_u32_e32 v1, vcc, 0, v1, vcc
	v_add_co_u32_e32 v5, vcc, 0, v2
	v_addc_co_u32_e32 v1, vcc, v1, v4, vcc
	v_mov_b32_dpp v2, v2 row_ror:8 row_mask:0xf bank_mask:0xf bound_ctrl:1
	v_add_co_u32_e32 v2, vcc, v5, v2
	v_mov_b32_dpp v4, v1 row_ror:8 row_mask:0xf bank_mask:0xf bound_ctrl:1
	v_addc_co_u32_e32 v1, vcc, 0, v1, vcc
	v_add_co_u32_e32 v5, vcc, 0, v2
	v_addc_co_u32_e32 v1, vcc, v1, v4, vcc
	v_mov_b32_dpp v2, v2 row_bcast:15 row_mask:0xf bank_mask:0xf bound_ctrl:1
	v_add_co_u32_e32 v2, vcc, v5, v2
	v_mov_b32_dpp v4, v1 row_bcast:15 row_mask:0xf bank_mask:0xf bound_ctrl:1
	v_addc_co_u32_e32 v1, vcc, 0, v1, vcc
	v_add_co_u32_e32 v5, vcc, 0, v2
	v_addc_co_u32_e32 v1, vcc, v1, v4, vcc
	v_mov_b32_dpp v2, v2 row_bcast:31 row_mask:0xf bank_mask:0xf bound_ctrl:1
	v_mbcnt_lo_u32_b32 v3, -1, 0
	v_add_co_u32_e32 v2, vcc, v5, v2
	v_mbcnt_hi_u32_b32 v3, -1, v3
	v_addc_co_u32_e32 v4, vcc, 0, v1, vcc
	v_cmp_eq_u32_e32 vcc, 0, v3
	s_nop 0
	v_add_u32_dpp v5, v1, v4 row_bcast:31 row_mask:0xf bank_mask:0xf bound_ctrl:1
	v_lshlrev_b32_e32 v4, 2, v3
	v_or_b32_e32 v6, 0xfc, v4
	ds_bpermute_b32 v1, v6, v2
	ds_bpermute_b32 v2, v6, v5
	s_and_saveexec_b64 s[8:9], vcc
	s_cbranch_execz .LBB112_447
; %bb.446:
	v_lshrrev_b32_e32 v5, 3, v0
	v_and_b32_e32 v5, 8, v5
	s_waitcnt lgkmcnt(0)
	ds_write_b64 v5, v[1:2] offset:64
.LBB112_447:
	s_or_b64 exec, exec, s[8:9]
	v_cmp_gt_u32_e32 vcc, 64, v0
	s_waitcnt lgkmcnt(0)
	s_barrier
	s_and_saveexec_b64 s[8:9], vcc
	s_cbranch_execz .LBB112_449
; %bb.448:
	v_and_b32_e32 v1, 1, v3
	v_lshlrev_b32_e32 v1, 3, v1
	ds_read_b64 v[1:2], v1 offset:64
	v_or_b32_e32 v3, 4, v4
	s_waitcnt lgkmcnt(0)
	ds_bpermute_b32 v4, v3, v1
	ds_bpermute_b32 v3, v3, v2
	s_waitcnt lgkmcnt(1)
	v_add_co_u32_e32 v1, vcc, v1, v4
	v_addc_co_u32_e32 v2, vcc, 0, v2, vcc
	v_add_co_u32_e32 v1, vcc, 0, v1
	s_waitcnt lgkmcnt(0)
	v_addc_co_u32_e32 v2, vcc, v2, v3, vcc
.LBB112_449:
	s_or_b64 exec, exec, s[8:9]
	s_mov_b64 s[8:9], 0
	s_branch .LBB112_453
.LBB112_450:
                                        ; implicit-def: $vgpr1_vgpr2
                                        ; implicit-def: $vgpr3_vgpr4
	s_cbranch_execnz .LBB112_534
	s_branch .LBB112_591
.LBB112_451:
	s_branch .LBB112_591
.LBB112_452:
	s_mov_b64 s[8:9], -1
                                        ; implicit-def: $vgpr1_vgpr2
.LBB112_453:
	s_and_b64 vcc, exec, s[8:9]
	s_cbranch_vccz .LBB112_533
; %bb.454:
	s_sub_i32 s8, s20, s2
	v_cmp_gt_u32_e32 vcc, s8, v0
                                        ; implicit-def: $vgpr1_vgpr2
	s_and_saveexec_b64 s[2:3], vcc
	s_cbranch_execz .LBB112_456
; %bb.455:
	v_lshlrev_b32_e32 v1, 1, v0
	global_load_ushort v1, v1, s[0:1]
	s_mov_b32 s9, 0
	v_mov_b32_e32 v2, s9
	s_waitcnt vmcnt(0)
	v_cmp_ne_u16_e32 vcc, 0, v1
	v_cndmask_b32_e64 v1, 0, 1, vcc
.LBB112_456:
	s_or_b64 exec, exec, s[2:3]
	v_or_b32_e32 v7, 0x80, v0
	v_mov_b32_e32 v3, 0
	v_mov_b32_e32 v5, 0
	v_mov_b32_e32 v4, 0
	v_mov_b32_e32 v6, 0
	v_cmp_gt_u32_e32 vcc, s8, v7
	s_and_saveexec_b64 s[2:3], vcc
	s_cbranch_execz .LBB112_458
; %bb.457:
	v_lshlrev_b32_e32 v5, 1, v0
	global_load_ushort v5, v5, s[0:1] offset:256
	s_mov_b32 s9, 0
	v_mov_b32_e32 v6, s9
	s_waitcnt vmcnt(0)
	v_cmp_ne_u16_e32 vcc, 0, v5
	v_cndmask_b32_e64 v5, 0, 1, vcc
.LBB112_458:
	s_or_b64 exec, exec, s[2:3]
	v_or_b32_e32 v7, 0x100, v0
	v_cmp_gt_u32_e32 vcc, s8, v7
	s_and_saveexec_b64 s[2:3], vcc
	s_cbranch_execz .LBB112_460
; %bb.459:
	v_lshlrev_b32_e32 v3, 1, v0
	global_load_ushort v3, v3, s[0:1] offset:512
	s_mov_b32 s9, 0
	v_mov_b32_e32 v4, s9
	s_waitcnt vmcnt(0)
	v_cmp_ne_u16_e32 vcc, 0, v3
	v_cndmask_b32_e64 v3, 0, 1, vcc
.LBB112_460:
	s_or_b64 exec, exec, s[2:3]
	v_or_b32_e32 v11, 0x180, v0
	v_mov_b32_e32 v7, 0
	v_mov_b32_e32 v9, 0
	v_mov_b32_e32 v8, 0
	v_mov_b32_e32 v10, 0
	v_cmp_gt_u32_e32 vcc, s8, v11
	s_and_saveexec_b64 s[2:3], vcc
	s_cbranch_execz .LBB112_462
; %bb.461:
	v_lshlrev_b32_e32 v9, 1, v0
	global_load_ushort v9, v9, s[0:1] offset:768
	s_mov_b32 s9, 0
	v_mov_b32_e32 v10, s9
	s_waitcnt vmcnt(0)
	v_cmp_ne_u16_e32 vcc, 0, v9
	v_cndmask_b32_e64 v9, 0, 1, vcc
.LBB112_462:
	s_or_b64 exec, exec, s[2:3]
	v_or_b32_e32 v11, 0x200, v0
	v_cmp_gt_u32_e32 vcc, s8, v11
	s_and_saveexec_b64 s[2:3], vcc
	s_cbranch_execz .LBB112_464
; %bb.463:
	v_lshlrev_b32_e32 v7, 1, v0
	global_load_ushort v7, v7, s[0:1] offset:1024
	s_mov_b32 s9, 0
	v_mov_b32_e32 v8, s9
	s_waitcnt vmcnt(0)
	v_cmp_ne_u16_e32 vcc, 0, v7
	v_cndmask_b32_e64 v7, 0, 1, vcc
.LBB112_464:
	;; [unrolled: 32-line block ×7, first 2 shown]
	s_or_b64 exec, exec, s[2:3]
	v_or_b32_e32 v35, 0x780, v0
	v_mov_b32_e32 v31, 0
	v_mov_b32_e32 v33, 0
	;; [unrolled: 1-line block ×4, first 2 shown]
	v_cmp_gt_u32_e32 vcc, s8, v35
	s_and_saveexec_b64 s[2:3], vcc
	s_cbranch_execz .LBB112_486
; %bb.485:
	v_lshlrev_b32_e32 v33, 1, v0
	global_load_ushort v33, v33, s[0:1] offset:3840
	s_mov_b32 s9, 0
	v_mov_b32_e32 v34, s9
	s_waitcnt vmcnt(0)
	v_cmp_ne_u16_e32 vcc, 0, v33
	v_cndmask_b32_e64 v33, 0, 1, vcc
.LBB112_486:
	s_or_b64 exec, exec, s[2:3]
	v_or_b32_e32 v35, 0x800, v0
	v_cmp_gt_u32_e32 vcc, s8, v35
	s_and_saveexec_b64 s[2:3], vcc
	s_cbranch_execz .LBB112_488
; %bb.487:
	v_lshlrev_b32_e32 v31, 1, v35
	global_load_ushort v31, v31, s[0:1]
	s_mov_b32 s9, 0
	v_mov_b32_e32 v32, s9
	s_waitcnt vmcnt(0)
	v_cmp_ne_u16_e32 vcc, 0, v31
	v_cndmask_b32_e64 v31, 0, 1, vcc
.LBB112_488:
	s_or_b64 exec, exec, s[2:3]
	v_or_b32_e32 v39, 0x880, v0
	v_mov_b32_e32 v35, 0
	v_mov_b32_e32 v37, 0
	v_mov_b32_e32 v36, 0
	v_mov_b32_e32 v38, 0
	v_cmp_gt_u32_e32 vcc, s8, v39
	s_and_saveexec_b64 s[2:3], vcc
	s_cbranch_execz .LBB112_490
; %bb.489:
	v_lshlrev_b32_e32 v37, 1, v39
	global_load_ushort v37, v37, s[0:1]
	s_mov_b32 s9, 0
	v_mov_b32_e32 v38, s9
	s_waitcnt vmcnt(0)
	v_cmp_ne_u16_e32 vcc, 0, v37
	v_cndmask_b32_e64 v37, 0, 1, vcc
.LBB112_490:
	s_or_b64 exec, exec, s[2:3]
	v_or_b32_e32 v39, 0x900, v0
	v_cmp_gt_u32_e32 vcc, s8, v39
	s_and_saveexec_b64 s[2:3], vcc
	s_cbranch_execz .LBB112_492
; %bb.491:
	v_lshlrev_b32_e32 v35, 1, v39
	global_load_ushort v35, v35, s[0:1]
	s_mov_b32 s9, 0
	v_mov_b32_e32 v36, s9
	s_waitcnt vmcnt(0)
	v_cmp_ne_u16_e32 vcc, 0, v35
	v_cndmask_b32_e64 v35, 0, 1, vcc
.LBB112_492:
	s_or_b64 exec, exec, s[2:3]
	v_or_b32_e32 v43, 0x980, v0
	v_mov_b32_e32 v39, 0
	v_mov_b32_e32 v41, 0
	v_mov_b32_e32 v40, 0
	v_mov_b32_e32 v42, 0
	v_cmp_gt_u32_e32 vcc, s8, v43
	s_and_saveexec_b64 s[2:3], vcc
	s_cbranch_execz .LBB112_494
; %bb.493:
	v_lshlrev_b32_e32 v41, 1, v43
	global_load_ushort v41, v41, s[0:1]
	s_mov_b32 s9, 0
	v_mov_b32_e32 v42, s9
	s_waitcnt vmcnt(0)
	v_cmp_ne_u16_e32 vcc, 0, v41
	v_cndmask_b32_e64 v41, 0, 1, vcc
.LBB112_494:
	s_or_b64 exec, exec, s[2:3]
	v_or_b32_e32 v43, 0xa00, v0
	v_cmp_gt_u32_e32 vcc, s8, v43
	s_and_saveexec_b64 s[2:3], vcc
	s_cbranch_execz .LBB112_496
; %bb.495:
	v_lshlrev_b32_e32 v39, 1, v43
	global_load_ushort v39, v39, s[0:1]
	s_mov_b32 s9, 0
	v_mov_b32_e32 v40, s9
	s_waitcnt vmcnt(0)
	v_cmp_ne_u16_e32 vcc, 0, v39
	v_cndmask_b32_e64 v39, 0, 1, vcc
.LBB112_496:
	s_or_b64 exec, exec, s[2:3]
	v_or_b32_e32 v47, 0xa80, v0
	v_mov_b32_e32 v43, 0
	v_mov_b32_e32 v45, 0
	v_mov_b32_e32 v44, 0
	v_mov_b32_e32 v46, 0
	v_cmp_gt_u32_e32 vcc, s8, v47
	s_and_saveexec_b64 s[2:3], vcc
	s_cbranch_execz .LBB112_498
; %bb.497:
	v_lshlrev_b32_e32 v45, 1, v47
	global_load_ushort v45, v45, s[0:1]
	s_mov_b32 s9, 0
	v_mov_b32_e32 v46, s9
	s_waitcnt vmcnt(0)
	v_cmp_ne_u16_e32 vcc, 0, v45
	v_cndmask_b32_e64 v45, 0, 1, vcc
.LBB112_498:
	s_or_b64 exec, exec, s[2:3]
	v_or_b32_e32 v47, 0xb00, v0
	v_cmp_gt_u32_e32 vcc, s8, v47
	s_and_saveexec_b64 s[2:3], vcc
	s_cbranch_execz .LBB112_500
; %bb.499:
	v_lshlrev_b32_e32 v43, 1, v47
	global_load_ushort v43, v43, s[0:1]
	s_mov_b32 s9, 0
	v_mov_b32_e32 v44, s9
	s_waitcnt vmcnt(0)
	v_cmp_ne_u16_e32 vcc, 0, v43
	v_cndmask_b32_e64 v43, 0, 1, vcc
.LBB112_500:
	s_or_b64 exec, exec, s[2:3]
	v_or_b32_e32 v51, 0xb80, v0
	v_mov_b32_e32 v47, 0
	v_mov_b32_e32 v49, 0
	v_mov_b32_e32 v48, 0
	v_mov_b32_e32 v50, 0
	v_cmp_gt_u32_e32 vcc, s8, v51
	s_and_saveexec_b64 s[2:3], vcc
	s_cbranch_execz .LBB112_502
; %bb.501:
	v_lshlrev_b32_e32 v49, 1, v51
	global_load_ushort v49, v49, s[0:1]
	s_mov_b32 s9, 0
	v_mov_b32_e32 v50, s9
	s_waitcnt vmcnt(0)
	v_cmp_ne_u16_e32 vcc, 0, v49
	v_cndmask_b32_e64 v49, 0, 1, vcc
.LBB112_502:
	s_or_b64 exec, exec, s[2:3]
	v_or_b32_e32 v51, 0xc00, v0
	v_cmp_gt_u32_e32 vcc, s8, v51
	s_and_saveexec_b64 s[2:3], vcc
	s_cbranch_execz .LBB112_504
; %bb.503:
	v_lshlrev_b32_e32 v47, 1, v51
	global_load_ushort v47, v47, s[0:1]
	s_mov_b32 s9, 0
	v_mov_b32_e32 v48, s9
	s_waitcnt vmcnt(0)
	v_cmp_ne_u16_e32 vcc, 0, v47
	v_cndmask_b32_e64 v47, 0, 1, vcc
.LBB112_504:
	s_or_b64 exec, exec, s[2:3]
	v_or_b32_e32 v55, 0xc80, v0
	v_mov_b32_e32 v51, 0
	v_mov_b32_e32 v53, 0
	v_mov_b32_e32 v52, 0
	v_mov_b32_e32 v54, 0
	v_cmp_gt_u32_e32 vcc, s8, v55
	s_and_saveexec_b64 s[2:3], vcc
	s_cbranch_execz .LBB112_506
; %bb.505:
	v_lshlrev_b32_e32 v53, 1, v55
	global_load_ushort v53, v53, s[0:1]
	s_mov_b32 s9, 0
	v_mov_b32_e32 v54, s9
	s_waitcnt vmcnt(0)
	v_cmp_ne_u16_e32 vcc, 0, v53
	v_cndmask_b32_e64 v53, 0, 1, vcc
.LBB112_506:
	s_or_b64 exec, exec, s[2:3]
	v_or_b32_e32 v55, 0xd00, v0
	v_cmp_gt_u32_e32 vcc, s8, v55
	s_and_saveexec_b64 s[2:3], vcc
	s_cbranch_execz .LBB112_508
; %bb.507:
	v_lshlrev_b32_e32 v51, 1, v55
	global_load_ushort v51, v51, s[0:1]
	s_mov_b32 s9, 0
	v_mov_b32_e32 v52, s9
	s_waitcnt vmcnt(0)
	v_cmp_ne_u16_e32 vcc, 0, v51
	v_cndmask_b32_e64 v51, 0, 1, vcc
.LBB112_508:
	s_or_b64 exec, exec, s[2:3]
	v_or_b32_e32 v59, 0xd80, v0
	v_mov_b32_e32 v55, 0
	v_mov_b32_e32 v57, 0
	v_mov_b32_e32 v56, 0
	v_mov_b32_e32 v58, 0
	v_cmp_gt_u32_e32 vcc, s8, v59
	s_and_saveexec_b64 s[2:3], vcc
	s_cbranch_execz .LBB112_510
; %bb.509:
	v_lshlrev_b32_e32 v57, 1, v59
	global_load_ushort v57, v57, s[0:1]
	s_mov_b32 s9, 0
	v_mov_b32_e32 v58, s9
	s_waitcnt vmcnt(0)
	v_cmp_ne_u16_e32 vcc, 0, v57
	v_cndmask_b32_e64 v57, 0, 1, vcc
.LBB112_510:
	s_or_b64 exec, exec, s[2:3]
	v_or_b32_e32 v59, 0xe00, v0
	v_cmp_gt_u32_e32 vcc, s8, v59
	s_and_saveexec_b64 s[2:3], vcc
	s_cbranch_execz .LBB112_512
; %bb.511:
	v_lshlrev_b32_e32 v55, 1, v59
	global_load_ushort v55, v55, s[0:1]
	s_mov_b32 s9, 0
	v_mov_b32_e32 v56, s9
	s_waitcnt vmcnt(0)
	v_cmp_ne_u16_e32 vcc, 0, v55
	v_cndmask_b32_e64 v55, 0, 1, vcc
.LBB112_512:
	s_or_b64 exec, exec, s[2:3]
	v_or_b32_e32 v63, 0xe80, v0
	v_mov_b32_e32 v59, 0
	v_mov_b32_e32 v61, 0
	v_mov_b32_e32 v60, 0
	v_mov_b32_e32 v62, 0
	v_cmp_gt_u32_e32 vcc, s8, v63
	s_and_saveexec_b64 s[2:3], vcc
	s_cbranch_execz .LBB112_514
; %bb.513:
	v_lshlrev_b32_e32 v61, 1, v63
	global_load_ushort v61, v61, s[0:1]
	s_mov_b32 s9, 0
	v_mov_b32_e32 v62, s9
	s_waitcnt vmcnt(0)
	v_cmp_ne_u16_e32 vcc, 0, v61
	v_cndmask_b32_e64 v61, 0, 1, vcc
.LBB112_514:
	s_or_b64 exec, exec, s[2:3]
	v_or_b32_e32 v63, 0xf00, v0
	v_cmp_gt_u32_e32 vcc, s8, v63
	s_and_saveexec_b64 s[2:3], vcc
	s_cbranch_execz .LBB112_516
; %bb.515:
	v_lshlrev_b32_e32 v59, 1, v63
	global_load_ushort v59, v59, s[0:1]
	s_mov_b32 s9, 0
	v_mov_b32_e32 v60, s9
	s_waitcnt vmcnt(0)
	v_cmp_ne_u16_e32 vcc, 0, v59
	v_cndmask_b32_e64 v59, 0, 1, vcc
.LBB112_516:
	s_or_b64 exec, exec, s[2:3]
	v_or_b32_e32 v65, 0xf80, v0
	v_mov_b32_e32 v63, 0
	v_mov_b32_e32 v64, 0
	v_cmp_gt_u32_e32 vcc, s8, v65
	s_and_saveexec_b64 s[2:3], vcc
	s_cbranch_execz .LBB112_518
; %bb.517:
	v_lshlrev_b32_e32 v63, 1, v65
	global_load_ushort v63, v63, s[0:1]
	s_mov_b32 s0, 0
	v_mov_b32_e32 v64, s0
	s_waitcnt vmcnt(0)
	v_cmp_ne_u16_e32 vcc, 0, v63
	v_cndmask_b32_e64 v63, 0, 1, vcc
.LBB112_518:
	s_or_b64 exec, exec, s[2:3]
	v_add_co_u32_e32 v1, vcc, v5, v1
	v_addc_co_u32_e32 v2, vcc, v6, v2, vcc
	v_add_co_u32_e32 v1, vcc, v1, v3
	v_addc_co_u32_e32 v2, vcc, v2, v4, vcc
	;; [unrolled: 2-line block ×30, first 2 shown]
	v_mbcnt_lo_u32_b32 v3, -1, 0
	v_add_co_u32_e32 v1, vcc, v1, v63
	v_mbcnt_hi_u32_b32 v3, -1, v3
	v_addc_co_u32_e32 v2, vcc, v2, v64, vcc
	v_and_b32_e32 v4, 63, v3
	v_cmp_ne_u32_e32 vcc, 63, v4
	v_addc_co_u32_e32 v6, vcc, 0, v3, vcc
	v_lshlrev_b32_e32 v6, 2, v6
	ds_bpermute_b32 v8, v6, v1
	ds_bpermute_b32 v7, v6, v2
	s_min_u32 s2, s8, 0x80
	v_and_b32_e32 v5, 64, v0
	v_sub_u32_e64 v5, s2, v5 clamp
	v_add_u32_e32 v6, 1, v4
	v_cmp_lt_u32_e32 vcc, v6, v5
	v_mov_b32_e32 v6, v1
	s_and_saveexec_b64 s[0:1], vcc
	s_cbranch_execz .LBB112_520
; %bb.519:
	s_waitcnt lgkmcnt(1)
	v_add_co_u32_e32 v6, vcc, v1, v8
	v_addc_co_u32_e32 v2, vcc, 0, v2, vcc
	v_add_co_u32_e32 v1, vcc, 0, v6
	s_waitcnt lgkmcnt(0)
	v_addc_co_u32_e32 v2, vcc, v7, v2, vcc
.LBB112_520:
	s_or_b64 exec, exec, s[0:1]
	v_cmp_gt_u32_e32 vcc, 62, v4
	s_waitcnt lgkmcnt(0)
	v_cndmask_b32_e64 v7, 0, 2, vcc
	v_add_lshl_u32 v7, v7, v3, 2
	ds_bpermute_b32 v8, v7, v6
	ds_bpermute_b32 v7, v7, v2
	v_add_u32_e32 v9, 2, v4
	v_cmp_lt_u32_e32 vcc, v9, v5
	s_and_saveexec_b64 s[0:1], vcc
	s_cbranch_execz .LBB112_522
; %bb.521:
	s_waitcnt lgkmcnt(1)
	v_add_co_u32_e32 v6, vcc, v1, v8
	v_addc_co_u32_e32 v2, vcc, 0, v2, vcc
	v_add_co_u32_e32 v1, vcc, 0, v6
	s_waitcnt lgkmcnt(0)
	v_addc_co_u32_e32 v2, vcc, v7, v2, vcc
.LBB112_522:
	s_or_b64 exec, exec, s[0:1]
	v_cmp_gt_u32_e32 vcc, 60, v4
	s_waitcnt lgkmcnt(0)
	v_cndmask_b32_e64 v7, 0, 4, vcc
	v_add_lshl_u32 v7, v7, v3, 2
	ds_bpermute_b32 v8, v7, v6
	ds_bpermute_b32 v7, v7, v2
	v_add_u32_e32 v9, 4, v4
	v_cmp_lt_u32_e32 vcc, v9, v5
	;; [unrolled: 19-line block ×4, first 2 shown]
	s_and_saveexec_b64 s[0:1], vcc
	s_cbranch_execz .LBB112_528
; %bb.527:
	s_waitcnt lgkmcnt(1)
	v_add_co_u32_e32 v6, vcc, v1, v8
	v_addc_co_u32_e32 v2, vcc, 0, v2, vcc
	v_add_co_u32_e32 v1, vcc, 0, v6
	s_waitcnt lgkmcnt(0)
	v_addc_co_u32_e32 v2, vcc, v7, v2, vcc
.LBB112_528:
	s_or_b64 exec, exec, s[0:1]
	s_waitcnt lgkmcnt(0)
	v_lshlrev_b32_e32 v7, 2, v3
	v_or_b32_e32 v8, 0x80, v7
	ds_bpermute_b32 v6, v8, v6
	ds_bpermute_b32 v8, v8, v2
	v_add_u32_e32 v4, 32, v4
	s_waitcnt lgkmcnt(1)
	v_add_co_u32_e32 v6, vcc, v1, v6
	v_addc_co_u32_e32 v9, vcc, 0, v2, vcc
	v_add_co_u32_e32 v6, vcc, 0, v6
	s_waitcnt lgkmcnt(0)
	v_addc_co_u32_e32 v8, vcc, v9, v8, vcc
	v_cmp_lt_u32_e32 vcc, v4, v5
	v_cndmask_b32_e32 v2, v2, v8, vcc
	v_cndmask_b32_e32 v1, v1, v6, vcc
	v_cmp_eq_u32_e32 vcc, 0, v3
	s_and_saveexec_b64 s[0:1], vcc
; %bb.529:
	v_lshrrev_b32_e32 v4, 3, v0
	v_and_b32_e32 v4, 8, v4
	ds_write_b64 v4, v[1:2] offset:128
; %bb.530:
	s_or_b64 exec, exec, s[0:1]
	v_cmp_gt_u32_e32 vcc, 2, v0
	s_waitcnt lgkmcnt(0)
	s_barrier
	s_and_saveexec_b64 s[0:1], vcc
	s_cbranch_execz .LBB112_532
; %bb.531:
	v_lshlrev_b32_e32 v1, 3, v3
	ds_read_b64 v[1:2], v1 offset:128
	v_or_b32_e32 v4, 4, v7
	s_add_i32 s2, s2, 63
	v_and_b32_e32 v3, 1, v3
	s_lshr_b32 s2, s2, 6
	s_waitcnt lgkmcnt(0)
	ds_bpermute_b32 v5, v4, v2
	ds_bpermute_b32 v4, v4, v1
	v_add_u32_e32 v3, 1, v3
	v_cmp_gt_u32_e32 vcc, s2, v3
	s_waitcnt lgkmcnt(1)
	v_cndmask_b32_e32 v3, 0, v5, vcc
	s_waitcnt lgkmcnt(0)
	v_cndmask_b32_e32 v4, 0, v4, vcc
	v_add_co_u32_e32 v1, vcc, v4, v1
	v_addc_co_u32_e32 v2, vcc, v3, v2, vcc
.LBB112_532:
	s_or_b64 exec, exec, s[0:1]
.LBB112_533:
	v_mov_b32_e32 v3, s6
	v_cmp_eq_u32_e64 s[2:3], 0, v0
	v_mov_b32_e32 v4, s7
	s_branch .LBB112_591
.LBB112_534:
	s_cmp_eq_u32 s26, 16
                                        ; implicit-def: $vgpr1_vgpr2
                                        ; implicit-def: $vgpr3_vgpr4
	s_cbranch_scc0 .LBB112_591
; %bb.535:
	s_mov_b32 s7, 0
	s_lshl_b32 s2, s6, 11
	s_mov_b32 s3, s7
	s_lshr_b64 s[8:9], s[20:21], 11
	s_lshl_b64 s[0:1], s[2:3], 1
	s_add_u32 s0, s18, s0
	s_addc_u32 s1, s19, s1
	s_cmp_lg_u64 s[8:9], s[6:7]
	s_cbranch_scc0 .LBB112_541
; %bb.536:
	v_lshlrev_b32_e32 v1, 1, v0
	global_load_ushort v2, v1, s[0:1] offset:768
	global_load_ushort v3, v1, s[0:1] offset:1024
	;; [unrolled: 1-line block ×14, first 2 shown]
	global_load_ushort v16, v1, s[0:1]
	s_nop 0
	global_load_ushort v1, v1, s[0:1] offset:512
	v_mov_b32_e32 v17, 0
	s_waitcnt vmcnt(15)
	v_cmp_ne_u16_e32 vcc, 0, v2
	v_cndmask_b32_e64 v2, 0, 1, vcc
	s_waitcnt vmcnt(14)
	v_cmp_ne_u16_e32 vcc, 0, v3
	v_cndmask_b32_e64 v3, 0, 1, vcc
	;; [unrolled: 3-line block ×15, first 2 shown]
	s_waitcnt vmcnt(0)
	v_cmp_ne_u16_e32 vcc, 0, v1
	v_addc_co_u32_e32 v1, vcc, v15, v16, vcc
	v_add_co_u32_e32 v1, vcc, v1, v2
	v_addc_co_u32_e64 v2, s[8:9], 0, 0, vcc
	v_add_co_u32_e32 v1, vcc, v1, v3
	v_addc_co_u32_e32 v2, vcc, 0, v2, vcc
	v_add_co_u32_e32 v1, vcc, v1, v4
	v_addc_co_u32_e32 v2, vcc, 0, v2, vcc
	;; [unrolled: 2-line block ×12, first 2 shown]
	s_nop 0
	v_mov_b32_dpp v4, v1 quad_perm:[1,0,3,2] row_mask:0xf bank_mask:0xf bound_ctrl:1
	v_add_co_u32_e32 v1, vcc, v1, v4
	v_addc_co_u32_e32 v2, vcc, 0, v2, vcc
	v_mov_b32_dpp v5, v17 quad_perm:[1,0,3,2] row_mask:0xf bank_mask:0xf bound_ctrl:1
	v_add_co_u32_e32 v4, vcc, 0, v1
	v_addc_co_u32_e32 v2, vcc, v5, v2, vcc
	v_mov_b32_dpp v1, v1 quad_perm:[2,3,0,1] row_mask:0xf bank_mask:0xf bound_ctrl:1
	v_add_co_u32_e32 v1, vcc, v4, v1
	v_mov_b32_dpp v5, v2 quad_perm:[2,3,0,1] row_mask:0xf bank_mask:0xf bound_ctrl:1
	v_addc_co_u32_e32 v2, vcc, 0, v2, vcc
	v_add_co_u32_e32 v4, vcc, 0, v1
	v_addc_co_u32_e32 v2, vcc, v2, v5, vcc
	v_mov_b32_dpp v1, v1 row_ror:4 row_mask:0xf bank_mask:0xf bound_ctrl:1
	v_add_co_u32_e32 v1, vcc, v4, v1
	v_mov_b32_dpp v5, v2 row_ror:4 row_mask:0xf bank_mask:0xf bound_ctrl:1
	v_addc_co_u32_e32 v2, vcc, 0, v2, vcc
	v_add_co_u32_e32 v4, vcc, 0, v1
	v_addc_co_u32_e32 v2, vcc, v2, v5, vcc
	v_mov_b32_dpp v1, v1 row_ror:8 row_mask:0xf bank_mask:0xf bound_ctrl:1
	v_add_co_u32_e32 v1, vcc, v4, v1
	v_mov_b32_dpp v5, v2 row_ror:8 row_mask:0xf bank_mask:0xf bound_ctrl:1
	v_addc_co_u32_e32 v2, vcc, 0, v2, vcc
	v_add_co_u32_e32 v4, vcc, 0, v1
	v_addc_co_u32_e32 v2, vcc, v2, v5, vcc
	v_mov_b32_dpp v1, v1 row_bcast:15 row_mask:0xf bank_mask:0xf bound_ctrl:1
	v_add_co_u32_e32 v1, vcc, v4, v1
	v_mov_b32_dpp v5, v2 row_bcast:15 row_mask:0xf bank_mask:0xf bound_ctrl:1
	v_addc_co_u32_e32 v2, vcc, 0, v2, vcc
	v_add_co_u32_e32 v4, vcc, 0, v1
	v_addc_co_u32_e32 v2, vcc, v2, v5, vcc
	v_mov_b32_dpp v1, v1 row_bcast:31 row_mask:0xf bank_mask:0xf bound_ctrl:1
	v_mbcnt_lo_u32_b32 v3, -1, 0
	v_add_co_u32_e32 v1, vcc, v4, v1
	v_mbcnt_hi_u32_b32 v3, -1, v3
	v_addc_co_u32_e32 v4, vcc, 0, v2, vcc
	v_cmp_eq_u32_e32 vcc, 0, v3
	s_nop 0
	v_add_u32_dpp v2, v2, v4 row_bcast:31 row_mask:0xf bank_mask:0xf bound_ctrl:1
	v_lshlrev_b32_e32 v4, 2, v3
	v_or_b32_e32 v5, 0xfc, v4
	ds_bpermute_b32 v1, v5, v1
	ds_bpermute_b32 v2, v5, v2
	s_and_saveexec_b64 s[8:9], vcc
	s_cbranch_execz .LBB112_538
; %bb.537:
	v_lshrrev_b32_e32 v5, 3, v0
	v_and_b32_e32 v5, 8, v5
	s_waitcnt lgkmcnt(0)
	ds_write_b64 v5, v[1:2] offset:16
.LBB112_538:
	s_or_b64 exec, exec, s[8:9]
	v_cmp_gt_u32_e32 vcc, 64, v0
	s_waitcnt lgkmcnt(0)
	s_barrier
	s_and_saveexec_b64 s[8:9], vcc
	s_cbranch_execz .LBB112_540
; %bb.539:
	v_and_b32_e32 v1, 1, v3
	v_lshlrev_b32_e32 v1, 3, v1
	ds_read_b64 v[1:2], v1 offset:16
	v_or_b32_e32 v3, 4, v4
	s_waitcnt lgkmcnt(0)
	ds_bpermute_b32 v4, v3, v1
	ds_bpermute_b32 v3, v3, v2
	s_waitcnt lgkmcnt(1)
	v_add_co_u32_e32 v1, vcc, v1, v4
	v_addc_co_u32_e32 v2, vcc, 0, v2, vcc
	v_add_co_u32_e32 v1, vcc, 0, v1
	s_waitcnt lgkmcnt(0)
	v_addc_co_u32_e32 v2, vcc, v2, v3, vcc
.LBB112_540:
	s_or_b64 exec, exec, s[8:9]
	s_mov_b64 s[8:9], 0
	s_branch .LBB112_542
.LBB112_541:
	s_mov_b64 s[8:9], -1
                                        ; implicit-def: $vgpr1_vgpr2
.LBB112_542:
	s_and_b64 vcc, exec, s[8:9]
	s_cbranch_vccz .LBB112_590
; %bb.543:
	s_sub_i32 s8, s20, s2
	v_cmp_gt_u32_e32 vcc, s8, v0
                                        ; implicit-def: $vgpr1_vgpr2
	s_and_saveexec_b64 s[2:3], vcc
	s_cbranch_execz .LBB112_545
; %bb.544:
	v_lshlrev_b32_e32 v1, 1, v0
	global_load_ushort v1, v1, s[0:1]
	s_mov_b32 s9, 0
	v_mov_b32_e32 v2, s9
	s_waitcnt vmcnt(0)
	v_cmp_ne_u16_e32 vcc, 0, v1
	v_cndmask_b32_e64 v1, 0, 1, vcc
.LBB112_545:
	s_or_b64 exec, exec, s[2:3]
	v_or_b32_e32 v7, 0x80, v0
	v_mov_b32_e32 v3, 0
	v_mov_b32_e32 v5, 0
	v_mov_b32_e32 v4, 0
	v_mov_b32_e32 v6, 0
	v_cmp_gt_u32_e32 vcc, s8, v7
	s_and_saveexec_b64 s[2:3], vcc
	s_cbranch_execz .LBB112_547
; %bb.546:
	v_lshlrev_b32_e32 v5, 1, v0
	global_load_ushort v5, v5, s[0:1] offset:256
	s_mov_b32 s9, 0
	v_mov_b32_e32 v6, s9
	s_waitcnt vmcnt(0)
	v_cmp_ne_u16_e32 vcc, 0, v5
	v_cndmask_b32_e64 v5, 0, 1, vcc
.LBB112_547:
	s_or_b64 exec, exec, s[2:3]
	v_or_b32_e32 v7, 0x100, v0
	v_cmp_gt_u32_e32 vcc, s8, v7
	s_and_saveexec_b64 s[2:3], vcc
	s_cbranch_execz .LBB112_549
; %bb.548:
	v_lshlrev_b32_e32 v3, 1, v0
	global_load_ushort v3, v3, s[0:1] offset:512
	s_mov_b32 s9, 0
	v_mov_b32_e32 v4, s9
	s_waitcnt vmcnt(0)
	v_cmp_ne_u16_e32 vcc, 0, v3
	v_cndmask_b32_e64 v3, 0, 1, vcc
.LBB112_549:
	s_or_b64 exec, exec, s[2:3]
	v_or_b32_e32 v11, 0x180, v0
	v_mov_b32_e32 v7, 0
	v_mov_b32_e32 v9, 0
	v_mov_b32_e32 v8, 0
	v_mov_b32_e32 v10, 0
	v_cmp_gt_u32_e32 vcc, s8, v11
	s_and_saveexec_b64 s[2:3], vcc
	s_cbranch_execz .LBB112_551
; %bb.550:
	v_lshlrev_b32_e32 v9, 1, v0
	global_load_ushort v9, v9, s[0:1] offset:768
	s_mov_b32 s9, 0
	v_mov_b32_e32 v10, s9
	s_waitcnt vmcnt(0)
	v_cmp_ne_u16_e32 vcc, 0, v9
	v_cndmask_b32_e64 v9, 0, 1, vcc
.LBB112_551:
	s_or_b64 exec, exec, s[2:3]
	v_or_b32_e32 v11, 0x200, v0
	v_cmp_gt_u32_e32 vcc, s8, v11
	s_and_saveexec_b64 s[2:3], vcc
	s_cbranch_execz .LBB112_553
; %bb.552:
	v_lshlrev_b32_e32 v7, 1, v0
	global_load_ushort v7, v7, s[0:1] offset:1024
	s_mov_b32 s9, 0
	v_mov_b32_e32 v8, s9
	s_waitcnt vmcnt(0)
	v_cmp_ne_u16_e32 vcc, 0, v7
	v_cndmask_b32_e64 v7, 0, 1, vcc
.LBB112_553:
	;; [unrolled: 32-line block ×7, first 2 shown]
	s_or_b64 exec, exec, s[2:3]
	v_or_b32_e32 v33, 0x780, v0
	v_mov_b32_e32 v31, 0
	v_mov_b32_e32 v32, 0
	v_cmp_gt_u32_e32 vcc, s8, v33
	s_and_saveexec_b64 s[2:3], vcc
	s_cbranch_execz .LBB112_575
; %bb.574:
	v_lshlrev_b32_e32 v31, 1, v0
	global_load_ushort v31, v31, s[0:1] offset:3840
	s_mov_b32 s0, 0
	v_mov_b32_e32 v32, s0
	s_waitcnt vmcnt(0)
	v_cmp_ne_u16_e32 vcc, 0, v31
	v_cndmask_b32_e64 v31, 0, 1, vcc
.LBB112_575:
	s_or_b64 exec, exec, s[2:3]
	v_add_co_u32_e32 v1, vcc, v5, v1
	v_addc_co_u32_e32 v2, vcc, v6, v2, vcc
	v_add_co_u32_e32 v1, vcc, v1, v3
	v_addc_co_u32_e32 v2, vcc, v2, v4, vcc
	;; [unrolled: 2-line block ×14, first 2 shown]
	v_mbcnt_lo_u32_b32 v3, -1, 0
	v_add_co_u32_e32 v1, vcc, v1, v31
	v_mbcnt_hi_u32_b32 v3, -1, v3
	v_addc_co_u32_e32 v2, vcc, v2, v32, vcc
	v_and_b32_e32 v4, 63, v3
	v_cmp_ne_u32_e32 vcc, 63, v4
	v_addc_co_u32_e32 v6, vcc, 0, v3, vcc
	v_lshlrev_b32_e32 v6, 2, v6
	ds_bpermute_b32 v8, v6, v1
	ds_bpermute_b32 v7, v6, v2
	s_min_u32 s2, s8, 0x80
	v_and_b32_e32 v5, 64, v0
	v_sub_u32_e64 v5, s2, v5 clamp
	v_add_u32_e32 v6, 1, v4
	v_cmp_lt_u32_e32 vcc, v6, v5
	v_mov_b32_e32 v6, v1
	s_and_saveexec_b64 s[0:1], vcc
	s_cbranch_execz .LBB112_577
; %bb.576:
	s_waitcnt lgkmcnt(1)
	v_add_co_u32_e32 v6, vcc, v1, v8
	v_addc_co_u32_e32 v2, vcc, 0, v2, vcc
	v_add_co_u32_e32 v1, vcc, 0, v6
	s_waitcnt lgkmcnt(0)
	v_addc_co_u32_e32 v2, vcc, v7, v2, vcc
.LBB112_577:
	s_or_b64 exec, exec, s[0:1]
	v_cmp_gt_u32_e32 vcc, 62, v4
	s_waitcnt lgkmcnt(0)
	v_cndmask_b32_e64 v7, 0, 2, vcc
	v_add_lshl_u32 v7, v7, v3, 2
	ds_bpermute_b32 v8, v7, v6
	ds_bpermute_b32 v7, v7, v2
	v_add_u32_e32 v9, 2, v4
	v_cmp_lt_u32_e32 vcc, v9, v5
	s_and_saveexec_b64 s[0:1], vcc
	s_cbranch_execz .LBB112_579
; %bb.578:
	s_waitcnt lgkmcnt(1)
	v_add_co_u32_e32 v6, vcc, v1, v8
	v_addc_co_u32_e32 v2, vcc, 0, v2, vcc
	v_add_co_u32_e32 v1, vcc, 0, v6
	s_waitcnt lgkmcnt(0)
	v_addc_co_u32_e32 v2, vcc, v7, v2, vcc
.LBB112_579:
	s_or_b64 exec, exec, s[0:1]
	v_cmp_gt_u32_e32 vcc, 60, v4
	s_waitcnt lgkmcnt(0)
	v_cndmask_b32_e64 v7, 0, 4, vcc
	v_add_lshl_u32 v7, v7, v3, 2
	ds_bpermute_b32 v8, v7, v6
	ds_bpermute_b32 v7, v7, v2
	v_add_u32_e32 v9, 4, v4
	v_cmp_lt_u32_e32 vcc, v9, v5
	;; [unrolled: 19-line block ×4, first 2 shown]
	s_and_saveexec_b64 s[0:1], vcc
	s_cbranch_execz .LBB112_585
; %bb.584:
	s_waitcnt lgkmcnt(1)
	v_add_co_u32_e32 v6, vcc, v1, v8
	v_addc_co_u32_e32 v2, vcc, 0, v2, vcc
	v_add_co_u32_e32 v1, vcc, 0, v6
	s_waitcnt lgkmcnt(0)
	v_addc_co_u32_e32 v2, vcc, v7, v2, vcc
.LBB112_585:
	s_or_b64 exec, exec, s[0:1]
	s_waitcnt lgkmcnt(0)
	v_lshlrev_b32_e32 v7, 2, v3
	v_or_b32_e32 v8, 0x80, v7
	ds_bpermute_b32 v6, v8, v6
	ds_bpermute_b32 v8, v8, v2
	v_add_u32_e32 v4, 32, v4
	s_waitcnt lgkmcnt(1)
	v_add_co_u32_e32 v6, vcc, v1, v6
	v_addc_co_u32_e32 v9, vcc, 0, v2, vcc
	v_add_co_u32_e32 v6, vcc, 0, v6
	s_waitcnt lgkmcnt(0)
	v_addc_co_u32_e32 v8, vcc, v9, v8, vcc
	v_cmp_lt_u32_e32 vcc, v4, v5
	v_cndmask_b32_e32 v2, v2, v8, vcc
	v_cndmask_b32_e32 v1, v1, v6, vcc
	v_cmp_eq_u32_e32 vcc, 0, v3
	s_and_saveexec_b64 s[0:1], vcc
; %bb.586:
	v_lshrrev_b32_e32 v4, 3, v0
	v_and_b32_e32 v4, 8, v4
	ds_write_b64 v4, v[1:2] offset:128
; %bb.587:
	s_or_b64 exec, exec, s[0:1]
	v_cmp_gt_u32_e32 vcc, 2, v0
	s_waitcnt lgkmcnt(0)
	s_barrier
	s_and_saveexec_b64 s[0:1], vcc
	s_cbranch_execz .LBB112_589
; %bb.588:
	v_lshlrev_b32_e32 v1, 3, v3
	ds_read_b64 v[1:2], v1 offset:128
	v_or_b32_e32 v4, 4, v7
	s_add_i32 s2, s2, 63
	v_and_b32_e32 v3, 1, v3
	s_lshr_b32 s2, s2, 6
	s_waitcnt lgkmcnt(0)
	ds_bpermute_b32 v5, v4, v2
	ds_bpermute_b32 v4, v4, v1
	v_add_u32_e32 v3, 1, v3
	v_cmp_gt_u32_e32 vcc, s2, v3
	s_waitcnt lgkmcnt(1)
	v_cndmask_b32_e32 v3, 0, v5, vcc
	s_waitcnt lgkmcnt(0)
	v_cndmask_b32_e32 v4, 0, v4, vcc
	v_add_co_u32_e32 v1, vcc, v4, v1
	v_addc_co_u32_e32 v2, vcc, v3, v2, vcc
.LBB112_589:
	s_or_b64 exec, exec, s[0:1]
.LBB112_590:
	v_mov_b32_e32 v3, s6
	v_cmp_eq_u32_e64 s[2:3], 0, v0
	v_mov_b32_e32 v4, s7
.LBB112_591:
	s_branch .LBB112_731
.LBB112_592:
	s_cmp_gt_i32 s26, 3
	s_cbranch_scc0 .LBB112_601
; %bb.593:
	s_cmp_gt_i32 s26, 7
	s_cbranch_scc0 .LBB112_602
; %bb.594:
	s_cmp_eq_u32 s26, 8
                                        ; implicit-def: $vgpr1_vgpr2
                                        ; implicit-def: $vgpr3_vgpr4
	s_cbranch_scc0 .LBB112_603
; %bb.595:
	s_mov_b32 s7, 0
	s_lshl_b32 s0, s6, 10
	s_mov_b32 s1, s7
	s_lshr_b64 s[2:3], s[20:21], 10
	s_lshl_b64 s[8:9], s[0:1], 1
	s_add_u32 s16, s18, s8
	s_addc_u32 s17, s19, s9
	s_cmp_lg_u64 s[2:3], s[6:7]
	s_cbranch_scc0 .LBB112_604
; %bb.596:
	v_lshlrev_b32_e32 v1, 1, v0
	global_load_ushort v2, v1, s[16:17] offset:768
	global_load_ushort v4, v1, s[16:17] offset:1024
	;; [unrolled: 1-line block ×6, first 2 shown]
	global_load_ushort v9, v1, s[16:17]
	global_load_ushort v10, v1, s[16:17] offset:512
	v_mov_b32_e32 v1, 0
	v_mbcnt_lo_u32_b32 v3, -1, 0
	v_mbcnt_hi_u32_b32 v3, -1, v3
	v_mov_b32_dpp v1, v1 quad_perm:[1,0,3,2] row_mask:0xf bank_mask:0xf bound_ctrl:1
	s_waitcnt vmcnt(7)
	v_cmp_ne_u16_e32 vcc, 0, v2
	v_cndmask_b32_e64 v2, 0, 1, vcc
	s_waitcnt vmcnt(6)
	v_cmp_ne_u16_e32 vcc, 0, v4
	v_cndmask_b32_e64 v4, 0, 1, vcc
	;; [unrolled: 3-line block ×7, first 2 shown]
	s_waitcnt vmcnt(0)
	v_cmp_ne_u16_e32 vcc, 0, v10
	v_addc_co_u32_e32 v8, vcc, v8, v9, vcc
	v_add_co_u32_e32 v2, vcc, v8, v2
	v_addc_co_u32_e64 v8, s[2:3], 0, 0, vcc
	v_add_co_u32_e32 v2, vcc, v2, v4
	v_addc_co_u32_e32 v4, vcc, 0, v8, vcc
	v_add_co_u32_e32 v2, vcc, v2, v5
	v_addc_co_u32_e32 v4, vcc, 0, v4, vcc
	;; [unrolled: 2-line block ×4, first 2 shown]
	s_nop 0
	v_mov_b32_dpp v5, v2 quad_perm:[1,0,3,2] row_mask:0xf bank_mask:0xf bound_ctrl:1
	v_add_co_u32_e32 v2, vcc, v2, v5
	v_addc_co_u32_e32 v4, vcc, 0, v4, vcc
	v_add_co_u32_e32 v5, vcc, 0, v2
	v_addc_co_u32_e32 v1, vcc, v1, v4, vcc
	v_mov_b32_dpp v2, v2 quad_perm:[2,3,0,1] row_mask:0xf bank_mask:0xf bound_ctrl:1
	v_add_co_u32_e32 v2, vcc, v5, v2
	v_mov_b32_dpp v4, v1 quad_perm:[2,3,0,1] row_mask:0xf bank_mask:0xf bound_ctrl:1
	v_addc_co_u32_e32 v1, vcc, 0, v1, vcc
	v_add_co_u32_e32 v5, vcc, 0, v2
	v_addc_co_u32_e32 v1, vcc, v1, v4, vcc
	v_mov_b32_dpp v2, v2 row_ror:4 row_mask:0xf bank_mask:0xf bound_ctrl:1
	v_add_co_u32_e32 v2, vcc, v5, v2
	v_mov_b32_dpp v4, v1 row_ror:4 row_mask:0xf bank_mask:0xf bound_ctrl:1
	v_addc_co_u32_e32 v1, vcc, 0, v1, vcc
	v_add_co_u32_e32 v5, vcc, 0, v2
	v_addc_co_u32_e32 v1, vcc, v1, v4, vcc
	v_mov_b32_dpp v2, v2 row_ror:8 row_mask:0xf bank_mask:0xf bound_ctrl:1
	v_add_co_u32_e32 v2, vcc, v5, v2
	v_mov_b32_dpp v4, v1 row_ror:8 row_mask:0xf bank_mask:0xf bound_ctrl:1
	v_addc_co_u32_e32 v1, vcc, 0, v1, vcc
	v_add_co_u32_e32 v5, vcc, 0, v2
	v_addc_co_u32_e32 v1, vcc, v1, v4, vcc
	v_mov_b32_dpp v2, v2 row_bcast:15 row_mask:0xf bank_mask:0xf bound_ctrl:1
	v_add_co_u32_e32 v2, vcc, v5, v2
	v_mov_b32_dpp v4, v1 row_bcast:15 row_mask:0xf bank_mask:0xf bound_ctrl:1
	v_addc_co_u32_e32 v1, vcc, 0, v1, vcc
	v_add_co_u32_e32 v5, vcc, 0, v2
	v_addc_co_u32_e32 v1, vcc, v1, v4, vcc
	v_mov_b32_dpp v2, v2 row_bcast:31 row_mask:0xf bank_mask:0xf bound_ctrl:1
	v_add_co_u32_e32 v2, vcc, v5, v2
	v_addc_co_u32_e32 v4, vcc, 0, v1, vcc
	v_cmp_eq_u32_e32 vcc, 0, v3
	s_nop 0
	v_add_u32_dpp v5, v1, v4 row_bcast:31 row_mask:0xf bank_mask:0xf bound_ctrl:1
	v_lshlrev_b32_e32 v4, 2, v3
	v_or_b32_e32 v6, 0xfc, v4
	ds_bpermute_b32 v1, v6, v2
	ds_bpermute_b32 v2, v6, v5
	s_and_saveexec_b64 s[2:3], vcc
	s_cbranch_execz .LBB112_598
; %bb.597:
	v_lshrrev_b32_e32 v5, 3, v0
	v_and_b32_e32 v5, 8, v5
	s_waitcnt lgkmcnt(0)
	ds_write_b64 v5, v[1:2] offset:112
.LBB112_598:
	s_or_b64 exec, exec, s[2:3]
	v_cmp_gt_u32_e32 vcc, 64, v0
	s_waitcnt lgkmcnt(0)
	s_barrier
	s_and_saveexec_b64 s[2:3], vcc
	s_cbranch_execz .LBB112_600
; %bb.599:
	v_and_b32_e32 v1, 1, v3
	v_lshlrev_b32_e32 v1, 3, v1
	ds_read_b64 v[1:2], v1 offset:112
	v_or_b32_e32 v3, 4, v4
	s_waitcnt lgkmcnt(0)
	ds_bpermute_b32 v4, v3, v1
	ds_bpermute_b32 v3, v3, v2
	s_waitcnt lgkmcnt(1)
	v_add_co_u32_e32 v1, vcc, v1, v4
	v_addc_co_u32_e32 v2, vcc, 0, v2, vcc
	v_add_co_u32_e32 v1, vcc, 0, v1
	s_waitcnt lgkmcnt(0)
	v_addc_co_u32_e32 v2, vcc, v2, v3, vcc
.LBB112_600:
	s_or_b64 exec, exec, s[2:3]
	s_mov_b64 s[2:3], 0
	s_branch .LBB112_605
.LBB112_601:
                                        ; implicit-def: $vgpr1_vgpr2
                                        ; implicit-def: $vgpr3_vgpr4
	s_cbranch_execnz .LBB112_672
	s_branch .LBB112_731
.LBB112_602:
                                        ; implicit-def: $vgpr1_vgpr2
                                        ; implicit-def: $vgpr3_vgpr4
	s_cbranch_execnz .LBB112_638
	s_branch .LBB112_671
.LBB112_603:
	s_branch .LBB112_671
.LBB112_604:
	s_mov_b64 s[2:3], -1
                                        ; implicit-def: $vgpr1_vgpr2
.LBB112_605:
	s_and_b64 vcc, exec, s[2:3]
	s_cbranch_vccz .LBB112_637
; %bb.606:
	s_sub_i32 s27, s20, s0
	v_mov_b32_e32 v1, 0
	v_cmp_gt_u32_e32 vcc, s27, v0
	v_mov_b32_e32 v2, v1
	v_mov_b32_e32 v3, v1
	;; [unrolled: 1-line block ×15, first 2 shown]
	s_and_saveexec_b64 s[0:1], vcc
	s_cbranch_execz .LBB112_608
; %bb.607:
	v_lshlrev_b32_e32 v2, 1, v0
	global_load_ushort v17, v2, s[16:17]
	v_mov_b32_e32 v2, v1
	v_mov_b32_e32 v3, v1
	;; [unrolled: 1-line block ×15, first 2 shown]
	s_waitcnt vmcnt(0)
	v_cmp_ne_u16_e32 vcc, 0, v17
	v_cndmask_b32_e64 v1, 0, 1, vcc
	v_and_b32_e32 v1, 0xffff, v1
.LBB112_608:
	s_or_b64 exec, exec, s[0:1]
	v_or_b32_e32 v17, 0x80, v0
	v_cmp_gt_u32_e32 vcc, s27, v17
	s_and_saveexec_b64 s[2:3], vcc
	s_cbranch_execz .LBB112_610
; %bb.609:
	v_lshlrev_b32_e32 v3, 1, v0
	global_load_ushort v3, v3, s[16:17] offset:256
	s_mov_b32 s8, 0
	v_mov_b32_e32 v4, s8
	s_waitcnt vmcnt(0)
	v_cmp_ne_u16_e64 s[0:1], 0, v3
	v_cndmask_b32_e64 v3, 0, 1, s[0:1]
.LBB112_610:
	s_or_b64 exec, exec, s[2:3]
	v_or_b32_e32 v17, 0x100, v0
	v_cmp_gt_u32_e64 s[0:1], s27, v17
	s_and_saveexec_b64 s[8:9], s[0:1]
	s_cbranch_execz .LBB112_612
; %bb.611:
	v_lshlrev_b32_e32 v5, 1, v0
	global_load_ushort v5, v5, s[16:17] offset:512
	s_mov_b32 s10, 0
	v_mov_b32_e32 v6, s10
	s_waitcnt vmcnt(0)
	v_cmp_ne_u16_e64 s[2:3], 0, v5
	v_cndmask_b32_e64 v5, 0, 1, s[2:3]
.LBB112_612:
	s_or_b64 exec, exec, s[8:9]
	v_or_b32_e32 v17, 0x180, v0
	v_cmp_gt_u32_e64 s[2:3], s27, v17
	s_and_saveexec_b64 s[10:11], s[2:3]
	;; [unrolled: 14-line block ×6, first 2 shown]
	s_cbranch_execz .LBB112_622
; %bb.621:
	v_lshlrev_b32_e32 v15, 1, v0
	global_load_ushort v15, v15, s[16:17] offset:1792
	s_mov_b32 s28, 0
	v_mov_b32_e32 v16, s28
	s_waitcnt vmcnt(0)
	v_cmp_ne_u16_e64 s[16:17], 0, v15
	v_cndmask_b32_e64 v15, 0, 1, s[16:17]
.LBB112_622:
	s_or_b64 exec, exec, s[24:25]
	v_cndmask_b32_e32 v3, 0, v3, vcc
	v_cndmask_b32_e32 v4, 0, v4, vcc
	v_add_co_u32_e32 v1, vcc, v3, v1
	v_addc_co_u32_e32 v2, vcc, v4, v2, vcc
	v_cndmask_b32_e64 v4, 0, v5, s[0:1]
	v_cndmask_b32_e64 v3, 0, v6, s[0:1]
	v_add_co_u32_e32 v1, vcc, v1, v4
	v_addc_co_u32_e32 v2, vcc, v2, v3, vcc
	v_cndmask_b32_e64 v4, 0, v7, s[2:3]
	v_cndmask_b32_e64 v3, 0, v8, s[2:3]
	;; [unrolled: 4-line block ×6, first 2 shown]
	v_add_co_u32_e32 v1, vcc, v1, v4
	v_addc_co_u32_e32 v2, vcc, v2, v3, vcc
	v_mbcnt_lo_u32_b32 v3, -1, 0
	v_mbcnt_hi_u32_b32 v3, -1, v3
	v_and_b32_e32 v4, 63, v3
	v_cmp_ne_u32_e32 vcc, 63, v4
	v_addc_co_u32_e32 v6, vcc, 0, v3, vcc
	v_lshlrev_b32_e32 v6, 2, v6
	ds_bpermute_b32 v8, v6, v1
	ds_bpermute_b32 v7, v6, v2
	s_min_u32 s2, s27, 0x80
	v_and_b32_e32 v5, 64, v0
	v_sub_u32_e64 v5, s2, v5 clamp
	v_add_u32_e32 v6, 1, v4
	v_cmp_lt_u32_e32 vcc, v6, v5
	v_mov_b32_e32 v6, v1
	s_and_saveexec_b64 s[0:1], vcc
	s_cbranch_execz .LBB112_624
; %bb.623:
	s_waitcnt lgkmcnt(1)
	v_add_co_u32_e32 v6, vcc, v1, v8
	v_addc_co_u32_e32 v2, vcc, 0, v2, vcc
	v_add_co_u32_e32 v1, vcc, 0, v6
	s_waitcnt lgkmcnt(0)
	v_addc_co_u32_e32 v2, vcc, v2, v7, vcc
.LBB112_624:
	s_or_b64 exec, exec, s[0:1]
	v_cmp_gt_u32_e32 vcc, 62, v4
	s_waitcnt lgkmcnt(0)
	v_cndmask_b32_e64 v7, 0, 2, vcc
	v_add_lshl_u32 v7, v7, v3, 2
	ds_bpermute_b32 v8, v7, v6
	ds_bpermute_b32 v7, v7, v2
	v_add_u32_e32 v9, 2, v4
	v_cmp_lt_u32_e32 vcc, v9, v5
	s_and_saveexec_b64 s[0:1], vcc
	s_cbranch_execz .LBB112_626
; %bb.625:
	s_waitcnt lgkmcnt(1)
	v_add_co_u32_e32 v6, vcc, v1, v8
	v_addc_co_u32_e32 v2, vcc, 0, v2, vcc
	v_add_co_u32_e32 v1, vcc, 0, v6
	s_waitcnt lgkmcnt(0)
	v_addc_co_u32_e32 v2, vcc, v7, v2, vcc
.LBB112_626:
	s_or_b64 exec, exec, s[0:1]
	v_cmp_gt_u32_e32 vcc, 60, v4
	s_waitcnt lgkmcnt(0)
	v_cndmask_b32_e64 v7, 0, 4, vcc
	v_add_lshl_u32 v7, v7, v3, 2
	ds_bpermute_b32 v8, v7, v6
	ds_bpermute_b32 v7, v7, v2
	v_add_u32_e32 v9, 4, v4
	v_cmp_lt_u32_e32 vcc, v9, v5
	;; [unrolled: 19-line block ×4, first 2 shown]
	s_and_saveexec_b64 s[0:1], vcc
	s_cbranch_execz .LBB112_632
; %bb.631:
	s_waitcnt lgkmcnt(1)
	v_add_co_u32_e32 v6, vcc, v1, v8
	v_addc_co_u32_e32 v2, vcc, 0, v2, vcc
	v_add_co_u32_e32 v1, vcc, 0, v6
	s_waitcnt lgkmcnt(0)
	v_addc_co_u32_e32 v2, vcc, v7, v2, vcc
.LBB112_632:
	s_or_b64 exec, exec, s[0:1]
	s_waitcnt lgkmcnt(0)
	v_lshlrev_b32_e32 v7, 2, v3
	v_or_b32_e32 v8, 0x80, v7
	ds_bpermute_b32 v6, v8, v6
	ds_bpermute_b32 v8, v8, v2
	v_add_u32_e32 v4, 32, v4
	s_waitcnt lgkmcnt(1)
	v_add_co_u32_e32 v6, vcc, v1, v6
	v_addc_co_u32_e32 v9, vcc, 0, v2, vcc
	v_add_co_u32_e32 v6, vcc, 0, v6
	s_waitcnt lgkmcnt(0)
	v_addc_co_u32_e32 v8, vcc, v9, v8, vcc
	v_cmp_lt_u32_e32 vcc, v4, v5
	v_cndmask_b32_e32 v2, v2, v8, vcc
	v_cndmask_b32_e32 v1, v1, v6, vcc
	v_cmp_eq_u32_e32 vcc, 0, v3
	s_and_saveexec_b64 s[0:1], vcc
; %bb.633:
	v_lshrrev_b32_e32 v4, 3, v0
	v_and_b32_e32 v4, 8, v4
	ds_write_b64 v4, v[1:2] offset:128
; %bb.634:
	s_or_b64 exec, exec, s[0:1]
	v_cmp_gt_u32_e32 vcc, 2, v0
	s_waitcnt lgkmcnt(0)
	s_barrier
	s_and_saveexec_b64 s[0:1], vcc
	s_cbranch_execz .LBB112_636
; %bb.635:
	v_lshlrev_b32_e32 v1, 3, v3
	ds_read_b64 v[1:2], v1 offset:128
	v_or_b32_e32 v4, 4, v7
	s_add_i32 s2, s2, 63
	v_and_b32_e32 v3, 1, v3
	s_lshr_b32 s2, s2, 6
	s_waitcnt lgkmcnt(0)
	ds_bpermute_b32 v5, v4, v2
	ds_bpermute_b32 v4, v4, v1
	v_add_u32_e32 v3, 1, v3
	v_cmp_gt_u32_e32 vcc, s2, v3
	s_waitcnt lgkmcnt(1)
	v_cndmask_b32_e32 v3, 0, v5, vcc
	s_waitcnt lgkmcnt(0)
	v_cndmask_b32_e32 v4, 0, v4, vcc
	v_add_co_u32_e32 v1, vcc, v4, v1
	v_addc_co_u32_e32 v2, vcc, v3, v2, vcc
.LBB112_636:
	s_or_b64 exec, exec, s[0:1]
.LBB112_637:
	v_mov_b32_e32 v3, s6
	v_cmp_eq_u32_e64 s[2:3], 0, v0
	v_mov_b32_e32 v4, s7
	s_branch .LBB112_671
.LBB112_638:
	s_cmp_eq_u32 s26, 4
                                        ; implicit-def: $vgpr1_vgpr2
                                        ; implicit-def: $vgpr3_vgpr4
	s_cbranch_scc0 .LBB112_671
; %bb.639:
	s_mov_b32 s7, 0
	s_lshl_b32 s0, s6, 9
	s_mov_b32 s1, s7
	s_lshr_b64 s[2:3], s[20:21], 9
	s_lshl_b64 s[8:9], s[0:1], 1
	s_add_u32 s8, s18, s8
	s_addc_u32 s9, s19, s9
	s_cmp_lg_u64 s[2:3], s[6:7]
	s_cbranch_scc0 .LBB112_645
; %bb.640:
	v_lshlrev_b32_e32 v1, 1, v0
	global_load_ushort v2, v1, s[8:9] offset:768
	global_load_ushort v5, v1, s[8:9] offset:256
	global_load_ushort v6, v1, s[8:9]
	global_load_ushort v7, v1, s[8:9] offset:512
	v_mov_b32_e32 v1, 0
	v_mbcnt_lo_u32_b32 v3, -1, 0
	v_mbcnt_hi_u32_b32 v3, -1, v3
	v_mov_b32_dpp v1, v1 quad_perm:[1,0,3,2] row_mask:0xf bank_mask:0xf bound_ctrl:1
	v_lshlrev_b32_e32 v4, 2, v3
	v_or_b32_e32 v8, 0xfc, v4
	s_waitcnt vmcnt(3)
	v_cmp_ne_u16_e32 vcc, 0, v2
	v_cndmask_b32_e64 v2, 0, 1, vcc
	s_waitcnt vmcnt(2)
	v_cmp_ne_u16_e32 vcc, 0, v5
	v_cndmask_b32_e64 v5, 0, 1, vcc
	;; [unrolled: 3-line block ×3, first 2 shown]
	s_waitcnt vmcnt(0)
	v_cmp_ne_u16_e32 vcc, 0, v7
	v_addc_co_u32_e32 v5, vcc, v5, v6, vcc
	v_add_co_u32_e32 v2, vcc, v5, v2
	v_addc_co_u32_e64 v5, s[2:3], 0, 0, vcc
	s_nop 0
	v_mov_b32_dpp v6, v2 quad_perm:[1,0,3,2] row_mask:0xf bank_mask:0xf bound_ctrl:1
	v_add_co_u32_e32 v2, vcc, v2, v6
	v_addc_co_u32_e32 v5, vcc, 0, v5, vcc
	v_add_co_u32_e32 v6, vcc, 0, v2
	v_addc_co_u32_e32 v1, vcc, v1, v5, vcc
	v_mov_b32_dpp v2, v2 quad_perm:[2,3,0,1] row_mask:0xf bank_mask:0xf bound_ctrl:1
	v_add_co_u32_e32 v2, vcc, v6, v2
	v_mov_b32_dpp v5, v1 quad_perm:[2,3,0,1] row_mask:0xf bank_mask:0xf bound_ctrl:1
	v_addc_co_u32_e32 v1, vcc, 0, v1, vcc
	v_add_co_u32_e32 v6, vcc, 0, v2
	v_addc_co_u32_e32 v1, vcc, v1, v5, vcc
	v_mov_b32_dpp v2, v2 row_ror:4 row_mask:0xf bank_mask:0xf bound_ctrl:1
	v_add_co_u32_e32 v2, vcc, v6, v2
	v_mov_b32_dpp v5, v1 row_ror:4 row_mask:0xf bank_mask:0xf bound_ctrl:1
	v_addc_co_u32_e32 v1, vcc, 0, v1, vcc
	v_add_co_u32_e32 v6, vcc, 0, v2
	v_addc_co_u32_e32 v1, vcc, v1, v5, vcc
	v_mov_b32_dpp v2, v2 row_ror:8 row_mask:0xf bank_mask:0xf bound_ctrl:1
	v_add_co_u32_e32 v2, vcc, v6, v2
	v_mov_b32_dpp v5, v1 row_ror:8 row_mask:0xf bank_mask:0xf bound_ctrl:1
	v_addc_co_u32_e32 v1, vcc, 0, v1, vcc
	v_add_co_u32_e32 v6, vcc, 0, v2
	v_addc_co_u32_e32 v1, vcc, v1, v5, vcc
	v_mov_b32_dpp v2, v2 row_bcast:15 row_mask:0xf bank_mask:0xf bound_ctrl:1
	v_add_co_u32_e32 v2, vcc, v6, v2
	v_mov_b32_dpp v5, v1 row_bcast:15 row_mask:0xf bank_mask:0xf bound_ctrl:1
	v_addc_co_u32_e32 v1, vcc, 0, v1, vcc
	v_add_co_u32_e32 v6, vcc, 0, v2
	v_addc_co_u32_e32 v1, vcc, v1, v5, vcc
	v_mov_b32_dpp v2, v2 row_bcast:31 row_mask:0xf bank_mask:0xf bound_ctrl:1
	v_add_co_u32_e32 v2, vcc, v6, v2
	v_addc_co_u32_e32 v5, vcc, 0, v1, vcc
	v_cmp_eq_u32_e32 vcc, 0, v3
	s_nop 0
	v_add_u32_dpp v5, v1, v5 row_bcast:31 row_mask:0xf bank_mask:0xf bound_ctrl:1
	ds_bpermute_b32 v1, v8, v2
	ds_bpermute_b32 v2, v8, v5
	s_and_saveexec_b64 s[2:3], vcc
	s_cbranch_execz .LBB112_642
; %bb.641:
	v_lshrrev_b32_e32 v5, 3, v0
	v_and_b32_e32 v5, 8, v5
	s_waitcnt lgkmcnt(0)
	ds_write_b64 v5, v[1:2] offset:80
.LBB112_642:
	s_or_b64 exec, exec, s[2:3]
	v_cmp_gt_u32_e32 vcc, 64, v0
	s_waitcnt lgkmcnt(0)
	s_barrier
	s_and_saveexec_b64 s[2:3], vcc
	s_cbranch_execz .LBB112_644
; %bb.643:
	v_and_b32_e32 v1, 1, v3
	v_lshlrev_b32_e32 v1, 3, v1
	ds_read_b64 v[1:2], v1 offset:80
	v_or_b32_e32 v3, 4, v4
	s_waitcnt lgkmcnt(0)
	ds_bpermute_b32 v4, v3, v1
	ds_bpermute_b32 v3, v3, v2
	s_waitcnt lgkmcnt(1)
	v_add_co_u32_e32 v1, vcc, v1, v4
	v_addc_co_u32_e32 v2, vcc, 0, v2, vcc
	v_add_co_u32_e32 v1, vcc, 0, v1
	s_waitcnt lgkmcnt(0)
	v_addc_co_u32_e32 v2, vcc, v2, v3, vcc
.LBB112_644:
	s_or_b64 exec, exec, s[2:3]
	s_mov_b64 s[2:3], 0
	s_branch .LBB112_646
.LBB112_645:
	s_mov_b64 s[2:3], -1
                                        ; implicit-def: $vgpr1_vgpr2
.LBB112_646:
	s_and_b64 vcc, exec, s[2:3]
	s_cbranch_vccz .LBB112_670
; %bb.647:
	s_sub_i32 s12, s20, s0
	v_mov_b32_e32 v1, 0
	v_cmp_gt_u32_e32 vcc, s12, v0
	v_mov_b32_e32 v2, v1
	v_mov_b32_e32 v3, v1
	;; [unrolled: 1-line block ×7, first 2 shown]
	s_and_saveexec_b64 s[0:1], vcc
	s_cbranch_execz .LBB112_649
; %bb.648:
	v_lshlrev_b32_e32 v2, 1, v0
	global_load_ushort v2, v2, s[8:9]
	v_mov_b32_e32 v3, v1
	v_mov_b32_e32 v4, v1
	;; [unrolled: 1-line block ×7, first 2 shown]
	s_waitcnt vmcnt(0)
	v_cmp_ne_u16_e32 vcc, 0, v2
	v_cndmask_b32_e64 v2, 0, 1, vcc
	v_and_b32_e32 v2, 0xffff, v2
	v_mov_b32_e32 v1, v2
	v_mov_b32_e32 v2, v3
	;; [unrolled: 1-line block ×8, first 2 shown]
.LBB112_649:
	s_or_b64 exec, exec, s[0:1]
	v_or_b32_e32 v9, 0x80, v0
	v_cmp_gt_u32_e32 vcc, s12, v9
	s_and_saveexec_b64 s[2:3], vcc
	s_cbranch_execz .LBB112_651
; %bb.650:
	v_lshlrev_b32_e32 v3, 1, v0
	global_load_ushort v3, v3, s[8:9] offset:256
	s_mov_b32 s10, 0
	v_mov_b32_e32 v4, s10
	s_waitcnt vmcnt(0)
	v_cmp_ne_u16_e64 s[0:1], 0, v3
	v_cndmask_b32_e64 v3, 0, 1, s[0:1]
.LBB112_651:
	s_or_b64 exec, exec, s[2:3]
	v_or_b32_e32 v9, 0x100, v0
	v_cmp_gt_u32_e64 s[0:1], s12, v9
	s_and_saveexec_b64 s[10:11], s[0:1]
	s_cbranch_execz .LBB112_653
; %bb.652:
	v_lshlrev_b32_e32 v5, 1, v0
	global_load_ushort v5, v5, s[8:9] offset:512
	s_mov_b32 s13, 0
	v_mov_b32_e32 v6, s13
	s_waitcnt vmcnt(0)
	v_cmp_ne_u16_e64 s[2:3], 0, v5
	v_cndmask_b32_e64 v5, 0, 1, s[2:3]
.LBB112_653:
	s_or_b64 exec, exec, s[10:11]
	v_or_b32_e32 v9, 0x180, v0
	v_cmp_gt_u32_e64 s[2:3], s12, v9
	s_and_saveexec_b64 s[10:11], s[2:3]
	s_cbranch_execz .LBB112_655
; %bb.654:
	v_lshlrev_b32_e32 v7, 1, v0
	global_load_ushort v7, v7, s[8:9] offset:768
	s_mov_b32 s13, 0
	v_mov_b32_e32 v8, s13
	s_waitcnt vmcnt(0)
	v_cmp_ne_u16_e64 s[8:9], 0, v7
	v_cndmask_b32_e64 v7, 0, 1, s[8:9]
.LBB112_655:
	s_or_b64 exec, exec, s[10:11]
	v_cndmask_b32_e32 v3, 0, v3, vcc
	v_cndmask_b32_e32 v4, 0, v4, vcc
	v_add_co_u32_e32 v1, vcc, v3, v1
	v_addc_co_u32_e32 v2, vcc, v4, v2, vcc
	v_cndmask_b32_e64 v4, 0, v5, s[0:1]
	v_cndmask_b32_e64 v3, 0, v6, s[0:1]
	v_add_co_u32_e32 v1, vcc, v1, v4
	v_addc_co_u32_e32 v2, vcc, v2, v3, vcc
	v_cndmask_b32_e64 v4, 0, v7, s[2:3]
	v_cndmask_b32_e64 v3, 0, v8, s[2:3]
	v_add_co_u32_e32 v1, vcc, v1, v4
	v_addc_co_u32_e32 v2, vcc, v2, v3, vcc
	v_mbcnt_lo_u32_b32 v3, -1, 0
	v_mbcnt_hi_u32_b32 v3, -1, v3
	v_and_b32_e32 v4, 63, v3
	v_cmp_ne_u32_e32 vcc, 63, v4
	v_addc_co_u32_e32 v6, vcc, 0, v3, vcc
	v_lshlrev_b32_e32 v6, 2, v6
	ds_bpermute_b32 v8, v6, v1
	ds_bpermute_b32 v7, v6, v2
	s_min_u32 s2, s12, 0x80
	v_and_b32_e32 v5, 64, v0
	v_sub_u32_e64 v5, s2, v5 clamp
	v_add_u32_e32 v6, 1, v4
	v_cmp_lt_u32_e32 vcc, v6, v5
	v_mov_b32_e32 v6, v1
	s_and_saveexec_b64 s[0:1], vcc
	s_cbranch_execz .LBB112_657
; %bb.656:
	s_waitcnt lgkmcnt(1)
	v_add_co_u32_e32 v6, vcc, v1, v8
	v_addc_co_u32_e32 v2, vcc, 0, v2, vcc
	v_add_co_u32_e32 v1, vcc, 0, v6
	s_waitcnt lgkmcnt(0)
	v_addc_co_u32_e32 v2, vcc, v7, v2, vcc
.LBB112_657:
	s_or_b64 exec, exec, s[0:1]
	v_cmp_gt_u32_e32 vcc, 62, v4
	s_waitcnt lgkmcnt(0)
	v_cndmask_b32_e64 v7, 0, 2, vcc
	v_add_lshl_u32 v7, v7, v3, 2
	ds_bpermute_b32 v8, v7, v6
	ds_bpermute_b32 v7, v7, v2
	v_add_u32_e32 v9, 2, v4
	v_cmp_lt_u32_e32 vcc, v9, v5
	s_and_saveexec_b64 s[0:1], vcc
	s_cbranch_execz .LBB112_659
; %bb.658:
	s_waitcnt lgkmcnt(1)
	v_add_co_u32_e32 v6, vcc, v1, v8
	v_addc_co_u32_e32 v2, vcc, 0, v2, vcc
	v_add_co_u32_e32 v1, vcc, 0, v6
	s_waitcnt lgkmcnt(0)
	v_addc_co_u32_e32 v2, vcc, v7, v2, vcc
.LBB112_659:
	s_or_b64 exec, exec, s[0:1]
	v_cmp_gt_u32_e32 vcc, 60, v4
	s_waitcnt lgkmcnt(0)
	v_cndmask_b32_e64 v7, 0, 4, vcc
	v_add_lshl_u32 v7, v7, v3, 2
	ds_bpermute_b32 v8, v7, v6
	ds_bpermute_b32 v7, v7, v2
	v_add_u32_e32 v9, 4, v4
	v_cmp_lt_u32_e32 vcc, v9, v5
	;; [unrolled: 19-line block ×4, first 2 shown]
	s_and_saveexec_b64 s[0:1], vcc
	s_cbranch_execz .LBB112_665
; %bb.664:
	s_waitcnt lgkmcnt(1)
	v_add_co_u32_e32 v6, vcc, v1, v8
	v_addc_co_u32_e32 v2, vcc, 0, v2, vcc
	v_add_co_u32_e32 v1, vcc, 0, v6
	s_waitcnt lgkmcnt(0)
	v_addc_co_u32_e32 v2, vcc, v7, v2, vcc
.LBB112_665:
	s_or_b64 exec, exec, s[0:1]
	s_waitcnt lgkmcnt(0)
	v_lshlrev_b32_e32 v7, 2, v3
	v_or_b32_e32 v8, 0x80, v7
	ds_bpermute_b32 v6, v8, v6
	ds_bpermute_b32 v8, v8, v2
	v_add_u32_e32 v4, 32, v4
	s_waitcnt lgkmcnt(1)
	v_add_co_u32_e32 v6, vcc, v1, v6
	v_addc_co_u32_e32 v9, vcc, 0, v2, vcc
	v_add_co_u32_e32 v6, vcc, 0, v6
	s_waitcnt lgkmcnt(0)
	v_addc_co_u32_e32 v8, vcc, v9, v8, vcc
	v_cmp_lt_u32_e32 vcc, v4, v5
	v_cndmask_b32_e32 v2, v2, v8, vcc
	v_cndmask_b32_e32 v1, v1, v6, vcc
	v_cmp_eq_u32_e32 vcc, 0, v3
	s_and_saveexec_b64 s[0:1], vcc
; %bb.666:
	v_lshrrev_b32_e32 v4, 3, v0
	v_and_b32_e32 v4, 8, v4
	ds_write_b64 v4, v[1:2] offset:128
; %bb.667:
	s_or_b64 exec, exec, s[0:1]
	v_cmp_gt_u32_e32 vcc, 2, v0
	s_waitcnt lgkmcnt(0)
	s_barrier
	s_and_saveexec_b64 s[0:1], vcc
	s_cbranch_execz .LBB112_669
; %bb.668:
	v_lshlrev_b32_e32 v1, 3, v3
	ds_read_b64 v[1:2], v1 offset:128
	v_or_b32_e32 v4, 4, v7
	s_add_i32 s2, s2, 63
	v_and_b32_e32 v3, 1, v3
	s_lshr_b32 s2, s2, 6
	s_waitcnt lgkmcnt(0)
	ds_bpermute_b32 v5, v4, v2
	ds_bpermute_b32 v4, v4, v1
	v_add_u32_e32 v3, 1, v3
	v_cmp_gt_u32_e32 vcc, s2, v3
	s_waitcnt lgkmcnt(1)
	v_cndmask_b32_e32 v3, 0, v5, vcc
	s_waitcnt lgkmcnt(0)
	v_cndmask_b32_e32 v4, 0, v4, vcc
	v_add_co_u32_e32 v1, vcc, v4, v1
	v_addc_co_u32_e32 v2, vcc, v3, v2, vcc
.LBB112_669:
	s_or_b64 exec, exec, s[0:1]
.LBB112_670:
	v_mov_b32_e32 v3, s6
	v_cmp_eq_u32_e64 s[2:3], 0, v0
	v_mov_b32_e32 v4, s7
.LBB112_671:
	s_branch .LBB112_731
.LBB112_672:
	s_cmp_gt_i32 s26, 1
	s_cbranch_scc0 .LBB112_680
; %bb.673:
	s_cmp_eq_u32 s26, 2
                                        ; implicit-def: $vgpr1_vgpr2
                                        ; implicit-def: $vgpr3_vgpr4
	s_cbranch_scc0 .LBB112_681
; %bb.674:
	s_mov_b32 s7, 0
	s_lshl_b32 s2, s6, 8
	s_mov_b32 s3, s7
	s_lshr_b64 s[8:9], s[20:21], 8
	s_lshl_b64 s[0:1], s[2:3], 1
	s_add_u32 s0, s18, s0
	s_addc_u32 s1, s19, s1
	s_cmp_lg_u64 s[8:9], s[6:7]
	s_cbranch_scc0 .LBB112_682
; %bb.675:
	v_lshlrev_b32_e32 v1, 1, v0
	global_load_ushort v2, v1, s[0:1]
	global_load_ushort v5, v1, s[0:1] offset:256
	v_mov_b32_e32 v1, 0
	v_mbcnt_lo_u32_b32 v3, -1, 0
	v_mbcnt_hi_u32_b32 v3, -1, v3
	v_mov_b32_dpp v1, v1 quad_perm:[1,0,3,2] row_mask:0xf bank_mask:0xf bound_ctrl:1
	v_lshlrev_b32_e32 v4, 2, v3
	v_or_b32_e32 v6, 0xfc, v4
	s_waitcnt vmcnt(1)
	v_cmp_ne_u16_e32 vcc, 0, v2
	v_cndmask_b32_e64 v2, 0, 1, vcc
	s_waitcnt vmcnt(0)
	v_cmp_ne_u16_e32 vcc, 0, v5
	v_addc_co_u32_e32 v2, vcc, 0, v2, vcc
	s_nop 1
	v_mov_b32_dpp v5, v2 quad_perm:[1,0,3,2] row_mask:0xf bank_mask:0xf bound_ctrl:1
	v_add_co_u32_e32 v2, vcc, v2, v5
	v_addc_co_u32_e64 v5, s[8:9], 0, 0, vcc
	v_add_co_u32_e32 v7, vcc, 0, v2
	v_addc_co_u32_e32 v1, vcc, v1, v5, vcc
	v_mov_b32_dpp v2, v2 quad_perm:[2,3,0,1] row_mask:0xf bank_mask:0xf bound_ctrl:1
	v_add_co_u32_e32 v2, vcc, v7, v2
	v_mov_b32_dpp v5, v1 quad_perm:[2,3,0,1] row_mask:0xf bank_mask:0xf bound_ctrl:1
	v_addc_co_u32_e32 v1, vcc, 0, v1, vcc
	v_add_co_u32_e32 v7, vcc, 0, v2
	v_addc_co_u32_e32 v1, vcc, v1, v5, vcc
	v_mov_b32_dpp v2, v2 row_ror:4 row_mask:0xf bank_mask:0xf bound_ctrl:1
	v_add_co_u32_e32 v2, vcc, v7, v2
	v_mov_b32_dpp v5, v1 row_ror:4 row_mask:0xf bank_mask:0xf bound_ctrl:1
	v_addc_co_u32_e32 v1, vcc, 0, v1, vcc
	v_add_co_u32_e32 v7, vcc, 0, v2
	v_addc_co_u32_e32 v1, vcc, v1, v5, vcc
	v_mov_b32_dpp v2, v2 row_ror:8 row_mask:0xf bank_mask:0xf bound_ctrl:1
	v_add_co_u32_e32 v2, vcc, v7, v2
	v_mov_b32_dpp v5, v1 row_ror:8 row_mask:0xf bank_mask:0xf bound_ctrl:1
	v_addc_co_u32_e32 v1, vcc, 0, v1, vcc
	v_add_co_u32_e32 v7, vcc, 0, v2
	v_addc_co_u32_e32 v1, vcc, v1, v5, vcc
	v_mov_b32_dpp v2, v2 row_bcast:15 row_mask:0xf bank_mask:0xf bound_ctrl:1
	v_add_co_u32_e32 v2, vcc, v7, v2
	v_mov_b32_dpp v5, v1 row_bcast:15 row_mask:0xf bank_mask:0xf bound_ctrl:1
	v_addc_co_u32_e32 v1, vcc, 0, v1, vcc
	v_add_co_u32_e32 v7, vcc, 0, v2
	v_addc_co_u32_e32 v1, vcc, v1, v5, vcc
	v_mov_b32_dpp v2, v2 row_bcast:31 row_mask:0xf bank_mask:0xf bound_ctrl:1
	v_add_co_u32_e32 v2, vcc, v7, v2
	v_addc_co_u32_e32 v5, vcc, 0, v1, vcc
	v_cmp_eq_u32_e32 vcc, 0, v3
	s_nop 0
	v_add_u32_dpp v5, v1, v5 row_bcast:31 row_mask:0xf bank_mask:0xf bound_ctrl:1
	ds_bpermute_b32 v1, v6, v2
	ds_bpermute_b32 v2, v6, v5
	s_and_saveexec_b64 s[8:9], vcc
	s_cbranch_execz .LBB112_677
; %bb.676:
	v_lshrrev_b32_e32 v5, 3, v0
	v_and_b32_e32 v5, 8, v5
	s_waitcnt lgkmcnt(0)
	ds_write_b64 v5, v[1:2] offset:48
.LBB112_677:
	s_or_b64 exec, exec, s[8:9]
	v_cmp_gt_u32_e32 vcc, 64, v0
	s_waitcnt lgkmcnt(0)
	s_barrier
	s_and_saveexec_b64 s[8:9], vcc
	s_cbranch_execz .LBB112_679
; %bb.678:
	v_and_b32_e32 v1, 1, v3
	v_lshlrev_b32_e32 v1, 3, v1
	ds_read_b64 v[1:2], v1 offset:48
	v_or_b32_e32 v3, 4, v4
	s_waitcnt lgkmcnt(0)
	ds_bpermute_b32 v4, v3, v1
	ds_bpermute_b32 v3, v3, v2
	s_waitcnt lgkmcnt(1)
	v_add_co_u32_e32 v1, vcc, v1, v4
	v_addc_co_u32_e32 v2, vcc, 0, v2, vcc
	v_add_co_u32_e32 v1, vcc, 0, v1
	s_waitcnt lgkmcnt(0)
	v_addc_co_u32_e32 v2, vcc, v2, v3, vcc
.LBB112_679:
	s_or_b64 exec, exec, s[8:9]
	s_mov_b64 s[8:9], 0
	s_branch .LBB112_683
.LBB112_680:
                                        ; implicit-def: $vgpr1_vgpr2
                                        ; implicit-def: $vgpr3_vgpr4
	s_cbranch_execnz .LBB112_704
	s_branch .LBB112_731
.LBB112_681:
	s_branch .LBB112_731
.LBB112_682:
	s_mov_b64 s[8:9], -1
                                        ; implicit-def: $vgpr1_vgpr2
.LBB112_683:
	s_and_b64 vcc, exec, s[8:9]
	s_cbranch_vccz .LBB112_703
; %bb.684:
	s_sub_i32 s8, s20, s2
	v_mov_b32_e32 v1, 0
	v_cmp_gt_u32_e32 vcc, s8, v0
	v_mov_b32_e32 v2, v1
	v_mov_b32_e32 v3, v1
	;; [unrolled: 1-line block ×3, first 2 shown]
	s_and_saveexec_b64 s[2:3], vcc
	s_cbranch_execz .LBB112_686
; %bb.685:
	v_lshlrev_b32_e32 v2, 1, v0
	global_load_ushort v2, v2, s[0:1]
	v_mov_b32_e32 v3, v1
	v_mov_b32_e32 v4, v1
	;; [unrolled: 1-line block ×3, first 2 shown]
	s_waitcnt vmcnt(0)
	v_cmp_ne_u16_e32 vcc, 0, v2
	v_cndmask_b32_e64 v2, 0, 1, vcc
	v_and_b32_e32 v2, 0xffff, v2
	v_mov_b32_e32 v1, v2
	v_mov_b32_e32 v2, v3
	;; [unrolled: 1-line block ×4, first 2 shown]
.LBB112_686:
	s_or_b64 exec, exec, s[2:3]
	v_or_b32_e32 v5, 0x80, v0
	v_cmp_gt_u32_e32 vcc, s8, v5
	s_and_saveexec_b64 s[2:3], vcc
	s_cbranch_execz .LBB112_688
; %bb.687:
	v_lshlrev_b32_e32 v3, 1, v0
	global_load_ushort v3, v3, s[0:1] offset:256
	s_mov_b32 s9, 0
	v_mov_b32_e32 v4, s9
	s_waitcnt vmcnt(0)
	v_cmp_ne_u16_e64 s[0:1], 0, v3
	v_cndmask_b32_e64 v3, 0, 1, s[0:1]
.LBB112_688:
	s_or_b64 exec, exec, s[2:3]
	v_cndmask_b32_e32 v3, 0, v3, vcc
	v_cndmask_b32_e32 v4, 0, v4, vcc
	v_add_co_u32_e32 v1, vcc, v3, v1
	v_mbcnt_lo_u32_b32 v3, -1, 0
	v_mbcnt_hi_u32_b32 v3, -1, v3
	v_addc_co_u32_e32 v2, vcc, v4, v2, vcc
	v_and_b32_e32 v4, 63, v3
	v_cmp_ne_u32_e32 vcc, 63, v4
	v_addc_co_u32_e32 v6, vcc, 0, v3, vcc
	v_lshlrev_b32_e32 v6, 2, v6
	ds_bpermute_b32 v8, v6, v1
	ds_bpermute_b32 v7, v6, v2
	s_min_u32 s2, s8, 0x80
	v_and_b32_e32 v5, 64, v0
	v_sub_u32_e64 v5, s2, v5 clamp
	v_add_u32_e32 v6, 1, v4
	v_cmp_lt_u32_e32 vcc, v6, v5
	v_mov_b32_e32 v6, v1
	s_and_saveexec_b64 s[0:1], vcc
	s_cbranch_execz .LBB112_690
; %bb.689:
	s_waitcnt lgkmcnt(1)
	v_add_co_u32_e32 v6, vcc, v1, v8
	v_addc_co_u32_e32 v2, vcc, 0, v2, vcc
	v_add_co_u32_e32 v1, vcc, 0, v6
	s_waitcnt lgkmcnt(0)
	v_addc_co_u32_e32 v2, vcc, v7, v2, vcc
.LBB112_690:
	s_or_b64 exec, exec, s[0:1]
	v_cmp_gt_u32_e32 vcc, 62, v4
	s_waitcnt lgkmcnt(0)
	v_cndmask_b32_e64 v7, 0, 2, vcc
	v_add_lshl_u32 v7, v7, v3, 2
	ds_bpermute_b32 v8, v7, v6
	ds_bpermute_b32 v7, v7, v2
	v_add_u32_e32 v9, 2, v4
	v_cmp_lt_u32_e32 vcc, v9, v5
	s_and_saveexec_b64 s[0:1], vcc
	s_cbranch_execz .LBB112_692
; %bb.691:
	s_waitcnt lgkmcnt(1)
	v_add_co_u32_e32 v6, vcc, v1, v8
	v_addc_co_u32_e32 v2, vcc, 0, v2, vcc
	v_add_co_u32_e32 v1, vcc, 0, v6
	s_waitcnt lgkmcnt(0)
	v_addc_co_u32_e32 v2, vcc, v7, v2, vcc
.LBB112_692:
	s_or_b64 exec, exec, s[0:1]
	v_cmp_gt_u32_e32 vcc, 60, v4
	s_waitcnt lgkmcnt(0)
	v_cndmask_b32_e64 v7, 0, 4, vcc
	v_add_lshl_u32 v7, v7, v3, 2
	ds_bpermute_b32 v8, v7, v6
	ds_bpermute_b32 v7, v7, v2
	v_add_u32_e32 v9, 4, v4
	v_cmp_lt_u32_e32 vcc, v9, v5
	;; [unrolled: 19-line block ×4, first 2 shown]
	s_and_saveexec_b64 s[0:1], vcc
	s_cbranch_execz .LBB112_698
; %bb.697:
	s_waitcnt lgkmcnt(1)
	v_add_co_u32_e32 v6, vcc, v1, v8
	v_addc_co_u32_e32 v2, vcc, 0, v2, vcc
	v_add_co_u32_e32 v1, vcc, 0, v6
	s_waitcnt lgkmcnt(0)
	v_addc_co_u32_e32 v2, vcc, v7, v2, vcc
.LBB112_698:
	s_or_b64 exec, exec, s[0:1]
	s_waitcnt lgkmcnt(0)
	v_lshlrev_b32_e32 v7, 2, v3
	v_or_b32_e32 v8, 0x80, v7
	ds_bpermute_b32 v6, v8, v6
	ds_bpermute_b32 v8, v8, v2
	v_add_u32_e32 v4, 32, v4
	s_waitcnt lgkmcnt(1)
	v_add_co_u32_e32 v6, vcc, v1, v6
	v_addc_co_u32_e32 v9, vcc, 0, v2, vcc
	v_add_co_u32_e32 v6, vcc, 0, v6
	s_waitcnt lgkmcnt(0)
	v_addc_co_u32_e32 v8, vcc, v9, v8, vcc
	v_cmp_lt_u32_e32 vcc, v4, v5
	v_cndmask_b32_e32 v2, v2, v8, vcc
	v_cndmask_b32_e32 v1, v1, v6, vcc
	v_cmp_eq_u32_e32 vcc, 0, v3
	s_and_saveexec_b64 s[0:1], vcc
; %bb.699:
	v_lshrrev_b32_e32 v4, 3, v0
	v_and_b32_e32 v4, 8, v4
	ds_write_b64 v4, v[1:2] offset:128
; %bb.700:
	s_or_b64 exec, exec, s[0:1]
	v_cmp_gt_u32_e32 vcc, 2, v0
	s_waitcnt lgkmcnt(0)
	s_barrier
	s_and_saveexec_b64 s[0:1], vcc
	s_cbranch_execz .LBB112_702
; %bb.701:
	v_lshlrev_b32_e32 v1, 3, v3
	ds_read_b64 v[1:2], v1 offset:128
	v_or_b32_e32 v4, 4, v7
	s_add_i32 s2, s2, 63
	v_and_b32_e32 v3, 1, v3
	s_lshr_b32 s2, s2, 6
	s_waitcnt lgkmcnt(0)
	ds_bpermute_b32 v5, v4, v2
	ds_bpermute_b32 v4, v4, v1
	v_add_u32_e32 v3, 1, v3
	v_cmp_gt_u32_e32 vcc, s2, v3
	s_waitcnt lgkmcnt(1)
	v_cndmask_b32_e32 v3, 0, v5, vcc
	s_waitcnt lgkmcnt(0)
	v_cndmask_b32_e32 v4, 0, v4, vcc
	v_add_co_u32_e32 v1, vcc, v4, v1
	v_addc_co_u32_e32 v2, vcc, v3, v2, vcc
.LBB112_702:
	s_or_b64 exec, exec, s[0:1]
.LBB112_703:
	v_mov_b32_e32 v3, s6
	v_cmp_eq_u32_e64 s[2:3], 0, v0
	v_mov_b32_e32 v4, s7
	s_branch .LBB112_731
.LBB112_704:
	s_cmp_eq_u32 s26, 1
                                        ; implicit-def: $vgpr1_vgpr2
                                        ; implicit-def: $vgpr3_vgpr4
	s_cbranch_scc0 .LBB112_731
; %bb.705:
	s_mov_b32 s1, 0
	s_lshl_b32 s0, s6, 7
	s_mov_b32 s7, s1
	s_lshr_b64 s[2:3], s[20:21], 7
	s_cmp_lg_u64 s[2:3], s[6:7]
	v_mbcnt_lo_u32_b32 v3, -1, 0
	s_cbranch_scc0 .LBB112_711
; %bb.706:
	s_lshl_b64 s[2:3], s[0:1], 1
	s_add_u32 s2, s18, s2
	s_addc_u32 s3, s19, s3
	v_lshlrev_b32_e32 v1, 1, v0
	global_load_ushort v1, v1, s[2:3]
	v_mov_b32_e32 v2, 0
	v_mbcnt_hi_u32_b32 v4, -1, v3
	v_lshlrev_b32_e32 v5, 2, v4
	v_mov_b32_dpp v2, v2 quad_perm:[1,0,3,2] row_mask:0xf bank_mask:0xf bound_ctrl:1
	v_or_b32_e32 v6, 0xfc, v5
	s_waitcnt vmcnt(0)
	v_cmp_ne_u16_e32 vcc, 0, v1
	v_cndmask_b32_e64 v1, 0, 1, vcc
	s_nop 1
	v_mov_b32_dpp v7, v1 quad_perm:[1,0,3,2] row_mask:0xf bank_mask:0xf bound_ctrl:1
	v_add_co_u32_e32 v1, vcc, v7, v1
	v_addc_co_u32_e64 v7, s[2:3], 0, 0, vcc
	v_add_co_u32_e32 v8, vcc, 0, v1
	v_addc_co_u32_e32 v2, vcc, v2, v7, vcc
	v_mov_b32_dpp v1, v1 quad_perm:[2,3,0,1] row_mask:0xf bank_mask:0xf bound_ctrl:1
	v_add_co_u32_e32 v1, vcc, v8, v1
	v_mov_b32_dpp v7, v2 quad_perm:[2,3,0,1] row_mask:0xf bank_mask:0xf bound_ctrl:1
	v_addc_co_u32_e32 v2, vcc, 0, v2, vcc
	v_add_co_u32_e32 v8, vcc, 0, v1
	v_addc_co_u32_e32 v2, vcc, v2, v7, vcc
	v_mov_b32_dpp v1, v1 row_ror:4 row_mask:0xf bank_mask:0xf bound_ctrl:1
	v_add_co_u32_e32 v1, vcc, v8, v1
	v_mov_b32_dpp v7, v2 row_ror:4 row_mask:0xf bank_mask:0xf bound_ctrl:1
	v_addc_co_u32_e32 v2, vcc, 0, v2, vcc
	v_add_co_u32_e32 v8, vcc, 0, v1
	v_addc_co_u32_e32 v2, vcc, v2, v7, vcc
	v_mov_b32_dpp v1, v1 row_ror:8 row_mask:0xf bank_mask:0xf bound_ctrl:1
	v_add_co_u32_e32 v1, vcc, v8, v1
	v_mov_b32_dpp v7, v2 row_ror:8 row_mask:0xf bank_mask:0xf bound_ctrl:1
	v_addc_co_u32_e32 v2, vcc, 0, v2, vcc
	v_add_co_u32_e32 v8, vcc, 0, v1
	v_addc_co_u32_e32 v2, vcc, v2, v7, vcc
	v_mov_b32_dpp v1, v1 row_bcast:15 row_mask:0xf bank_mask:0xf bound_ctrl:1
	v_add_co_u32_e32 v1, vcc, v8, v1
	v_mov_b32_dpp v7, v2 row_bcast:15 row_mask:0xf bank_mask:0xf bound_ctrl:1
	v_addc_co_u32_e32 v2, vcc, 0, v2, vcc
	v_add_co_u32_e32 v8, vcc, 0, v1
	v_addc_co_u32_e32 v2, vcc, v2, v7, vcc
	v_mov_b32_dpp v1, v1 row_bcast:31 row_mask:0xf bank_mask:0xf bound_ctrl:1
	v_add_co_u32_e32 v1, vcc, v8, v1
	v_addc_co_u32_e32 v7, vcc, 0, v2, vcc
	ds_bpermute_b32 v1, v6, v1
	s_nop 0
	v_add_u32_dpp v2, v2, v7 row_bcast:31 row_mask:0xf bank_mask:0xf bound_ctrl:1
	ds_bpermute_b32 v2, v6, v2
	v_cmp_eq_u32_e32 vcc, 0, v4
	s_and_saveexec_b64 s[2:3], vcc
	s_cbranch_execz .LBB112_708
; %bb.707:
	v_lshrrev_b32_e32 v6, 3, v0
	v_and_b32_e32 v6, 8, v6
	s_waitcnt lgkmcnt(0)
	ds_write_b64 v6, v[1:2] offset:32
.LBB112_708:
	s_or_b64 exec, exec, s[2:3]
	v_cmp_gt_u32_e32 vcc, 64, v0
	s_waitcnt lgkmcnt(0)
	s_barrier
	s_and_saveexec_b64 s[2:3], vcc
	s_cbranch_execz .LBB112_710
; %bb.709:
	v_and_b32_e32 v1, 1, v4
	v_lshlrev_b32_e32 v1, 3, v1
	ds_read_b64 v[1:2], v1 offset:32
	v_or_b32_e32 v4, 4, v5
	s_waitcnt lgkmcnt(0)
	ds_bpermute_b32 v5, v4, v1
	ds_bpermute_b32 v4, v4, v2
	s_waitcnt lgkmcnt(1)
	v_add_co_u32_e32 v1, vcc, v1, v5
	v_addc_co_u32_e32 v2, vcc, 0, v2, vcc
	v_add_co_u32_e32 v1, vcc, 0, v1
	s_waitcnt lgkmcnt(0)
	v_addc_co_u32_e32 v2, vcc, v2, v4, vcc
.LBB112_710:
	s_or_b64 exec, exec, s[2:3]
	s_mov_b64 s[2:3], 0
	s_branch .LBB112_712
.LBB112_711:
	s_mov_b64 s[2:3], -1
                                        ; implicit-def: $vgpr1_vgpr2
.LBB112_712:
	s_and_b64 vcc, exec, s[2:3]
	s_cbranch_vccz .LBB112_730
; %bb.713:
	s_sub_i32 s8, s20, s0
	v_cmp_gt_u32_e32 vcc, s8, v0
                                        ; implicit-def: $vgpr1_vgpr2
	s_and_saveexec_b64 s[2:3], vcc
	s_cbranch_execz .LBB112_715
; %bb.714:
	s_lshl_b64 s[0:1], s[0:1], 1
	s_add_u32 s0, s18, s0
	s_addc_u32 s1, s19, s1
	v_lshlrev_b32_e32 v1, 1, v0
	global_load_ushort v1, v1, s[0:1]
	s_mov_b32 s0, 0
	v_mov_b32_e32 v2, s0
	s_waitcnt vmcnt(0)
	v_cmp_ne_u16_e32 vcc, 0, v1
	v_cndmask_b32_e64 v1, 0, 1, vcc
.LBB112_715:
	s_or_b64 exec, exec, s[2:3]
	v_mbcnt_hi_u32_b32 v3, -1, v3
	v_and_b32_e32 v4, 63, v3
	v_cmp_ne_u32_e32 vcc, 63, v4
	v_addc_co_u32_e32 v6, vcc, 0, v3, vcc
	v_lshlrev_b32_e32 v6, 2, v6
	ds_bpermute_b32 v8, v6, v1
	ds_bpermute_b32 v7, v6, v2
	s_min_u32 s2, s8, 0x80
	v_and_b32_e32 v5, 64, v0
	v_sub_u32_e64 v5, s2, v5 clamp
	v_add_u32_e32 v6, 1, v4
	v_cmp_lt_u32_e32 vcc, v6, v5
	v_mov_b32_e32 v6, v1
	s_and_saveexec_b64 s[0:1], vcc
	s_cbranch_execz .LBB112_717
; %bb.716:
	s_waitcnt lgkmcnt(1)
	v_add_co_u32_e32 v6, vcc, v1, v8
	v_addc_co_u32_e32 v2, vcc, 0, v2, vcc
	v_add_co_u32_e32 v1, vcc, 0, v6
	s_waitcnt lgkmcnt(0)
	v_addc_co_u32_e32 v2, vcc, v7, v2, vcc
.LBB112_717:
	s_or_b64 exec, exec, s[0:1]
	v_cmp_gt_u32_e32 vcc, 62, v4
	s_waitcnt lgkmcnt(0)
	v_cndmask_b32_e64 v7, 0, 2, vcc
	v_add_lshl_u32 v7, v7, v3, 2
	ds_bpermute_b32 v8, v7, v6
	ds_bpermute_b32 v7, v7, v2
	v_add_u32_e32 v9, 2, v4
	v_cmp_lt_u32_e32 vcc, v9, v5
	s_and_saveexec_b64 s[0:1], vcc
	s_cbranch_execz .LBB112_719
; %bb.718:
	s_waitcnt lgkmcnt(1)
	v_add_co_u32_e32 v6, vcc, v1, v8
	v_addc_co_u32_e32 v2, vcc, 0, v2, vcc
	v_add_co_u32_e32 v1, vcc, 0, v6
	s_waitcnt lgkmcnt(0)
	v_addc_co_u32_e32 v2, vcc, v7, v2, vcc
.LBB112_719:
	s_or_b64 exec, exec, s[0:1]
	v_cmp_gt_u32_e32 vcc, 60, v4
	s_waitcnt lgkmcnt(0)
	v_cndmask_b32_e64 v7, 0, 4, vcc
	v_add_lshl_u32 v7, v7, v3, 2
	ds_bpermute_b32 v8, v7, v6
	ds_bpermute_b32 v7, v7, v2
	v_add_u32_e32 v9, 4, v4
	v_cmp_lt_u32_e32 vcc, v9, v5
	;; [unrolled: 19-line block ×4, first 2 shown]
	s_and_saveexec_b64 s[0:1], vcc
	s_cbranch_execz .LBB112_725
; %bb.724:
	s_waitcnt lgkmcnt(1)
	v_add_co_u32_e32 v6, vcc, v1, v8
	v_addc_co_u32_e32 v2, vcc, 0, v2, vcc
	v_add_co_u32_e32 v1, vcc, 0, v6
	s_waitcnt lgkmcnt(0)
	v_addc_co_u32_e32 v2, vcc, v7, v2, vcc
.LBB112_725:
	s_or_b64 exec, exec, s[0:1]
	s_waitcnt lgkmcnt(0)
	v_lshlrev_b32_e32 v7, 2, v3
	v_or_b32_e32 v8, 0x80, v7
	ds_bpermute_b32 v6, v8, v6
	ds_bpermute_b32 v8, v8, v2
	v_add_u32_e32 v4, 32, v4
	s_waitcnt lgkmcnt(1)
	v_add_co_u32_e32 v6, vcc, v1, v6
	v_addc_co_u32_e32 v9, vcc, 0, v2, vcc
	v_add_co_u32_e32 v6, vcc, 0, v6
	s_waitcnt lgkmcnt(0)
	v_addc_co_u32_e32 v8, vcc, v9, v8, vcc
	v_cmp_lt_u32_e32 vcc, v4, v5
	v_cndmask_b32_e32 v2, v2, v8, vcc
	v_cndmask_b32_e32 v1, v1, v6, vcc
	v_cmp_eq_u32_e32 vcc, 0, v3
	s_and_saveexec_b64 s[0:1], vcc
; %bb.726:
	v_lshrrev_b32_e32 v4, 3, v0
	v_and_b32_e32 v4, 8, v4
	ds_write_b64 v4, v[1:2] offset:128
; %bb.727:
	s_or_b64 exec, exec, s[0:1]
	v_cmp_gt_u32_e32 vcc, 2, v0
	s_waitcnt lgkmcnt(0)
	s_barrier
	s_and_saveexec_b64 s[0:1], vcc
	s_cbranch_execz .LBB112_729
; %bb.728:
	v_lshlrev_b32_e32 v1, 3, v3
	ds_read_b64 v[1:2], v1 offset:128
	v_or_b32_e32 v4, 4, v7
	s_add_i32 s2, s2, 63
	v_and_b32_e32 v3, 1, v3
	s_lshr_b32 s2, s2, 6
	s_waitcnt lgkmcnt(0)
	ds_bpermute_b32 v5, v4, v2
	ds_bpermute_b32 v4, v4, v1
	v_add_u32_e32 v3, 1, v3
	v_cmp_gt_u32_e32 vcc, s2, v3
	s_waitcnt lgkmcnt(1)
	v_cndmask_b32_e32 v3, 0, v5, vcc
	s_waitcnt lgkmcnt(0)
	v_cndmask_b32_e32 v4, 0, v4, vcc
	v_add_co_u32_e32 v1, vcc, v4, v1
	v_addc_co_u32_e32 v2, vcc, v3, v2, vcc
.LBB112_729:
	s_or_b64 exec, exec, s[0:1]
.LBB112_730:
	v_mov_b32_e32 v3, s6
	v_cmp_eq_u32_e64 s[2:3], 0, v0
	v_mov_b32_e32 v4, s7
.LBB112_731:
	s_and_saveexec_b64 s[0:1], s[2:3]
	s_cbranch_execz .LBB112_733
; %bb.732:
	v_lshlrev_b64 v[3:4], 3, v[3:4]
	s_load_dwordx2 s[0:1], s[4:5], 0x28
	v_mov_b32_e32 v0, s23
	v_add_co_u32_e32 v3, vcc, s22, v3
	v_addc_co_u32_e32 v4, vcc, v0, v4, vcc
	s_cmp_lg_u64 s[20:21], 0
	s_cselect_b64 vcc, -1, 0
	v_cndmask_b32_e32 v0, 0, v1, vcc
	v_cndmask_b32_e32 v2, 0, v2, vcc
	s_waitcnt lgkmcnt(0)
	v_mov_b32_e32 v1, s1
	v_add_co_u32_e32 v0, vcc, s0, v0
	v_addc_co_u32_e32 v1, vcc, v2, v1, vcc
	global_store_dwordx2 v[3:4], v[0:1], off
.LBB112_733:
	s_endpgm
	.section	.rodata,"a",@progbits
	.p2align	6, 0x0
	.amdhsa_kernel _ZN7rocprim17ROCPRIM_400000_NS6detail17trampoline_kernelINS0_14default_configENS1_22reduce_config_selectorIbEEZNS1_11reduce_implILb1ES3_N6hipcub16HIPCUB_304000_NS22TransformInputIteratorIb7NonZeroIsEPslEEPllNS8_6detail34convert_binary_result_type_wrapperINS8_3SumESD_lEEEE10hipError_tPvRmT1_T2_T3_mT4_P12ihipStream_tbEUlT_E1_NS1_11comp_targetILNS1_3genE2ELNS1_11target_archE906ELNS1_3gpuE6ELNS1_3repE0EEENS1_30default_config_static_selectorELNS0_4arch9wavefront6targetE1EEEvSM_
		.amdhsa_group_segment_fixed_size 144
		.amdhsa_private_segment_fixed_size 20
		.amdhsa_kernarg_size 56
		.amdhsa_user_sgpr_count 6
		.amdhsa_user_sgpr_private_segment_buffer 1
		.amdhsa_user_sgpr_dispatch_ptr 0
		.amdhsa_user_sgpr_queue_ptr 0
		.amdhsa_user_sgpr_kernarg_segment_ptr 1
		.amdhsa_user_sgpr_dispatch_id 0
		.amdhsa_user_sgpr_flat_scratch_init 0
		.amdhsa_user_sgpr_private_segment_size 0
		.amdhsa_uses_dynamic_stack 0
		.amdhsa_system_sgpr_private_segment_wavefront_offset 1
		.amdhsa_system_sgpr_workgroup_id_x 1
		.amdhsa_system_sgpr_workgroup_id_y 0
		.amdhsa_system_sgpr_workgroup_id_z 0
		.amdhsa_system_sgpr_workgroup_info 0
		.amdhsa_system_vgpr_workitem_id 0
		.amdhsa_next_free_vgpr 256
		.amdhsa_next_free_sgpr 40
		.amdhsa_reserve_vcc 1
		.amdhsa_reserve_flat_scratch 0
		.amdhsa_float_round_mode_32 0
		.amdhsa_float_round_mode_16_64 0
		.amdhsa_float_denorm_mode_32 3
		.amdhsa_float_denorm_mode_16_64 3
		.amdhsa_dx10_clamp 1
		.amdhsa_ieee_mode 1
		.amdhsa_fp16_overflow 0
		.amdhsa_exception_fp_ieee_invalid_op 0
		.amdhsa_exception_fp_denorm_src 0
		.amdhsa_exception_fp_ieee_div_zero 0
		.amdhsa_exception_fp_ieee_overflow 0
		.amdhsa_exception_fp_ieee_underflow 0
		.amdhsa_exception_fp_ieee_inexact 0
		.amdhsa_exception_int_div_zero 0
	.end_amdhsa_kernel
	.section	.text._ZN7rocprim17ROCPRIM_400000_NS6detail17trampoline_kernelINS0_14default_configENS1_22reduce_config_selectorIbEEZNS1_11reduce_implILb1ES3_N6hipcub16HIPCUB_304000_NS22TransformInputIteratorIb7NonZeroIsEPslEEPllNS8_6detail34convert_binary_result_type_wrapperINS8_3SumESD_lEEEE10hipError_tPvRmT1_T2_T3_mT4_P12ihipStream_tbEUlT_E1_NS1_11comp_targetILNS1_3genE2ELNS1_11target_archE906ELNS1_3gpuE6ELNS1_3repE0EEENS1_30default_config_static_selectorELNS0_4arch9wavefront6targetE1EEEvSM_,"axG",@progbits,_ZN7rocprim17ROCPRIM_400000_NS6detail17trampoline_kernelINS0_14default_configENS1_22reduce_config_selectorIbEEZNS1_11reduce_implILb1ES3_N6hipcub16HIPCUB_304000_NS22TransformInputIteratorIb7NonZeroIsEPslEEPllNS8_6detail34convert_binary_result_type_wrapperINS8_3SumESD_lEEEE10hipError_tPvRmT1_T2_T3_mT4_P12ihipStream_tbEUlT_E1_NS1_11comp_targetILNS1_3genE2ELNS1_11target_archE906ELNS1_3gpuE6ELNS1_3repE0EEENS1_30default_config_static_selectorELNS0_4arch9wavefront6targetE1EEEvSM_,comdat
.Lfunc_end112:
	.size	_ZN7rocprim17ROCPRIM_400000_NS6detail17trampoline_kernelINS0_14default_configENS1_22reduce_config_selectorIbEEZNS1_11reduce_implILb1ES3_N6hipcub16HIPCUB_304000_NS22TransformInputIteratorIb7NonZeroIsEPslEEPllNS8_6detail34convert_binary_result_type_wrapperINS8_3SumESD_lEEEE10hipError_tPvRmT1_T2_T3_mT4_P12ihipStream_tbEUlT_E1_NS1_11comp_targetILNS1_3genE2ELNS1_11target_archE906ELNS1_3gpuE6ELNS1_3repE0EEENS1_30default_config_static_selectorELNS0_4arch9wavefront6targetE1EEEvSM_, .Lfunc_end112-_ZN7rocprim17ROCPRIM_400000_NS6detail17trampoline_kernelINS0_14default_configENS1_22reduce_config_selectorIbEEZNS1_11reduce_implILb1ES3_N6hipcub16HIPCUB_304000_NS22TransformInputIteratorIb7NonZeroIsEPslEEPllNS8_6detail34convert_binary_result_type_wrapperINS8_3SumESD_lEEEE10hipError_tPvRmT1_T2_T3_mT4_P12ihipStream_tbEUlT_E1_NS1_11comp_targetILNS1_3genE2ELNS1_11target_archE906ELNS1_3gpuE6ELNS1_3repE0EEENS1_30default_config_static_selectorELNS0_4arch9wavefront6targetE1EEEvSM_
                                        ; -- End function
	.set _ZN7rocprim17ROCPRIM_400000_NS6detail17trampoline_kernelINS0_14default_configENS1_22reduce_config_selectorIbEEZNS1_11reduce_implILb1ES3_N6hipcub16HIPCUB_304000_NS22TransformInputIteratorIb7NonZeroIsEPslEEPllNS8_6detail34convert_binary_result_type_wrapperINS8_3SumESD_lEEEE10hipError_tPvRmT1_T2_T3_mT4_P12ihipStream_tbEUlT_E1_NS1_11comp_targetILNS1_3genE2ELNS1_11target_archE906ELNS1_3gpuE6ELNS1_3repE0EEENS1_30default_config_static_selectorELNS0_4arch9wavefront6targetE1EEEvSM_.num_vgpr, 256
	.set _ZN7rocprim17ROCPRIM_400000_NS6detail17trampoline_kernelINS0_14default_configENS1_22reduce_config_selectorIbEEZNS1_11reduce_implILb1ES3_N6hipcub16HIPCUB_304000_NS22TransformInputIteratorIb7NonZeroIsEPslEEPllNS8_6detail34convert_binary_result_type_wrapperINS8_3SumESD_lEEEE10hipError_tPvRmT1_T2_T3_mT4_P12ihipStream_tbEUlT_E1_NS1_11comp_targetILNS1_3genE2ELNS1_11target_archE906ELNS1_3gpuE6ELNS1_3repE0EEENS1_30default_config_static_selectorELNS0_4arch9wavefront6targetE1EEEvSM_.num_agpr, 0
	.set _ZN7rocprim17ROCPRIM_400000_NS6detail17trampoline_kernelINS0_14default_configENS1_22reduce_config_selectorIbEEZNS1_11reduce_implILb1ES3_N6hipcub16HIPCUB_304000_NS22TransformInputIteratorIb7NonZeroIsEPslEEPllNS8_6detail34convert_binary_result_type_wrapperINS8_3SumESD_lEEEE10hipError_tPvRmT1_T2_T3_mT4_P12ihipStream_tbEUlT_E1_NS1_11comp_targetILNS1_3genE2ELNS1_11target_archE906ELNS1_3gpuE6ELNS1_3repE0EEENS1_30default_config_static_selectorELNS0_4arch9wavefront6targetE1EEEvSM_.numbered_sgpr, 40
	.set _ZN7rocprim17ROCPRIM_400000_NS6detail17trampoline_kernelINS0_14default_configENS1_22reduce_config_selectorIbEEZNS1_11reduce_implILb1ES3_N6hipcub16HIPCUB_304000_NS22TransformInputIteratorIb7NonZeroIsEPslEEPllNS8_6detail34convert_binary_result_type_wrapperINS8_3SumESD_lEEEE10hipError_tPvRmT1_T2_T3_mT4_P12ihipStream_tbEUlT_E1_NS1_11comp_targetILNS1_3genE2ELNS1_11target_archE906ELNS1_3gpuE6ELNS1_3repE0EEENS1_30default_config_static_selectorELNS0_4arch9wavefront6targetE1EEEvSM_.num_named_barrier, 0
	.set _ZN7rocprim17ROCPRIM_400000_NS6detail17trampoline_kernelINS0_14default_configENS1_22reduce_config_selectorIbEEZNS1_11reduce_implILb1ES3_N6hipcub16HIPCUB_304000_NS22TransformInputIteratorIb7NonZeroIsEPslEEPllNS8_6detail34convert_binary_result_type_wrapperINS8_3SumESD_lEEEE10hipError_tPvRmT1_T2_T3_mT4_P12ihipStream_tbEUlT_E1_NS1_11comp_targetILNS1_3genE2ELNS1_11target_archE906ELNS1_3gpuE6ELNS1_3repE0EEENS1_30default_config_static_selectorELNS0_4arch9wavefront6targetE1EEEvSM_.private_seg_size, 20
	.set _ZN7rocprim17ROCPRIM_400000_NS6detail17trampoline_kernelINS0_14default_configENS1_22reduce_config_selectorIbEEZNS1_11reduce_implILb1ES3_N6hipcub16HIPCUB_304000_NS22TransformInputIteratorIb7NonZeroIsEPslEEPllNS8_6detail34convert_binary_result_type_wrapperINS8_3SumESD_lEEEE10hipError_tPvRmT1_T2_T3_mT4_P12ihipStream_tbEUlT_E1_NS1_11comp_targetILNS1_3genE2ELNS1_11target_archE906ELNS1_3gpuE6ELNS1_3repE0EEENS1_30default_config_static_selectorELNS0_4arch9wavefront6targetE1EEEvSM_.uses_vcc, 1
	.set _ZN7rocprim17ROCPRIM_400000_NS6detail17trampoline_kernelINS0_14default_configENS1_22reduce_config_selectorIbEEZNS1_11reduce_implILb1ES3_N6hipcub16HIPCUB_304000_NS22TransformInputIteratorIb7NonZeroIsEPslEEPllNS8_6detail34convert_binary_result_type_wrapperINS8_3SumESD_lEEEE10hipError_tPvRmT1_T2_T3_mT4_P12ihipStream_tbEUlT_E1_NS1_11comp_targetILNS1_3genE2ELNS1_11target_archE906ELNS1_3gpuE6ELNS1_3repE0EEENS1_30default_config_static_selectorELNS0_4arch9wavefront6targetE1EEEvSM_.uses_flat_scratch, 0
	.set _ZN7rocprim17ROCPRIM_400000_NS6detail17trampoline_kernelINS0_14default_configENS1_22reduce_config_selectorIbEEZNS1_11reduce_implILb1ES3_N6hipcub16HIPCUB_304000_NS22TransformInputIteratorIb7NonZeroIsEPslEEPllNS8_6detail34convert_binary_result_type_wrapperINS8_3SumESD_lEEEE10hipError_tPvRmT1_T2_T3_mT4_P12ihipStream_tbEUlT_E1_NS1_11comp_targetILNS1_3genE2ELNS1_11target_archE906ELNS1_3gpuE6ELNS1_3repE0EEENS1_30default_config_static_selectorELNS0_4arch9wavefront6targetE1EEEvSM_.has_dyn_sized_stack, 0
	.set _ZN7rocprim17ROCPRIM_400000_NS6detail17trampoline_kernelINS0_14default_configENS1_22reduce_config_selectorIbEEZNS1_11reduce_implILb1ES3_N6hipcub16HIPCUB_304000_NS22TransformInputIteratorIb7NonZeroIsEPslEEPllNS8_6detail34convert_binary_result_type_wrapperINS8_3SumESD_lEEEE10hipError_tPvRmT1_T2_T3_mT4_P12ihipStream_tbEUlT_E1_NS1_11comp_targetILNS1_3genE2ELNS1_11target_archE906ELNS1_3gpuE6ELNS1_3repE0EEENS1_30default_config_static_selectorELNS0_4arch9wavefront6targetE1EEEvSM_.has_recursion, 0
	.set _ZN7rocprim17ROCPRIM_400000_NS6detail17trampoline_kernelINS0_14default_configENS1_22reduce_config_selectorIbEEZNS1_11reduce_implILb1ES3_N6hipcub16HIPCUB_304000_NS22TransformInputIteratorIb7NonZeroIsEPslEEPllNS8_6detail34convert_binary_result_type_wrapperINS8_3SumESD_lEEEE10hipError_tPvRmT1_T2_T3_mT4_P12ihipStream_tbEUlT_E1_NS1_11comp_targetILNS1_3genE2ELNS1_11target_archE906ELNS1_3gpuE6ELNS1_3repE0EEENS1_30default_config_static_selectorELNS0_4arch9wavefront6targetE1EEEvSM_.has_indirect_call, 0
	.section	.AMDGPU.csdata,"",@progbits
; Kernel info:
; codeLenInByte = 37012
; TotalNumSgprs: 44
; NumVgprs: 256
; ScratchSize: 20
; MemoryBound: 0
; FloatMode: 240
; IeeeMode: 1
; LDSByteSize: 144 bytes/workgroup (compile time only)
; SGPRBlocks: 5
; VGPRBlocks: 63
; NumSGPRsForWavesPerEU: 44
; NumVGPRsForWavesPerEU: 256
; Occupancy: 1
; WaveLimiterHint : 1
; COMPUTE_PGM_RSRC2:SCRATCH_EN: 1
; COMPUTE_PGM_RSRC2:USER_SGPR: 6
; COMPUTE_PGM_RSRC2:TRAP_HANDLER: 0
; COMPUTE_PGM_RSRC2:TGID_X_EN: 1
; COMPUTE_PGM_RSRC2:TGID_Y_EN: 0
; COMPUTE_PGM_RSRC2:TGID_Z_EN: 0
; COMPUTE_PGM_RSRC2:TIDIG_COMP_CNT: 0
	.section	.text._ZN7rocprim17ROCPRIM_400000_NS6detail17trampoline_kernelINS0_14default_configENS1_22reduce_config_selectorIbEEZNS1_11reduce_implILb1ES3_N6hipcub16HIPCUB_304000_NS22TransformInputIteratorIb7NonZeroIsEPslEEPllNS8_6detail34convert_binary_result_type_wrapperINS8_3SumESD_lEEEE10hipError_tPvRmT1_T2_T3_mT4_P12ihipStream_tbEUlT_E1_NS1_11comp_targetILNS1_3genE10ELNS1_11target_archE1201ELNS1_3gpuE5ELNS1_3repE0EEENS1_30default_config_static_selectorELNS0_4arch9wavefront6targetE1EEEvSM_,"axG",@progbits,_ZN7rocprim17ROCPRIM_400000_NS6detail17trampoline_kernelINS0_14default_configENS1_22reduce_config_selectorIbEEZNS1_11reduce_implILb1ES3_N6hipcub16HIPCUB_304000_NS22TransformInputIteratorIb7NonZeroIsEPslEEPllNS8_6detail34convert_binary_result_type_wrapperINS8_3SumESD_lEEEE10hipError_tPvRmT1_T2_T3_mT4_P12ihipStream_tbEUlT_E1_NS1_11comp_targetILNS1_3genE10ELNS1_11target_archE1201ELNS1_3gpuE5ELNS1_3repE0EEENS1_30default_config_static_selectorELNS0_4arch9wavefront6targetE1EEEvSM_,comdat
	.protected	_ZN7rocprim17ROCPRIM_400000_NS6detail17trampoline_kernelINS0_14default_configENS1_22reduce_config_selectorIbEEZNS1_11reduce_implILb1ES3_N6hipcub16HIPCUB_304000_NS22TransformInputIteratorIb7NonZeroIsEPslEEPllNS8_6detail34convert_binary_result_type_wrapperINS8_3SumESD_lEEEE10hipError_tPvRmT1_T2_T3_mT4_P12ihipStream_tbEUlT_E1_NS1_11comp_targetILNS1_3genE10ELNS1_11target_archE1201ELNS1_3gpuE5ELNS1_3repE0EEENS1_30default_config_static_selectorELNS0_4arch9wavefront6targetE1EEEvSM_ ; -- Begin function _ZN7rocprim17ROCPRIM_400000_NS6detail17trampoline_kernelINS0_14default_configENS1_22reduce_config_selectorIbEEZNS1_11reduce_implILb1ES3_N6hipcub16HIPCUB_304000_NS22TransformInputIteratorIb7NonZeroIsEPslEEPllNS8_6detail34convert_binary_result_type_wrapperINS8_3SumESD_lEEEE10hipError_tPvRmT1_T2_T3_mT4_P12ihipStream_tbEUlT_E1_NS1_11comp_targetILNS1_3genE10ELNS1_11target_archE1201ELNS1_3gpuE5ELNS1_3repE0EEENS1_30default_config_static_selectorELNS0_4arch9wavefront6targetE1EEEvSM_
	.globl	_ZN7rocprim17ROCPRIM_400000_NS6detail17trampoline_kernelINS0_14default_configENS1_22reduce_config_selectorIbEEZNS1_11reduce_implILb1ES3_N6hipcub16HIPCUB_304000_NS22TransformInputIteratorIb7NonZeroIsEPslEEPllNS8_6detail34convert_binary_result_type_wrapperINS8_3SumESD_lEEEE10hipError_tPvRmT1_T2_T3_mT4_P12ihipStream_tbEUlT_E1_NS1_11comp_targetILNS1_3genE10ELNS1_11target_archE1201ELNS1_3gpuE5ELNS1_3repE0EEENS1_30default_config_static_selectorELNS0_4arch9wavefront6targetE1EEEvSM_
	.p2align	8
	.type	_ZN7rocprim17ROCPRIM_400000_NS6detail17trampoline_kernelINS0_14default_configENS1_22reduce_config_selectorIbEEZNS1_11reduce_implILb1ES3_N6hipcub16HIPCUB_304000_NS22TransformInputIteratorIb7NonZeroIsEPslEEPllNS8_6detail34convert_binary_result_type_wrapperINS8_3SumESD_lEEEE10hipError_tPvRmT1_T2_T3_mT4_P12ihipStream_tbEUlT_E1_NS1_11comp_targetILNS1_3genE10ELNS1_11target_archE1201ELNS1_3gpuE5ELNS1_3repE0EEENS1_30default_config_static_selectorELNS0_4arch9wavefront6targetE1EEEvSM_,@function
_ZN7rocprim17ROCPRIM_400000_NS6detail17trampoline_kernelINS0_14default_configENS1_22reduce_config_selectorIbEEZNS1_11reduce_implILb1ES3_N6hipcub16HIPCUB_304000_NS22TransformInputIteratorIb7NonZeroIsEPslEEPllNS8_6detail34convert_binary_result_type_wrapperINS8_3SumESD_lEEEE10hipError_tPvRmT1_T2_T3_mT4_P12ihipStream_tbEUlT_E1_NS1_11comp_targetILNS1_3genE10ELNS1_11target_archE1201ELNS1_3gpuE5ELNS1_3repE0EEENS1_30default_config_static_selectorELNS0_4arch9wavefront6targetE1EEEvSM_: ; @_ZN7rocprim17ROCPRIM_400000_NS6detail17trampoline_kernelINS0_14default_configENS1_22reduce_config_selectorIbEEZNS1_11reduce_implILb1ES3_N6hipcub16HIPCUB_304000_NS22TransformInputIteratorIb7NonZeroIsEPslEEPllNS8_6detail34convert_binary_result_type_wrapperINS8_3SumESD_lEEEE10hipError_tPvRmT1_T2_T3_mT4_P12ihipStream_tbEUlT_E1_NS1_11comp_targetILNS1_3genE10ELNS1_11target_archE1201ELNS1_3gpuE5ELNS1_3repE0EEENS1_30default_config_static_selectorELNS0_4arch9wavefront6targetE1EEEvSM_
; %bb.0:
	.section	.rodata,"a",@progbits
	.p2align	6, 0x0
	.amdhsa_kernel _ZN7rocprim17ROCPRIM_400000_NS6detail17trampoline_kernelINS0_14default_configENS1_22reduce_config_selectorIbEEZNS1_11reduce_implILb1ES3_N6hipcub16HIPCUB_304000_NS22TransformInputIteratorIb7NonZeroIsEPslEEPllNS8_6detail34convert_binary_result_type_wrapperINS8_3SumESD_lEEEE10hipError_tPvRmT1_T2_T3_mT4_P12ihipStream_tbEUlT_E1_NS1_11comp_targetILNS1_3genE10ELNS1_11target_archE1201ELNS1_3gpuE5ELNS1_3repE0EEENS1_30default_config_static_selectorELNS0_4arch9wavefront6targetE1EEEvSM_
		.amdhsa_group_segment_fixed_size 0
		.amdhsa_private_segment_fixed_size 0
		.amdhsa_kernarg_size 56
		.amdhsa_user_sgpr_count 6
		.amdhsa_user_sgpr_private_segment_buffer 1
		.amdhsa_user_sgpr_dispatch_ptr 0
		.amdhsa_user_sgpr_queue_ptr 0
		.amdhsa_user_sgpr_kernarg_segment_ptr 1
		.amdhsa_user_sgpr_dispatch_id 0
		.amdhsa_user_sgpr_flat_scratch_init 0
		.amdhsa_user_sgpr_private_segment_size 0
		.amdhsa_uses_dynamic_stack 0
		.amdhsa_system_sgpr_private_segment_wavefront_offset 0
		.amdhsa_system_sgpr_workgroup_id_x 1
		.amdhsa_system_sgpr_workgroup_id_y 0
		.amdhsa_system_sgpr_workgroup_id_z 0
		.amdhsa_system_sgpr_workgroup_info 0
		.amdhsa_system_vgpr_workitem_id 0
		.amdhsa_next_free_vgpr 1
		.amdhsa_next_free_sgpr 0
		.amdhsa_reserve_vcc 0
		.amdhsa_reserve_flat_scratch 0
		.amdhsa_float_round_mode_32 0
		.amdhsa_float_round_mode_16_64 0
		.amdhsa_float_denorm_mode_32 3
		.amdhsa_float_denorm_mode_16_64 3
		.amdhsa_dx10_clamp 1
		.amdhsa_ieee_mode 1
		.amdhsa_fp16_overflow 0
		.amdhsa_exception_fp_ieee_invalid_op 0
		.amdhsa_exception_fp_denorm_src 0
		.amdhsa_exception_fp_ieee_div_zero 0
		.amdhsa_exception_fp_ieee_overflow 0
		.amdhsa_exception_fp_ieee_underflow 0
		.amdhsa_exception_fp_ieee_inexact 0
		.amdhsa_exception_int_div_zero 0
	.end_amdhsa_kernel
	.section	.text._ZN7rocprim17ROCPRIM_400000_NS6detail17trampoline_kernelINS0_14default_configENS1_22reduce_config_selectorIbEEZNS1_11reduce_implILb1ES3_N6hipcub16HIPCUB_304000_NS22TransformInputIteratorIb7NonZeroIsEPslEEPllNS8_6detail34convert_binary_result_type_wrapperINS8_3SumESD_lEEEE10hipError_tPvRmT1_T2_T3_mT4_P12ihipStream_tbEUlT_E1_NS1_11comp_targetILNS1_3genE10ELNS1_11target_archE1201ELNS1_3gpuE5ELNS1_3repE0EEENS1_30default_config_static_selectorELNS0_4arch9wavefront6targetE1EEEvSM_,"axG",@progbits,_ZN7rocprim17ROCPRIM_400000_NS6detail17trampoline_kernelINS0_14default_configENS1_22reduce_config_selectorIbEEZNS1_11reduce_implILb1ES3_N6hipcub16HIPCUB_304000_NS22TransformInputIteratorIb7NonZeroIsEPslEEPllNS8_6detail34convert_binary_result_type_wrapperINS8_3SumESD_lEEEE10hipError_tPvRmT1_T2_T3_mT4_P12ihipStream_tbEUlT_E1_NS1_11comp_targetILNS1_3genE10ELNS1_11target_archE1201ELNS1_3gpuE5ELNS1_3repE0EEENS1_30default_config_static_selectorELNS0_4arch9wavefront6targetE1EEEvSM_,comdat
.Lfunc_end113:
	.size	_ZN7rocprim17ROCPRIM_400000_NS6detail17trampoline_kernelINS0_14default_configENS1_22reduce_config_selectorIbEEZNS1_11reduce_implILb1ES3_N6hipcub16HIPCUB_304000_NS22TransformInputIteratorIb7NonZeroIsEPslEEPllNS8_6detail34convert_binary_result_type_wrapperINS8_3SumESD_lEEEE10hipError_tPvRmT1_T2_T3_mT4_P12ihipStream_tbEUlT_E1_NS1_11comp_targetILNS1_3genE10ELNS1_11target_archE1201ELNS1_3gpuE5ELNS1_3repE0EEENS1_30default_config_static_selectorELNS0_4arch9wavefront6targetE1EEEvSM_, .Lfunc_end113-_ZN7rocprim17ROCPRIM_400000_NS6detail17trampoline_kernelINS0_14default_configENS1_22reduce_config_selectorIbEEZNS1_11reduce_implILb1ES3_N6hipcub16HIPCUB_304000_NS22TransformInputIteratorIb7NonZeroIsEPslEEPllNS8_6detail34convert_binary_result_type_wrapperINS8_3SumESD_lEEEE10hipError_tPvRmT1_T2_T3_mT4_P12ihipStream_tbEUlT_E1_NS1_11comp_targetILNS1_3genE10ELNS1_11target_archE1201ELNS1_3gpuE5ELNS1_3repE0EEENS1_30default_config_static_selectorELNS0_4arch9wavefront6targetE1EEEvSM_
                                        ; -- End function
	.set _ZN7rocprim17ROCPRIM_400000_NS6detail17trampoline_kernelINS0_14default_configENS1_22reduce_config_selectorIbEEZNS1_11reduce_implILb1ES3_N6hipcub16HIPCUB_304000_NS22TransformInputIteratorIb7NonZeroIsEPslEEPllNS8_6detail34convert_binary_result_type_wrapperINS8_3SumESD_lEEEE10hipError_tPvRmT1_T2_T3_mT4_P12ihipStream_tbEUlT_E1_NS1_11comp_targetILNS1_3genE10ELNS1_11target_archE1201ELNS1_3gpuE5ELNS1_3repE0EEENS1_30default_config_static_selectorELNS0_4arch9wavefront6targetE1EEEvSM_.num_vgpr, 0
	.set _ZN7rocprim17ROCPRIM_400000_NS6detail17trampoline_kernelINS0_14default_configENS1_22reduce_config_selectorIbEEZNS1_11reduce_implILb1ES3_N6hipcub16HIPCUB_304000_NS22TransformInputIteratorIb7NonZeroIsEPslEEPllNS8_6detail34convert_binary_result_type_wrapperINS8_3SumESD_lEEEE10hipError_tPvRmT1_T2_T3_mT4_P12ihipStream_tbEUlT_E1_NS1_11comp_targetILNS1_3genE10ELNS1_11target_archE1201ELNS1_3gpuE5ELNS1_3repE0EEENS1_30default_config_static_selectorELNS0_4arch9wavefront6targetE1EEEvSM_.num_agpr, 0
	.set _ZN7rocprim17ROCPRIM_400000_NS6detail17trampoline_kernelINS0_14default_configENS1_22reduce_config_selectorIbEEZNS1_11reduce_implILb1ES3_N6hipcub16HIPCUB_304000_NS22TransformInputIteratorIb7NonZeroIsEPslEEPllNS8_6detail34convert_binary_result_type_wrapperINS8_3SumESD_lEEEE10hipError_tPvRmT1_T2_T3_mT4_P12ihipStream_tbEUlT_E1_NS1_11comp_targetILNS1_3genE10ELNS1_11target_archE1201ELNS1_3gpuE5ELNS1_3repE0EEENS1_30default_config_static_selectorELNS0_4arch9wavefront6targetE1EEEvSM_.numbered_sgpr, 0
	.set _ZN7rocprim17ROCPRIM_400000_NS6detail17trampoline_kernelINS0_14default_configENS1_22reduce_config_selectorIbEEZNS1_11reduce_implILb1ES3_N6hipcub16HIPCUB_304000_NS22TransformInputIteratorIb7NonZeroIsEPslEEPllNS8_6detail34convert_binary_result_type_wrapperINS8_3SumESD_lEEEE10hipError_tPvRmT1_T2_T3_mT4_P12ihipStream_tbEUlT_E1_NS1_11comp_targetILNS1_3genE10ELNS1_11target_archE1201ELNS1_3gpuE5ELNS1_3repE0EEENS1_30default_config_static_selectorELNS0_4arch9wavefront6targetE1EEEvSM_.num_named_barrier, 0
	.set _ZN7rocprim17ROCPRIM_400000_NS6detail17trampoline_kernelINS0_14default_configENS1_22reduce_config_selectorIbEEZNS1_11reduce_implILb1ES3_N6hipcub16HIPCUB_304000_NS22TransformInputIteratorIb7NonZeroIsEPslEEPllNS8_6detail34convert_binary_result_type_wrapperINS8_3SumESD_lEEEE10hipError_tPvRmT1_T2_T3_mT4_P12ihipStream_tbEUlT_E1_NS1_11comp_targetILNS1_3genE10ELNS1_11target_archE1201ELNS1_3gpuE5ELNS1_3repE0EEENS1_30default_config_static_selectorELNS0_4arch9wavefront6targetE1EEEvSM_.private_seg_size, 0
	.set _ZN7rocprim17ROCPRIM_400000_NS6detail17trampoline_kernelINS0_14default_configENS1_22reduce_config_selectorIbEEZNS1_11reduce_implILb1ES3_N6hipcub16HIPCUB_304000_NS22TransformInputIteratorIb7NonZeroIsEPslEEPllNS8_6detail34convert_binary_result_type_wrapperINS8_3SumESD_lEEEE10hipError_tPvRmT1_T2_T3_mT4_P12ihipStream_tbEUlT_E1_NS1_11comp_targetILNS1_3genE10ELNS1_11target_archE1201ELNS1_3gpuE5ELNS1_3repE0EEENS1_30default_config_static_selectorELNS0_4arch9wavefront6targetE1EEEvSM_.uses_vcc, 0
	.set _ZN7rocprim17ROCPRIM_400000_NS6detail17trampoline_kernelINS0_14default_configENS1_22reduce_config_selectorIbEEZNS1_11reduce_implILb1ES3_N6hipcub16HIPCUB_304000_NS22TransformInputIteratorIb7NonZeroIsEPslEEPllNS8_6detail34convert_binary_result_type_wrapperINS8_3SumESD_lEEEE10hipError_tPvRmT1_T2_T3_mT4_P12ihipStream_tbEUlT_E1_NS1_11comp_targetILNS1_3genE10ELNS1_11target_archE1201ELNS1_3gpuE5ELNS1_3repE0EEENS1_30default_config_static_selectorELNS0_4arch9wavefront6targetE1EEEvSM_.uses_flat_scratch, 0
	.set _ZN7rocprim17ROCPRIM_400000_NS6detail17trampoline_kernelINS0_14default_configENS1_22reduce_config_selectorIbEEZNS1_11reduce_implILb1ES3_N6hipcub16HIPCUB_304000_NS22TransformInputIteratorIb7NonZeroIsEPslEEPllNS8_6detail34convert_binary_result_type_wrapperINS8_3SumESD_lEEEE10hipError_tPvRmT1_T2_T3_mT4_P12ihipStream_tbEUlT_E1_NS1_11comp_targetILNS1_3genE10ELNS1_11target_archE1201ELNS1_3gpuE5ELNS1_3repE0EEENS1_30default_config_static_selectorELNS0_4arch9wavefront6targetE1EEEvSM_.has_dyn_sized_stack, 0
	.set _ZN7rocprim17ROCPRIM_400000_NS6detail17trampoline_kernelINS0_14default_configENS1_22reduce_config_selectorIbEEZNS1_11reduce_implILb1ES3_N6hipcub16HIPCUB_304000_NS22TransformInputIteratorIb7NonZeroIsEPslEEPllNS8_6detail34convert_binary_result_type_wrapperINS8_3SumESD_lEEEE10hipError_tPvRmT1_T2_T3_mT4_P12ihipStream_tbEUlT_E1_NS1_11comp_targetILNS1_3genE10ELNS1_11target_archE1201ELNS1_3gpuE5ELNS1_3repE0EEENS1_30default_config_static_selectorELNS0_4arch9wavefront6targetE1EEEvSM_.has_recursion, 0
	.set _ZN7rocprim17ROCPRIM_400000_NS6detail17trampoline_kernelINS0_14default_configENS1_22reduce_config_selectorIbEEZNS1_11reduce_implILb1ES3_N6hipcub16HIPCUB_304000_NS22TransformInputIteratorIb7NonZeroIsEPslEEPllNS8_6detail34convert_binary_result_type_wrapperINS8_3SumESD_lEEEE10hipError_tPvRmT1_T2_T3_mT4_P12ihipStream_tbEUlT_E1_NS1_11comp_targetILNS1_3genE10ELNS1_11target_archE1201ELNS1_3gpuE5ELNS1_3repE0EEENS1_30default_config_static_selectorELNS0_4arch9wavefront6targetE1EEEvSM_.has_indirect_call, 0
	.section	.AMDGPU.csdata,"",@progbits
; Kernel info:
; codeLenInByte = 0
; TotalNumSgprs: 4
; NumVgprs: 0
; ScratchSize: 0
; MemoryBound: 0
; FloatMode: 240
; IeeeMode: 1
; LDSByteSize: 0 bytes/workgroup (compile time only)
; SGPRBlocks: 0
; VGPRBlocks: 0
; NumSGPRsForWavesPerEU: 4
; NumVGPRsForWavesPerEU: 1
; Occupancy: 10
; WaveLimiterHint : 0
; COMPUTE_PGM_RSRC2:SCRATCH_EN: 0
; COMPUTE_PGM_RSRC2:USER_SGPR: 6
; COMPUTE_PGM_RSRC2:TRAP_HANDLER: 0
; COMPUTE_PGM_RSRC2:TGID_X_EN: 1
; COMPUTE_PGM_RSRC2:TGID_Y_EN: 0
; COMPUTE_PGM_RSRC2:TGID_Z_EN: 0
; COMPUTE_PGM_RSRC2:TIDIG_COMP_CNT: 0
	.section	.text._ZN7rocprim17ROCPRIM_400000_NS6detail17trampoline_kernelINS0_14default_configENS1_22reduce_config_selectorIbEEZNS1_11reduce_implILb1ES3_N6hipcub16HIPCUB_304000_NS22TransformInputIteratorIb7NonZeroIsEPslEEPllNS8_6detail34convert_binary_result_type_wrapperINS8_3SumESD_lEEEE10hipError_tPvRmT1_T2_T3_mT4_P12ihipStream_tbEUlT_E1_NS1_11comp_targetILNS1_3genE10ELNS1_11target_archE1200ELNS1_3gpuE4ELNS1_3repE0EEENS1_30default_config_static_selectorELNS0_4arch9wavefront6targetE1EEEvSM_,"axG",@progbits,_ZN7rocprim17ROCPRIM_400000_NS6detail17trampoline_kernelINS0_14default_configENS1_22reduce_config_selectorIbEEZNS1_11reduce_implILb1ES3_N6hipcub16HIPCUB_304000_NS22TransformInputIteratorIb7NonZeroIsEPslEEPllNS8_6detail34convert_binary_result_type_wrapperINS8_3SumESD_lEEEE10hipError_tPvRmT1_T2_T3_mT4_P12ihipStream_tbEUlT_E1_NS1_11comp_targetILNS1_3genE10ELNS1_11target_archE1200ELNS1_3gpuE4ELNS1_3repE0EEENS1_30default_config_static_selectorELNS0_4arch9wavefront6targetE1EEEvSM_,comdat
	.protected	_ZN7rocprim17ROCPRIM_400000_NS6detail17trampoline_kernelINS0_14default_configENS1_22reduce_config_selectorIbEEZNS1_11reduce_implILb1ES3_N6hipcub16HIPCUB_304000_NS22TransformInputIteratorIb7NonZeroIsEPslEEPllNS8_6detail34convert_binary_result_type_wrapperINS8_3SumESD_lEEEE10hipError_tPvRmT1_T2_T3_mT4_P12ihipStream_tbEUlT_E1_NS1_11comp_targetILNS1_3genE10ELNS1_11target_archE1200ELNS1_3gpuE4ELNS1_3repE0EEENS1_30default_config_static_selectorELNS0_4arch9wavefront6targetE1EEEvSM_ ; -- Begin function _ZN7rocprim17ROCPRIM_400000_NS6detail17trampoline_kernelINS0_14default_configENS1_22reduce_config_selectorIbEEZNS1_11reduce_implILb1ES3_N6hipcub16HIPCUB_304000_NS22TransformInputIteratorIb7NonZeroIsEPslEEPllNS8_6detail34convert_binary_result_type_wrapperINS8_3SumESD_lEEEE10hipError_tPvRmT1_T2_T3_mT4_P12ihipStream_tbEUlT_E1_NS1_11comp_targetILNS1_3genE10ELNS1_11target_archE1200ELNS1_3gpuE4ELNS1_3repE0EEENS1_30default_config_static_selectorELNS0_4arch9wavefront6targetE1EEEvSM_
	.globl	_ZN7rocprim17ROCPRIM_400000_NS6detail17trampoline_kernelINS0_14default_configENS1_22reduce_config_selectorIbEEZNS1_11reduce_implILb1ES3_N6hipcub16HIPCUB_304000_NS22TransformInputIteratorIb7NonZeroIsEPslEEPllNS8_6detail34convert_binary_result_type_wrapperINS8_3SumESD_lEEEE10hipError_tPvRmT1_T2_T3_mT4_P12ihipStream_tbEUlT_E1_NS1_11comp_targetILNS1_3genE10ELNS1_11target_archE1200ELNS1_3gpuE4ELNS1_3repE0EEENS1_30default_config_static_selectorELNS0_4arch9wavefront6targetE1EEEvSM_
	.p2align	8
	.type	_ZN7rocprim17ROCPRIM_400000_NS6detail17trampoline_kernelINS0_14default_configENS1_22reduce_config_selectorIbEEZNS1_11reduce_implILb1ES3_N6hipcub16HIPCUB_304000_NS22TransformInputIteratorIb7NonZeroIsEPslEEPllNS8_6detail34convert_binary_result_type_wrapperINS8_3SumESD_lEEEE10hipError_tPvRmT1_T2_T3_mT4_P12ihipStream_tbEUlT_E1_NS1_11comp_targetILNS1_3genE10ELNS1_11target_archE1200ELNS1_3gpuE4ELNS1_3repE0EEENS1_30default_config_static_selectorELNS0_4arch9wavefront6targetE1EEEvSM_,@function
_ZN7rocprim17ROCPRIM_400000_NS6detail17trampoline_kernelINS0_14default_configENS1_22reduce_config_selectorIbEEZNS1_11reduce_implILb1ES3_N6hipcub16HIPCUB_304000_NS22TransformInputIteratorIb7NonZeroIsEPslEEPllNS8_6detail34convert_binary_result_type_wrapperINS8_3SumESD_lEEEE10hipError_tPvRmT1_T2_T3_mT4_P12ihipStream_tbEUlT_E1_NS1_11comp_targetILNS1_3genE10ELNS1_11target_archE1200ELNS1_3gpuE4ELNS1_3repE0EEENS1_30default_config_static_selectorELNS0_4arch9wavefront6targetE1EEEvSM_: ; @_ZN7rocprim17ROCPRIM_400000_NS6detail17trampoline_kernelINS0_14default_configENS1_22reduce_config_selectorIbEEZNS1_11reduce_implILb1ES3_N6hipcub16HIPCUB_304000_NS22TransformInputIteratorIb7NonZeroIsEPslEEPllNS8_6detail34convert_binary_result_type_wrapperINS8_3SumESD_lEEEE10hipError_tPvRmT1_T2_T3_mT4_P12ihipStream_tbEUlT_E1_NS1_11comp_targetILNS1_3genE10ELNS1_11target_archE1200ELNS1_3gpuE4ELNS1_3repE0EEENS1_30default_config_static_selectorELNS0_4arch9wavefront6targetE1EEEvSM_
; %bb.0:
	.section	.rodata,"a",@progbits
	.p2align	6, 0x0
	.amdhsa_kernel _ZN7rocprim17ROCPRIM_400000_NS6detail17trampoline_kernelINS0_14default_configENS1_22reduce_config_selectorIbEEZNS1_11reduce_implILb1ES3_N6hipcub16HIPCUB_304000_NS22TransformInputIteratorIb7NonZeroIsEPslEEPllNS8_6detail34convert_binary_result_type_wrapperINS8_3SumESD_lEEEE10hipError_tPvRmT1_T2_T3_mT4_P12ihipStream_tbEUlT_E1_NS1_11comp_targetILNS1_3genE10ELNS1_11target_archE1200ELNS1_3gpuE4ELNS1_3repE0EEENS1_30default_config_static_selectorELNS0_4arch9wavefront6targetE1EEEvSM_
		.amdhsa_group_segment_fixed_size 0
		.amdhsa_private_segment_fixed_size 0
		.amdhsa_kernarg_size 56
		.amdhsa_user_sgpr_count 6
		.amdhsa_user_sgpr_private_segment_buffer 1
		.amdhsa_user_sgpr_dispatch_ptr 0
		.amdhsa_user_sgpr_queue_ptr 0
		.amdhsa_user_sgpr_kernarg_segment_ptr 1
		.amdhsa_user_sgpr_dispatch_id 0
		.amdhsa_user_sgpr_flat_scratch_init 0
		.amdhsa_user_sgpr_private_segment_size 0
		.amdhsa_uses_dynamic_stack 0
		.amdhsa_system_sgpr_private_segment_wavefront_offset 0
		.amdhsa_system_sgpr_workgroup_id_x 1
		.amdhsa_system_sgpr_workgroup_id_y 0
		.amdhsa_system_sgpr_workgroup_id_z 0
		.amdhsa_system_sgpr_workgroup_info 0
		.amdhsa_system_vgpr_workitem_id 0
		.amdhsa_next_free_vgpr 1
		.amdhsa_next_free_sgpr 0
		.amdhsa_reserve_vcc 0
		.amdhsa_reserve_flat_scratch 0
		.amdhsa_float_round_mode_32 0
		.amdhsa_float_round_mode_16_64 0
		.amdhsa_float_denorm_mode_32 3
		.amdhsa_float_denorm_mode_16_64 3
		.amdhsa_dx10_clamp 1
		.amdhsa_ieee_mode 1
		.amdhsa_fp16_overflow 0
		.amdhsa_exception_fp_ieee_invalid_op 0
		.amdhsa_exception_fp_denorm_src 0
		.amdhsa_exception_fp_ieee_div_zero 0
		.amdhsa_exception_fp_ieee_overflow 0
		.amdhsa_exception_fp_ieee_underflow 0
		.amdhsa_exception_fp_ieee_inexact 0
		.amdhsa_exception_int_div_zero 0
	.end_amdhsa_kernel
	.section	.text._ZN7rocprim17ROCPRIM_400000_NS6detail17trampoline_kernelINS0_14default_configENS1_22reduce_config_selectorIbEEZNS1_11reduce_implILb1ES3_N6hipcub16HIPCUB_304000_NS22TransformInputIteratorIb7NonZeroIsEPslEEPllNS8_6detail34convert_binary_result_type_wrapperINS8_3SumESD_lEEEE10hipError_tPvRmT1_T2_T3_mT4_P12ihipStream_tbEUlT_E1_NS1_11comp_targetILNS1_3genE10ELNS1_11target_archE1200ELNS1_3gpuE4ELNS1_3repE0EEENS1_30default_config_static_selectorELNS0_4arch9wavefront6targetE1EEEvSM_,"axG",@progbits,_ZN7rocprim17ROCPRIM_400000_NS6detail17trampoline_kernelINS0_14default_configENS1_22reduce_config_selectorIbEEZNS1_11reduce_implILb1ES3_N6hipcub16HIPCUB_304000_NS22TransformInputIteratorIb7NonZeroIsEPslEEPllNS8_6detail34convert_binary_result_type_wrapperINS8_3SumESD_lEEEE10hipError_tPvRmT1_T2_T3_mT4_P12ihipStream_tbEUlT_E1_NS1_11comp_targetILNS1_3genE10ELNS1_11target_archE1200ELNS1_3gpuE4ELNS1_3repE0EEENS1_30default_config_static_selectorELNS0_4arch9wavefront6targetE1EEEvSM_,comdat
.Lfunc_end114:
	.size	_ZN7rocprim17ROCPRIM_400000_NS6detail17trampoline_kernelINS0_14default_configENS1_22reduce_config_selectorIbEEZNS1_11reduce_implILb1ES3_N6hipcub16HIPCUB_304000_NS22TransformInputIteratorIb7NonZeroIsEPslEEPllNS8_6detail34convert_binary_result_type_wrapperINS8_3SumESD_lEEEE10hipError_tPvRmT1_T2_T3_mT4_P12ihipStream_tbEUlT_E1_NS1_11comp_targetILNS1_3genE10ELNS1_11target_archE1200ELNS1_3gpuE4ELNS1_3repE0EEENS1_30default_config_static_selectorELNS0_4arch9wavefront6targetE1EEEvSM_, .Lfunc_end114-_ZN7rocprim17ROCPRIM_400000_NS6detail17trampoline_kernelINS0_14default_configENS1_22reduce_config_selectorIbEEZNS1_11reduce_implILb1ES3_N6hipcub16HIPCUB_304000_NS22TransformInputIteratorIb7NonZeroIsEPslEEPllNS8_6detail34convert_binary_result_type_wrapperINS8_3SumESD_lEEEE10hipError_tPvRmT1_T2_T3_mT4_P12ihipStream_tbEUlT_E1_NS1_11comp_targetILNS1_3genE10ELNS1_11target_archE1200ELNS1_3gpuE4ELNS1_3repE0EEENS1_30default_config_static_selectorELNS0_4arch9wavefront6targetE1EEEvSM_
                                        ; -- End function
	.set _ZN7rocprim17ROCPRIM_400000_NS6detail17trampoline_kernelINS0_14default_configENS1_22reduce_config_selectorIbEEZNS1_11reduce_implILb1ES3_N6hipcub16HIPCUB_304000_NS22TransformInputIteratorIb7NonZeroIsEPslEEPllNS8_6detail34convert_binary_result_type_wrapperINS8_3SumESD_lEEEE10hipError_tPvRmT1_T2_T3_mT4_P12ihipStream_tbEUlT_E1_NS1_11comp_targetILNS1_3genE10ELNS1_11target_archE1200ELNS1_3gpuE4ELNS1_3repE0EEENS1_30default_config_static_selectorELNS0_4arch9wavefront6targetE1EEEvSM_.num_vgpr, 0
	.set _ZN7rocprim17ROCPRIM_400000_NS6detail17trampoline_kernelINS0_14default_configENS1_22reduce_config_selectorIbEEZNS1_11reduce_implILb1ES3_N6hipcub16HIPCUB_304000_NS22TransformInputIteratorIb7NonZeroIsEPslEEPllNS8_6detail34convert_binary_result_type_wrapperINS8_3SumESD_lEEEE10hipError_tPvRmT1_T2_T3_mT4_P12ihipStream_tbEUlT_E1_NS1_11comp_targetILNS1_3genE10ELNS1_11target_archE1200ELNS1_3gpuE4ELNS1_3repE0EEENS1_30default_config_static_selectorELNS0_4arch9wavefront6targetE1EEEvSM_.num_agpr, 0
	.set _ZN7rocprim17ROCPRIM_400000_NS6detail17trampoline_kernelINS0_14default_configENS1_22reduce_config_selectorIbEEZNS1_11reduce_implILb1ES3_N6hipcub16HIPCUB_304000_NS22TransformInputIteratorIb7NonZeroIsEPslEEPllNS8_6detail34convert_binary_result_type_wrapperINS8_3SumESD_lEEEE10hipError_tPvRmT1_T2_T3_mT4_P12ihipStream_tbEUlT_E1_NS1_11comp_targetILNS1_3genE10ELNS1_11target_archE1200ELNS1_3gpuE4ELNS1_3repE0EEENS1_30default_config_static_selectorELNS0_4arch9wavefront6targetE1EEEvSM_.numbered_sgpr, 0
	.set _ZN7rocprim17ROCPRIM_400000_NS6detail17trampoline_kernelINS0_14default_configENS1_22reduce_config_selectorIbEEZNS1_11reduce_implILb1ES3_N6hipcub16HIPCUB_304000_NS22TransformInputIteratorIb7NonZeroIsEPslEEPllNS8_6detail34convert_binary_result_type_wrapperINS8_3SumESD_lEEEE10hipError_tPvRmT1_T2_T3_mT4_P12ihipStream_tbEUlT_E1_NS1_11comp_targetILNS1_3genE10ELNS1_11target_archE1200ELNS1_3gpuE4ELNS1_3repE0EEENS1_30default_config_static_selectorELNS0_4arch9wavefront6targetE1EEEvSM_.num_named_barrier, 0
	.set _ZN7rocprim17ROCPRIM_400000_NS6detail17trampoline_kernelINS0_14default_configENS1_22reduce_config_selectorIbEEZNS1_11reduce_implILb1ES3_N6hipcub16HIPCUB_304000_NS22TransformInputIteratorIb7NonZeroIsEPslEEPllNS8_6detail34convert_binary_result_type_wrapperINS8_3SumESD_lEEEE10hipError_tPvRmT1_T2_T3_mT4_P12ihipStream_tbEUlT_E1_NS1_11comp_targetILNS1_3genE10ELNS1_11target_archE1200ELNS1_3gpuE4ELNS1_3repE0EEENS1_30default_config_static_selectorELNS0_4arch9wavefront6targetE1EEEvSM_.private_seg_size, 0
	.set _ZN7rocprim17ROCPRIM_400000_NS6detail17trampoline_kernelINS0_14default_configENS1_22reduce_config_selectorIbEEZNS1_11reduce_implILb1ES3_N6hipcub16HIPCUB_304000_NS22TransformInputIteratorIb7NonZeroIsEPslEEPllNS8_6detail34convert_binary_result_type_wrapperINS8_3SumESD_lEEEE10hipError_tPvRmT1_T2_T3_mT4_P12ihipStream_tbEUlT_E1_NS1_11comp_targetILNS1_3genE10ELNS1_11target_archE1200ELNS1_3gpuE4ELNS1_3repE0EEENS1_30default_config_static_selectorELNS0_4arch9wavefront6targetE1EEEvSM_.uses_vcc, 0
	.set _ZN7rocprim17ROCPRIM_400000_NS6detail17trampoline_kernelINS0_14default_configENS1_22reduce_config_selectorIbEEZNS1_11reduce_implILb1ES3_N6hipcub16HIPCUB_304000_NS22TransformInputIteratorIb7NonZeroIsEPslEEPllNS8_6detail34convert_binary_result_type_wrapperINS8_3SumESD_lEEEE10hipError_tPvRmT1_T2_T3_mT4_P12ihipStream_tbEUlT_E1_NS1_11comp_targetILNS1_3genE10ELNS1_11target_archE1200ELNS1_3gpuE4ELNS1_3repE0EEENS1_30default_config_static_selectorELNS0_4arch9wavefront6targetE1EEEvSM_.uses_flat_scratch, 0
	.set _ZN7rocprim17ROCPRIM_400000_NS6detail17trampoline_kernelINS0_14default_configENS1_22reduce_config_selectorIbEEZNS1_11reduce_implILb1ES3_N6hipcub16HIPCUB_304000_NS22TransformInputIteratorIb7NonZeroIsEPslEEPllNS8_6detail34convert_binary_result_type_wrapperINS8_3SumESD_lEEEE10hipError_tPvRmT1_T2_T3_mT4_P12ihipStream_tbEUlT_E1_NS1_11comp_targetILNS1_3genE10ELNS1_11target_archE1200ELNS1_3gpuE4ELNS1_3repE0EEENS1_30default_config_static_selectorELNS0_4arch9wavefront6targetE1EEEvSM_.has_dyn_sized_stack, 0
	.set _ZN7rocprim17ROCPRIM_400000_NS6detail17trampoline_kernelINS0_14default_configENS1_22reduce_config_selectorIbEEZNS1_11reduce_implILb1ES3_N6hipcub16HIPCUB_304000_NS22TransformInputIteratorIb7NonZeroIsEPslEEPllNS8_6detail34convert_binary_result_type_wrapperINS8_3SumESD_lEEEE10hipError_tPvRmT1_T2_T3_mT4_P12ihipStream_tbEUlT_E1_NS1_11comp_targetILNS1_3genE10ELNS1_11target_archE1200ELNS1_3gpuE4ELNS1_3repE0EEENS1_30default_config_static_selectorELNS0_4arch9wavefront6targetE1EEEvSM_.has_recursion, 0
	.set _ZN7rocprim17ROCPRIM_400000_NS6detail17trampoline_kernelINS0_14default_configENS1_22reduce_config_selectorIbEEZNS1_11reduce_implILb1ES3_N6hipcub16HIPCUB_304000_NS22TransformInputIteratorIb7NonZeroIsEPslEEPllNS8_6detail34convert_binary_result_type_wrapperINS8_3SumESD_lEEEE10hipError_tPvRmT1_T2_T3_mT4_P12ihipStream_tbEUlT_E1_NS1_11comp_targetILNS1_3genE10ELNS1_11target_archE1200ELNS1_3gpuE4ELNS1_3repE0EEENS1_30default_config_static_selectorELNS0_4arch9wavefront6targetE1EEEvSM_.has_indirect_call, 0
	.section	.AMDGPU.csdata,"",@progbits
; Kernel info:
; codeLenInByte = 0
; TotalNumSgprs: 4
; NumVgprs: 0
; ScratchSize: 0
; MemoryBound: 0
; FloatMode: 240
; IeeeMode: 1
; LDSByteSize: 0 bytes/workgroup (compile time only)
; SGPRBlocks: 0
; VGPRBlocks: 0
; NumSGPRsForWavesPerEU: 4
; NumVGPRsForWavesPerEU: 1
; Occupancy: 10
; WaveLimiterHint : 0
; COMPUTE_PGM_RSRC2:SCRATCH_EN: 0
; COMPUTE_PGM_RSRC2:USER_SGPR: 6
; COMPUTE_PGM_RSRC2:TRAP_HANDLER: 0
; COMPUTE_PGM_RSRC2:TGID_X_EN: 1
; COMPUTE_PGM_RSRC2:TGID_Y_EN: 0
; COMPUTE_PGM_RSRC2:TGID_Z_EN: 0
; COMPUTE_PGM_RSRC2:TIDIG_COMP_CNT: 0
	.section	.text._ZN7rocprim17ROCPRIM_400000_NS6detail17trampoline_kernelINS0_14default_configENS1_22reduce_config_selectorIbEEZNS1_11reduce_implILb1ES3_N6hipcub16HIPCUB_304000_NS22TransformInputIteratorIb7NonZeroIsEPslEEPllNS8_6detail34convert_binary_result_type_wrapperINS8_3SumESD_lEEEE10hipError_tPvRmT1_T2_T3_mT4_P12ihipStream_tbEUlT_E1_NS1_11comp_targetILNS1_3genE9ELNS1_11target_archE1100ELNS1_3gpuE3ELNS1_3repE0EEENS1_30default_config_static_selectorELNS0_4arch9wavefront6targetE1EEEvSM_,"axG",@progbits,_ZN7rocprim17ROCPRIM_400000_NS6detail17trampoline_kernelINS0_14default_configENS1_22reduce_config_selectorIbEEZNS1_11reduce_implILb1ES3_N6hipcub16HIPCUB_304000_NS22TransformInputIteratorIb7NonZeroIsEPslEEPllNS8_6detail34convert_binary_result_type_wrapperINS8_3SumESD_lEEEE10hipError_tPvRmT1_T2_T3_mT4_P12ihipStream_tbEUlT_E1_NS1_11comp_targetILNS1_3genE9ELNS1_11target_archE1100ELNS1_3gpuE3ELNS1_3repE0EEENS1_30default_config_static_selectorELNS0_4arch9wavefront6targetE1EEEvSM_,comdat
	.protected	_ZN7rocprim17ROCPRIM_400000_NS6detail17trampoline_kernelINS0_14default_configENS1_22reduce_config_selectorIbEEZNS1_11reduce_implILb1ES3_N6hipcub16HIPCUB_304000_NS22TransformInputIteratorIb7NonZeroIsEPslEEPllNS8_6detail34convert_binary_result_type_wrapperINS8_3SumESD_lEEEE10hipError_tPvRmT1_T2_T3_mT4_P12ihipStream_tbEUlT_E1_NS1_11comp_targetILNS1_3genE9ELNS1_11target_archE1100ELNS1_3gpuE3ELNS1_3repE0EEENS1_30default_config_static_selectorELNS0_4arch9wavefront6targetE1EEEvSM_ ; -- Begin function _ZN7rocprim17ROCPRIM_400000_NS6detail17trampoline_kernelINS0_14default_configENS1_22reduce_config_selectorIbEEZNS1_11reduce_implILb1ES3_N6hipcub16HIPCUB_304000_NS22TransformInputIteratorIb7NonZeroIsEPslEEPllNS8_6detail34convert_binary_result_type_wrapperINS8_3SumESD_lEEEE10hipError_tPvRmT1_T2_T3_mT4_P12ihipStream_tbEUlT_E1_NS1_11comp_targetILNS1_3genE9ELNS1_11target_archE1100ELNS1_3gpuE3ELNS1_3repE0EEENS1_30default_config_static_selectorELNS0_4arch9wavefront6targetE1EEEvSM_
	.globl	_ZN7rocprim17ROCPRIM_400000_NS6detail17trampoline_kernelINS0_14default_configENS1_22reduce_config_selectorIbEEZNS1_11reduce_implILb1ES3_N6hipcub16HIPCUB_304000_NS22TransformInputIteratorIb7NonZeroIsEPslEEPllNS8_6detail34convert_binary_result_type_wrapperINS8_3SumESD_lEEEE10hipError_tPvRmT1_T2_T3_mT4_P12ihipStream_tbEUlT_E1_NS1_11comp_targetILNS1_3genE9ELNS1_11target_archE1100ELNS1_3gpuE3ELNS1_3repE0EEENS1_30default_config_static_selectorELNS0_4arch9wavefront6targetE1EEEvSM_
	.p2align	8
	.type	_ZN7rocprim17ROCPRIM_400000_NS6detail17trampoline_kernelINS0_14default_configENS1_22reduce_config_selectorIbEEZNS1_11reduce_implILb1ES3_N6hipcub16HIPCUB_304000_NS22TransformInputIteratorIb7NonZeroIsEPslEEPllNS8_6detail34convert_binary_result_type_wrapperINS8_3SumESD_lEEEE10hipError_tPvRmT1_T2_T3_mT4_P12ihipStream_tbEUlT_E1_NS1_11comp_targetILNS1_3genE9ELNS1_11target_archE1100ELNS1_3gpuE3ELNS1_3repE0EEENS1_30default_config_static_selectorELNS0_4arch9wavefront6targetE1EEEvSM_,@function
_ZN7rocprim17ROCPRIM_400000_NS6detail17trampoline_kernelINS0_14default_configENS1_22reduce_config_selectorIbEEZNS1_11reduce_implILb1ES3_N6hipcub16HIPCUB_304000_NS22TransformInputIteratorIb7NonZeroIsEPslEEPllNS8_6detail34convert_binary_result_type_wrapperINS8_3SumESD_lEEEE10hipError_tPvRmT1_T2_T3_mT4_P12ihipStream_tbEUlT_E1_NS1_11comp_targetILNS1_3genE9ELNS1_11target_archE1100ELNS1_3gpuE3ELNS1_3repE0EEENS1_30default_config_static_selectorELNS0_4arch9wavefront6targetE1EEEvSM_: ; @_ZN7rocprim17ROCPRIM_400000_NS6detail17trampoline_kernelINS0_14default_configENS1_22reduce_config_selectorIbEEZNS1_11reduce_implILb1ES3_N6hipcub16HIPCUB_304000_NS22TransformInputIteratorIb7NonZeroIsEPslEEPllNS8_6detail34convert_binary_result_type_wrapperINS8_3SumESD_lEEEE10hipError_tPvRmT1_T2_T3_mT4_P12ihipStream_tbEUlT_E1_NS1_11comp_targetILNS1_3genE9ELNS1_11target_archE1100ELNS1_3gpuE3ELNS1_3repE0EEENS1_30default_config_static_selectorELNS0_4arch9wavefront6targetE1EEEvSM_
; %bb.0:
	.section	.rodata,"a",@progbits
	.p2align	6, 0x0
	.amdhsa_kernel _ZN7rocprim17ROCPRIM_400000_NS6detail17trampoline_kernelINS0_14default_configENS1_22reduce_config_selectorIbEEZNS1_11reduce_implILb1ES3_N6hipcub16HIPCUB_304000_NS22TransformInputIteratorIb7NonZeroIsEPslEEPllNS8_6detail34convert_binary_result_type_wrapperINS8_3SumESD_lEEEE10hipError_tPvRmT1_T2_T3_mT4_P12ihipStream_tbEUlT_E1_NS1_11comp_targetILNS1_3genE9ELNS1_11target_archE1100ELNS1_3gpuE3ELNS1_3repE0EEENS1_30default_config_static_selectorELNS0_4arch9wavefront6targetE1EEEvSM_
		.amdhsa_group_segment_fixed_size 0
		.amdhsa_private_segment_fixed_size 0
		.amdhsa_kernarg_size 56
		.amdhsa_user_sgpr_count 6
		.amdhsa_user_sgpr_private_segment_buffer 1
		.amdhsa_user_sgpr_dispatch_ptr 0
		.amdhsa_user_sgpr_queue_ptr 0
		.amdhsa_user_sgpr_kernarg_segment_ptr 1
		.amdhsa_user_sgpr_dispatch_id 0
		.amdhsa_user_sgpr_flat_scratch_init 0
		.amdhsa_user_sgpr_private_segment_size 0
		.amdhsa_uses_dynamic_stack 0
		.amdhsa_system_sgpr_private_segment_wavefront_offset 0
		.amdhsa_system_sgpr_workgroup_id_x 1
		.amdhsa_system_sgpr_workgroup_id_y 0
		.amdhsa_system_sgpr_workgroup_id_z 0
		.amdhsa_system_sgpr_workgroup_info 0
		.amdhsa_system_vgpr_workitem_id 0
		.amdhsa_next_free_vgpr 1
		.amdhsa_next_free_sgpr 0
		.amdhsa_reserve_vcc 0
		.amdhsa_reserve_flat_scratch 0
		.amdhsa_float_round_mode_32 0
		.amdhsa_float_round_mode_16_64 0
		.amdhsa_float_denorm_mode_32 3
		.amdhsa_float_denorm_mode_16_64 3
		.amdhsa_dx10_clamp 1
		.amdhsa_ieee_mode 1
		.amdhsa_fp16_overflow 0
		.amdhsa_exception_fp_ieee_invalid_op 0
		.amdhsa_exception_fp_denorm_src 0
		.amdhsa_exception_fp_ieee_div_zero 0
		.amdhsa_exception_fp_ieee_overflow 0
		.amdhsa_exception_fp_ieee_underflow 0
		.amdhsa_exception_fp_ieee_inexact 0
		.amdhsa_exception_int_div_zero 0
	.end_amdhsa_kernel
	.section	.text._ZN7rocprim17ROCPRIM_400000_NS6detail17trampoline_kernelINS0_14default_configENS1_22reduce_config_selectorIbEEZNS1_11reduce_implILb1ES3_N6hipcub16HIPCUB_304000_NS22TransformInputIteratorIb7NonZeroIsEPslEEPllNS8_6detail34convert_binary_result_type_wrapperINS8_3SumESD_lEEEE10hipError_tPvRmT1_T2_T3_mT4_P12ihipStream_tbEUlT_E1_NS1_11comp_targetILNS1_3genE9ELNS1_11target_archE1100ELNS1_3gpuE3ELNS1_3repE0EEENS1_30default_config_static_selectorELNS0_4arch9wavefront6targetE1EEEvSM_,"axG",@progbits,_ZN7rocprim17ROCPRIM_400000_NS6detail17trampoline_kernelINS0_14default_configENS1_22reduce_config_selectorIbEEZNS1_11reduce_implILb1ES3_N6hipcub16HIPCUB_304000_NS22TransformInputIteratorIb7NonZeroIsEPslEEPllNS8_6detail34convert_binary_result_type_wrapperINS8_3SumESD_lEEEE10hipError_tPvRmT1_T2_T3_mT4_P12ihipStream_tbEUlT_E1_NS1_11comp_targetILNS1_3genE9ELNS1_11target_archE1100ELNS1_3gpuE3ELNS1_3repE0EEENS1_30default_config_static_selectorELNS0_4arch9wavefront6targetE1EEEvSM_,comdat
.Lfunc_end115:
	.size	_ZN7rocprim17ROCPRIM_400000_NS6detail17trampoline_kernelINS0_14default_configENS1_22reduce_config_selectorIbEEZNS1_11reduce_implILb1ES3_N6hipcub16HIPCUB_304000_NS22TransformInputIteratorIb7NonZeroIsEPslEEPllNS8_6detail34convert_binary_result_type_wrapperINS8_3SumESD_lEEEE10hipError_tPvRmT1_T2_T3_mT4_P12ihipStream_tbEUlT_E1_NS1_11comp_targetILNS1_3genE9ELNS1_11target_archE1100ELNS1_3gpuE3ELNS1_3repE0EEENS1_30default_config_static_selectorELNS0_4arch9wavefront6targetE1EEEvSM_, .Lfunc_end115-_ZN7rocprim17ROCPRIM_400000_NS6detail17trampoline_kernelINS0_14default_configENS1_22reduce_config_selectorIbEEZNS1_11reduce_implILb1ES3_N6hipcub16HIPCUB_304000_NS22TransformInputIteratorIb7NonZeroIsEPslEEPllNS8_6detail34convert_binary_result_type_wrapperINS8_3SumESD_lEEEE10hipError_tPvRmT1_T2_T3_mT4_P12ihipStream_tbEUlT_E1_NS1_11comp_targetILNS1_3genE9ELNS1_11target_archE1100ELNS1_3gpuE3ELNS1_3repE0EEENS1_30default_config_static_selectorELNS0_4arch9wavefront6targetE1EEEvSM_
                                        ; -- End function
	.set _ZN7rocprim17ROCPRIM_400000_NS6detail17trampoline_kernelINS0_14default_configENS1_22reduce_config_selectorIbEEZNS1_11reduce_implILb1ES3_N6hipcub16HIPCUB_304000_NS22TransformInputIteratorIb7NonZeroIsEPslEEPllNS8_6detail34convert_binary_result_type_wrapperINS8_3SumESD_lEEEE10hipError_tPvRmT1_T2_T3_mT4_P12ihipStream_tbEUlT_E1_NS1_11comp_targetILNS1_3genE9ELNS1_11target_archE1100ELNS1_3gpuE3ELNS1_3repE0EEENS1_30default_config_static_selectorELNS0_4arch9wavefront6targetE1EEEvSM_.num_vgpr, 0
	.set _ZN7rocprim17ROCPRIM_400000_NS6detail17trampoline_kernelINS0_14default_configENS1_22reduce_config_selectorIbEEZNS1_11reduce_implILb1ES3_N6hipcub16HIPCUB_304000_NS22TransformInputIteratorIb7NonZeroIsEPslEEPllNS8_6detail34convert_binary_result_type_wrapperINS8_3SumESD_lEEEE10hipError_tPvRmT1_T2_T3_mT4_P12ihipStream_tbEUlT_E1_NS1_11comp_targetILNS1_3genE9ELNS1_11target_archE1100ELNS1_3gpuE3ELNS1_3repE0EEENS1_30default_config_static_selectorELNS0_4arch9wavefront6targetE1EEEvSM_.num_agpr, 0
	.set _ZN7rocprim17ROCPRIM_400000_NS6detail17trampoline_kernelINS0_14default_configENS1_22reduce_config_selectorIbEEZNS1_11reduce_implILb1ES3_N6hipcub16HIPCUB_304000_NS22TransformInputIteratorIb7NonZeroIsEPslEEPllNS8_6detail34convert_binary_result_type_wrapperINS8_3SumESD_lEEEE10hipError_tPvRmT1_T2_T3_mT4_P12ihipStream_tbEUlT_E1_NS1_11comp_targetILNS1_3genE9ELNS1_11target_archE1100ELNS1_3gpuE3ELNS1_3repE0EEENS1_30default_config_static_selectorELNS0_4arch9wavefront6targetE1EEEvSM_.numbered_sgpr, 0
	.set _ZN7rocprim17ROCPRIM_400000_NS6detail17trampoline_kernelINS0_14default_configENS1_22reduce_config_selectorIbEEZNS1_11reduce_implILb1ES3_N6hipcub16HIPCUB_304000_NS22TransformInputIteratorIb7NonZeroIsEPslEEPllNS8_6detail34convert_binary_result_type_wrapperINS8_3SumESD_lEEEE10hipError_tPvRmT1_T2_T3_mT4_P12ihipStream_tbEUlT_E1_NS1_11comp_targetILNS1_3genE9ELNS1_11target_archE1100ELNS1_3gpuE3ELNS1_3repE0EEENS1_30default_config_static_selectorELNS0_4arch9wavefront6targetE1EEEvSM_.num_named_barrier, 0
	.set _ZN7rocprim17ROCPRIM_400000_NS6detail17trampoline_kernelINS0_14default_configENS1_22reduce_config_selectorIbEEZNS1_11reduce_implILb1ES3_N6hipcub16HIPCUB_304000_NS22TransformInputIteratorIb7NonZeroIsEPslEEPllNS8_6detail34convert_binary_result_type_wrapperINS8_3SumESD_lEEEE10hipError_tPvRmT1_T2_T3_mT4_P12ihipStream_tbEUlT_E1_NS1_11comp_targetILNS1_3genE9ELNS1_11target_archE1100ELNS1_3gpuE3ELNS1_3repE0EEENS1_30default_config_static_selectorELNS0_4arch9wavefront6targetE1EEEvSM_.private_seg_size, 0
	.set _ZN7rocprim17ROCPRIM_400000_NS6detail17trampoline_kernelINS0_14default_configENS1_22reduce_config_selectorIbEEZNS1_11reduce_implILb1ES3_N6hipcub16HIPCUB_304000_NS22TransformInputIteratorIb7NonZeroIsEPslEEPllNS8_6detail34convert_binary_result_type_wrapperINS8_3SumESD_lEEEE10hipError_tPvRmT1_T2_T3_mT4_P12ihipStream_tbEUlT_E1_NS1_11comp_targetILNS1_3genE9ELNS1_11target_archE1100ELNS1_3gpuE3ELNS1_3repE0EEENS1_30default_config_static_selectorELNS0_4arch9wavefront6targetE1EEEvSM_.uses_vcc, 0
	.set _ZN7rocprim17ROCPRIM_400000_NS6detail17trampoline_kernelINS0_14default_configENS1_22reduce_config_selectorIbEEZNS1_11reduce_implILb1ES3_N6hipcub16HIPCUB_304000_NS22TransformInputIteratorIb7NonZeroIsEPslEEPllNS8_6detail34convert_binary_result_type_wrapperINS8_3SumESD_lEEEE10hipError_tPvRmT1_T2_T3_mT4_P12ihipStream_tbEUlT_E1_NS1_11comp_targetILNS1_3genE9ELNS1_11target_archE1100ELNS1_3gpuE3ELNS1_3repE0EEENS1_30default_config_static_selectorELNS0_4arch9wavefront6targetE1EEEvSM_.uses_flat_scratch, 0
	.set _ZN7rocprim17ROCPRIM_400000_NS6detail17trampoline_kernelINS0_14default_configENS1_22reduce_config_selectorIbEEZNS1_11reduce_implILb1ES3_N6hipcub16HIPCUB_304000_NS22TransformInputIteratorIb7NonZeroIsEPslEEPllNS8_6detail34convert_binary_result_type_wrapperINS8_3SumESD_lEEEE10hipError_tPvRmT1_T2_T3_mT4_P12ihipStream_tbEUlT_E1_NS1_11comp_targetILNS1_3genE9ELNS1_11target_archE1100ELNS1_3gpuE3ELNS1_3repE0EEENS1_30default_config_static_selectorELNS0_4arch9wavefront6targetE1EEEvSM_.has_dyn_sized_stack, 0
	.set _ZN7rocprim17ROCPRIM_400000_NS6detail17trampoline_kernelINS0_14default_configENS1_22reduce_config_selectorIbEEZNS1_11reduce_implILb1ES3_N6hipcub16HIPCUB_304000_NS22TransformInputIteratorIb7NonZeroIsEPslEEPllNS8_6detail34convert_binary_result_type_wrapperINS8_3SumESD_lEEEE10hipError_tPvRmT1_T2_T3_mT4_P12ihipStream_tbEUlT_E1_NS1_11comp_targetILNS1_3genE9ELNS1_11target_archE1100ELNS1_3gpuE3ELNS1_3repE0EEENS1_30default_config_static_selectorELNS0_4arch9wavefront6targetE1EEEvSM_.has_recursion, 0
	.set _ZN7rocprim17ROCPRIM_400000_NS6detail17trampoline_kernelINS0_14default_configENS1_22reduce_config_selectorIbEEZNS1_11reduce_implILb1ES3_N6hipcub16HIPCUB_304000_NS22TransformInputIteratorIb7NonZeroIsEPslEEPllNS8_6detail34convert_binary_result_type_wrapperINS8_3SumESD_lEEEE10hipError_tPvRmT1_T2_T3_mT4_P12ihipStream_tbEUlT_E1_NS1_11comp_targetILNS1_3genE9ELNS1_11target_archE1100ELNS1_3gpuE3ELNS1_3repE0EEENS1_30default_config_static_selectorELNS0_4arch9wavefront6targetE1EEEvSM_.has_indirect_call, 0
	.section	.AMDGPU.csdata,"",@progbits
; Kernel info:
; codeLenInByte = 0
; TotalNumSgprs: 4
; NumVgprs: 0
; ScratchSize: 0
; MemoryBound: 0
; FloatMode: 240
; IeeeMode: 1
; LDSByteSize: 0 bytes/workgroup (compile time only)
; SGPRBlocks: 0
; VGPRBlocks: 0
; NumSGPRsForWavesPerEU: 4
; NumVGPRsForWavesPerEU: 1
; Occupancy: 10
; WaveLimiterHint : 0
; COMPUTE_PGM_RSRC2:SCRATCH_EN: 0
; COMPUTE_PGM_RSRC2:USER_SGPR: 6
; COMPUTE_PGM_RSRC2:TRAP_HANDLER: 0
; COMPUTE_PGM_RSRC2:TGID_X_EN: 1
; COMPUTE_PGM_RSRC2:TGID_Y_EN: 0
; COMPUTE_PGM_RSRC2:TGID_Z_EN: 0
; COMPUTE_PGM_RSRC2:TIDIG_COMP_CNT: 0
	.section	.text._ZN7rocprim17ROCPRIM_400000_NS6detail17trampoline_kernelINS0_14default_configENS1_22reduce_config_selectorIbEEZNS1_11reduce_implILb1ES3_N6hipcub16HIPCUB_304000_NS22TransformInputIteratorIb7NonZeroIsEPslEEPllNS8_6detail34convert_binary_result_type_wrapperINS8_3SumESD_lEEEE10hipError_tPvRmT1_T2_T3_mT4_P12ihipStream_tbEUlT_E1_NS1_11comp_targetILNS1_3genE8ELNS1_11target_archE1030ELNS1_3gpuE2ELNS1_3repE0EEENS1_30default_config_static_selectorELNS0_4arch9wavefront6targetE1EEEvSM_,"axG",@progbits,_ZN7rocprim17ROCPRIM_400000_NS6detail17trampoline_kernelINS0_14default_configENS1_22reduce_config_selectorIbEEZNS1_11reduce_implILb1ES3_N6hipcub16HIPCUB_304000_NS22TransformInputIteratorIb7NonZeroIsEPslEEPllNS8_6detail34convert_binary_result_type_wrapperINS8_3SumESD_lEEEE10hipError_tPvRmT1_T2_T3_mT4_P12ihipStream_tbEUlT_E1_NS1_11comp_targetILNS1_3genE8ELNS1_11target_archE1030ELNS1_3gpuE2ELNS1_3repE0EEENS1_30default_config_static_selectorELNS0_4arch9wavefront6targetE1EEEvSM_,comdat
	.protected	_ZN7rocprim17ROCPRIM_400000_NS6detail17trampoline_kernelINS0_14default_configENS1_22reduce_config_selectorIbEEZNS1_11reduce_implILb1ES3_N6hipcub16HIPCUB_304000_NS22TransformInputIteratorIb7NonZeroIsEPslEEPllNS8_6detail34convert_binary_result_type_wrapperINS8_3SumESD_lEEEE10hipError_tPvRmT1_T2_T3_mT4_P12ihipStream_tbEUlT_E1_NS1_11comp_targetILNS1_3genE8ELNS1_11target_archE1030ELNS1_3gpuE2ELNS1_3repE0EEENS1_30default_config_static_selectorELNS0_4arch9wavefront6targetE1EEEvSM_ ; -- Begin function _ZN7rocprim17ROCPRIM_400000_NS6detail17trampoline_kernelINS0_14default_configENS1_22reduce_config_selectorIbEEZNS1_11reduce_implILb1ES3_N6hipcub16HIPCUB_304000_NS22TransformInputIteratorIb7NonZeroIsEPslEEPllNS8_6detail34convert_binary_result_type_wrapperINS8_3SumESD_lEEEE10hipError_tPvRmT1_T2_T3_mT4_P12ihipStream_tbEUlT_E1_NS1_11comp_targetILNS1_3genE8ELNS1_11target_archE1030ELNS1_3gpuE2ELNS1_3repE0EEENS1_30default_config_static_selectorELNS0_4arch9wavefront6targetE1EEEvSM_
	.globl	_ZN7rocprim17ROCPRIM_400000_NS6detail17trampoline_kernelINS0_14default_configENS1_22reduce_config_selectorIbEEZNS1_11reduce_implILb1ES3_N6hipcub16HIPCUB_304000_NS22TransformInputIteratorIb7NonZeroIsEPslEEPllNS8_6detail34convert_binary_result_type_wrapperINS8_3SumESD_lEEEE10hipError_tPvRmT1_T2_T3_mT4_P12ihipStream_tbEUlT_E1_NS1_11comp_targetILNS1_3genE8ELNS1_11target_archE1030ELNS1_3gpuE2ELNS1_3repE0EEENS1_30default_config_static_selectorELNS0_4arch9wavefront6targetE1EEEvSM_
	.p2align	8
	.type	_ZN7rocprim17ROCPRIM_400000_NS6detail17trampoline_kernelINS0_14default_configENS1_22reduce_config_selectorIbEEZNS1_11reduce_implILb1ES3_N6hipcub16HIPCUB_304000_NS22TransformInputIteratorIb7NonZeroIsEPslEEPllNS8_6detail34convert_binary_result_type_wrapperINS8_3SumESD_lEEEE10hipError_tPvRmT1_T2_T3_mT4_P12ihipStream_tbEUlT_E1_NS1_11comp_targetILNS1_3genE8ELNS1_11target_archE1030ELNS1_3gpuE2ELNS1_3repE0EEENS1_30default_config_static_selectorELNS0_4arch9wavefront6targetE1EEEvSM_,@function
_ZN7rocprim17ROCPRIM_400000_NS6detail17trampoline_kernelINS0_14default_configENS1_22reduce_config_selectorIbEEZNS1_11reduce_implILb1ES3_N6hipcub16HIPCUB_304000_NS22TransformInputIteratorIb7NonZeroIsEPslEEPllNS8_6detail34convert_binary_result_type_wrapperINS8_3SumESD_lEEEE10hipError_tPvRmT1_T2_T3_mT4_P12ihipStream_tbEUlT_E1_NS1_11comp_targetILNS1_3genE8ELNS1_11target_archE1030ELNS1_3gpuE2ELNS1_3repE0EEENS1_30default_config_static_selectorELNS0_4arch9wavefront6targetE1EEEvSM_: ; @_ZN7rocprim17ROCPRIM_400000_NS6detail17trampoline_kernelINS0_14default_configENS1_22reduce_config_selectorIbEEZNS1_11reduce_implILb1ES3_N6hipcub16HIPCUB_304000_NS22TransformInputIteratorIb7NonZeroIsEPslEEPllNS8_6detail34convert_binary_result_type_wrapperINS8_3SumESD_lEEEE10hipError_tPvRmT1_T2_T3_mT4_P12ihipStream_tbEUlT_E1_NS1_11comp_targetILNS1_3genE8ELNS1_11target_archE1030ELNS1_3gpuE2ELNS1_3repE0EEENS1_30default_config_static_selectorELNS0_4arch9wavefront6targetE1EEEvSM_
; %bb.0:
	.section	.rodata,"a",@progbits
	.p2align	6, 0x0
	.amdhsa_kernel _ZN7rocprim17ROCPRIM_400000_NS6detail17trampoline_kernelINS0_14default_configENS1_22reduce_config_selectorIbEEZNS1_11reduce_implILb1ES3_N6hipcub16HIPCUB_304000_NS22TransformInputIteratorIb7NonZeroIsEPslEEPllNS8_6detail34convert_binary_result_type_wrapperINS8_3SumESD_lEEEE10hipError_tPvRmT1_T2_T3_mT4_P12ihipStream_tbEUlT_E1_NS1_11comp_targetILNS1_3genE8ELNS1_11target_archE1030ELNS1_3gpuE2ELNS1_3repE0EEENS1_30default_config_static_selectorELNS0_4arch9wavefront6targetE1EEEvSM_
		.amdhsa_group_segment_fixed_size 0
		.amdhsa_private_segment_fixed_size 0
		.amdhsa_kernarg_size 56
		.amdhsa_user_sgpr_count 6
		.amdhsa_user_sgpr_private_segment_buffer 1
		.amdhsa_user_sgpr_dispatch_ptr 0
		.amdhsa_user_sgpr_queue_ptr 0
		.amdhsa_user_sgpr_kernarg_segment_ptr 1
		.amdhsa_user_sgpr_dispatch_id 0
		.amdhsa_user_sgpr_flat_scratch_init 0
		.amdhsa_user_sgpr_private_segment_size 0
		.amdhsa_uses_dynamic_stack 0
		.amdhsa_system_sgpr_private_segment_wavefront_offset 0
		.amdhsa_system_sgpr_workgroup_id_x 1
		.amdhsa_system_sgpr_workgroup_id_y 0
		.amdhsa_system_sgpr_workgroup_id_z 0
		.amdhsa_system_sgpr_workgroup_info 0
		.amdhsa_system_vgpr_workitem_id 0
		.amdhsa_next_free_vgpr 1
		.amdhsa_next_free_sgpr 0
		.amdhsa_reserve_vcc 0
		.amdhsa_reserve_flat_scratch 0
		.amdhsa_float_round_mode_32 0
		.amdhsa_float_round_mode_16_64 0
		.amdhsa_float_denorm_mode_32 3
		.amdhsa_float_denorm_mode_16_64 3
		.amdhsa_dx10_clamp 1
		.amdhsa_ieee_mode 1
		.amdhsa_fp16_overflow 0
		.amdhsa_exception_fp_ieee_invalid_op 0
		.amdhsa_exception_fp_denorm_src 0
		.amdhsa_exception_fp_ieee_div_zero 0
		.amdhsa_exception_fp_ieee_overflow 0
		.amdhsa_exception_fp_ieee_underflow 0
		.amdhsa_exception_fp_ieee_inexact 0
		.amdhsa_exception_int_div_zero 0
	.end_amdhsa_kernel
	.section	.text._ZN7rocprim17ROCPRIM_400000_NS6detail17trampoline_kernelINS0_14default_configENS1_22reduce_config_selectorIbEEZNS1_11reduce_implILb1ES3_N6hipcub16HIPCUB_304000_NS22TransformInputIteratorIb7NonZeroIsEPslEEPllNS8_6detail34convert_binary_result_type_wrapperINS8_3SumESD_lEEEE10hipError_tPvRmT1_T2_T3_mT4_P12ihipStream_tbEUlT_E1_NS1_11comp_targetILNS1_3genE8ELNS1_11target_archE1030ELNS1_3gpuE2ELNS1_3repE0EEENS1_30default_config_static_selectorELNS0_4arch9wavefront6targetE1EEEvSM_,"axG",@progbits,_ZN7rocprim17ROCPRIM_400000_NS6detail17trampoline_kernelINS0_14default_configENS1_22reduce_config_selectorIbEEZNS1_11reduce_implILb1ES3_N6hipcub16HIPCUB_304000_NS22TransformInputIteratorIb7NonZeroIsEPslEEPllNS8_6detail34convert_binary_result_type_wrapperINS8_3SumESD_lEEEE10hipError_tPvRmT1_T2_T3_mT4_P12ihipStream_tbEUlT_E1_NS1_11comp_targetILNS1_3genE8ELNS1_11target_archE1030ELNS1_3gpuE2ELNS1_3repE0EEENS1_30default_config_static_selectorELNS0_4arch9wavefront6targetE1EEEvSM_,comdat
.Lfunc_end116:
	.size	_ZN7rocprim17ROCPRIM_400000_NS6detail17trampoline_kernelINS0_14default_configENS1_22reduce_config_selectorIbEEZNS1_11reduce_implILb1ES3_N6hipcub16HIPCUB_304000_NS22TransformInputIteratorIb7NonZeroIsEPslEEPllNS8_6detail34convert_binary_result_type_wrapperINS8_3SumESD_lEEEE10hipError_tPvRmT1_T2_T3_mT4_P12ihipStream_tbEUlT_E1_NS1_11comp_targetILNS1_3genE8ELNS1_11target_archE1030ELNS1_3gpuE2ELNS1_3repE0EEENS1_30default_config_static_selectorELNS0_4arch9wavefront6targetE1EEEvSM_, .Lfunc_end116-_ZN7rocprim17ROCPRIM_400000_NS6detail17trampoline_kernelINS0_14default_configENS1_22reduce_config_selectorIbEEZNS1_11reduce_implILb1ES3_N6hipcub16HIPCUB_304000_NS22TransformInputIteratorIb7NonZeroIsEPslEEPllNS8_6detail34convert_binary_result_type_wrapperINS8_3SumESD_lEEEE10hipError_tPvRmT1_T2_T3_mT4_P12ihipStream_tbEUlT_E1_NS1_11comp_targetILNS1_3genE8ELNS1_11target_archE1030ELNS1_3gpuE2ELNS1_3repE0EEENS1_30default_config_static_selectorELNS0_4arch9wavefront6targetE1EEEvSM_
                                        ; -- End function
	.set _ZN7rocprim17ROCPRIM_400000_NS6detail17trampoline_kernelINS0_14default_configENS1_22reduce_config_selectorIbEEZNS1_11reduce_implILb1ES3_N6hipcub16HIPCUB_304000_NS22TransformInputIteratorIb7NonZeroIsEPslEEPllNS8_6detail34convert_binary_result_type_wrapperINS8_3SumESD_lEEEE10hipError_tPvRmT1_T2_T3_mT4_P12ihipStream_tbEUlT_E1_NS1_11comp_targetILNS1_3genE8ELNS1_11target_archE1030ELNS1_3gpuE2ELNS1_3repE0EEENS1_30default_config_static_selectorELNS0_4arch9wavefront6targetE1EEEvSM_.num_vgpr, 0
	.set _ZN7rocprim17ROCPRIM_400000_NS6detail17trampoline_kernelINS0_14default_configENS1_22reduce_config_selectorIbEEZNS1_11reduce_implILb1ES3_N6hipcub16HIPCUB_304000_NS22TransformInputIteratorIb7NonZeroIsEPslEEPllNS8_6detail34convert_binary_result_type_wrapperINS8_3SumESD_lEEEE10hipError_tPvRmT1_T2_T3_mT4_P12ihipStream_tbEUlT_E1_NS1_11comp_targetILNS1_3genE8ELNS1_11target_archE1030ELNS1_3gpuE2ELNS1_3repE0EEENS1_30default_config_static_selectorELNS0_4arch9wavefront6targetE1EEEvSM_.num_agpr, 0
	.set _ZN7rocprim17ROCPRIM_400000_NS6detail17trampoline_kernelINS0_14default_configENS1_22reduce_config_selectorIbEEZNS1_11reduce_implILb1ES3_N6hipcub16HIPCUB_304000_NS22TransformInputIteratorIb7NonZeroIsEPslEEPllNS8_6detail34convert_binary_result_type_wrapperINS8_3SumESD_lEEEE10hipError_tPvRmT1_T2_T3_mT4_P12ihipStream_tbEUlT_E1_NS1_11comp_targetILNS1_3genE8ELNS1_11target_archE1030ELNS1_3gpuE2ELNS1_3repE0EEENS1_30default_config_static_selectorELNS0_4arch9wavefront6targetE1EEEvSM_.numbered_sgpr, 0
	.set _ZN7rocprim17ROCPRIM_400000_NS6detail17trampoline_kernelINS0_14default_configENS1_22reduce_config_selectorIbEEZNS1_11reduce_implILb1ES3_N6hipcub16HIPCUB_304000_NS22TransformInputIteratorIb7NonZeroIsEPslEEPllNS8_6detail34convert_binary_result_type_wrapperINS8_3SumESD_lEEEE10hipError_tPvRmT1_T2_T3_mT4_P12ihipStream_tbEUlT_E1_NS1_11comp_targetILNS1_3genE8ELNS1_11target_archE1030ELNS1_3gpuE2ELNS1_3repE0EEENS1_30default_config_static_selectorELNS0_4arch9wavefront6targetE1EEEvSM_.num_named_barrier, 0
	.set _ZN7rocprim17ROCPRIM_400000_NS6detail17trampoline_kernelINS0_14default_configENS1_22reduce_config_selectorIbEEZNS1_11reduce_implILb1ES3_N6hipcub16HIPCUB_304000_NS22TransformInputIteratorIb7NonZeroIsEPslEEPllNS8_6detail34convert_binary_result_type_wrapperINS8_3SumESD_lEEEE10hipError_tPvRmT1_T2_T3_mT4_P12ihipStream_tbEUlT_E1_NS1_11comp_targetILNS1_3genE8ELNS1_11target_archE1030ELNS1_3gpuE2ELNS1_3repE0EEENS1_30default_config_static_selectorELNS0_4arch9wavefront6targetE1EEEvSM_.private_seg_size, 0
	.set _ZN7rocprim17ROCPRIM_400000_NS6detail17trampoline_kernelINS0_14default_configENS1_22reduce_config_selectorIbEEZNS1_11reduce_implILb1ES3_N6hipcub16HIPCUB_304000_NS22TransformInputIteratorIb7NonZeroIsEPslEEPllNS8_6detail34convert_binary_result_type_wrapperINS8_3SumESD_lEEEE10hipError_tPvRmT1_T2_T3_mT4_P12ihipStream_tbEUlT_E1_NS1_11comp_targetILNS1_3genE8ELNS1_11target_archE1030ELNS1_3gpuE2ELNS1_3repE0EEENS1_30default_config_static_selectorELNS0_4arch9wavefront6targetE1EEEvSM_.uses_vcc, 0
	.set _ZN7rocprim17ROCPRIM_400000_NS6detail17trampoline_kernelINS0_14default_configENS1_22reduce_config_selectorIbEEZNS1_11reduce_implILb1ES3_N6hipcub16HIPCUB_304000_NS22TransformInputIteratorIb7NonZeroIsEPslEEPllNS8_6detail34convert_binary_result_type_wrapperINS8_3SumESD_lEEEE10hipError_tPvRmT1_T2_T3_mT4_P12ihipStream_tbEUlT_E1_NS1_11comp_targetILNS1_3genE8ELNS1_11target_archE1030ELNS1_3gpuE2ELNS1_3repE0EEENS1_30default_config_static_selectorELNS0_4arch9wavefront6targetE1EEEvSM_.uses_flat_scratch, 0
	.set _ZN7rocprim17ROCPRIM_400000_NS6detail17trampoline_kernelINS0_14default_configENS1_22reduce_config_selectorIbEEZNS1_11reduce_implILb1ES3_N6hipcub16HIPCUB_304000_NS22TransformInputIteratorIb7NonZeroIsEPslEEPllNS8_6detail34convert_binary_result_type_wrapperINS8_3SumESD_lEEEE10hipError_tPvRmT1_T2_T3_mT4_P12ihipStream_tbEUlT_E1_NS1_11comp_targetILNS1_3genE8ELNS1_11target_archE1030ELNS1_3gpuE2ELNS1_3repE0EEENS1_30default_config_static_selectorELNS0_4arch9wavefront6targetE1EEEvSM_.has_dyn_sized_stack, 0
	.set _ZN7rocprim17ROCPRIM_400000_NS6detail17trampoline_kernelINS0_14default_configENS1_22reduce_config_selectorIbEEZNS1_11reduce_implILb1ES3_N6hipcub16HIPCUB_304000_NS22TransformInputIteratorIb7NonZeroIsEPslEEPllNS8_6detail34convert_binary_result_type_wrapperINS8_3SumESD_lEEEE10hipError_tPvRmT1_T2_T3_mT4_P12ihipStream_tbEUlT_E1_NS1_11comp_targetILNS1_3genE8ELNS1_11target_archE1030ELNS1_3gpuE2ELNS1_3repE0EEENS1_30default_config_static_selectorELNS0_4arch9wavefront6targetE1EEEvSM_.has_recursion, 0
	.set _ZN7rocprim17ROCPRIM_400000_NS6detail17trampoline_kernelINS0_14default_configENS1_22reduce_config_selectorIbEEZNS1_11reduce_implILb1ES3_N6hipcub16HIPCUB_304000_NS22TransformInputIteratorIb7NonZeroIsEPslEEPllNS8_6detail34convert_binary_result_type_wrapperINS8_3SumESD_lEEEE10hipError_tPvRmT1_T2_T3_mT4_P12ihipStream_tbEUlT_E1_NS1_11comp_targetILNS1_3genE8ELNS1_11target_archE1030ELNS1_3gpuE2ELNS1_3repE0EEENS1_30default_config_static_selectorELNS0_4arch9wavefront6targetE1EEEvSM_.has_indirect_call, 0
	.section	.AMDGPU.csdata,"",@progbits
; Kernel info:
; codeLenInByte = 0
; TotalNumSgprs: 4
; NumVgprs: 0
; ScratchSize: 0
; MemoryBound: 0
; FloatMode: 240
; IeeeMode: 1
; LDSByteSize: 0 bytes/workgroup (compile time only)
; SGPRBlocks: 0
; VGPRBlocks: 0
; NumSGPRsForWavesPerEU: 4
; NumVGPRsForWavesPerEU: 1
; Occupancy: 10
; WaveLimiterHint : 0
; COMPUTE_PGM_RSRC2:SCRATCH_EN: 0
; COMPUTE_PGM_RSRC2:USER_SGPR: 6
; COMPUTE_PGM_RSRC2:TRAP_HANDLER: 0
; COMPUTE_PGM_RSRC2:TGID_X_EN: 1
; COMPUTE_PGM_RSRC2:TGID_Y_EN: 0
; COMPUTE_PGM_RSRC2:TGID_Z_EN: 0
; COMPUTE_PGM_RSRC2:TIDIG_COMP_CNT: 0
	.section	.text._ZN7rocprim17ROCPRIM_400000_NS6detail17trampoline_kernelINS0_14default_configENS1_25partition_config_selectorILNS1_17partition_subalgoE5ElNS0_10empty_typeEbEEZZNS1_14partition_implILS5_5ELb0ES3_mN6hipcub16HIPCUB_304000_NS21CountingInputIteratorIllEEPS6_NSA_22TransformInputIteratorIb7NonZeroIsEPslEENS0_5tupleIJPlS6_EEENSJ_IJSD_SD_EEES6_SK_JS6_EEE10hipError_tPvRmT3_T4_T5_T6_T7_T9_mT8_P12ihipStream_tbDpT10_ENKUlT_T0_E_clISt17integral_constantIbLb0EES16_EEDaS11_S12_EUlS11_E_NS1_11comp_targetILNS1_3genE0ELNS1_11target_archE4294967295ELNS1_3gpuE0ELNS1_3repE0EEENS1_30default_config_static_selectorELNS0_4arch9wavefront6targetE1EEEvT1_,"axG",@progbits,_ZN7rocprim17ROCPRIM_400000_NS6detail17trampoline_kernelINS0_14default_configENS1_25partition_config_selectorILNS1_17partition_subalgoE5ElNS0_10empty_typeEbEEZZNS1_14partition_implILS5_5ELb0ES3_mN6hipcub16HIPCUB_304000_NS21CountingInputIteratorIllEEPS6_NSA_22TransformInputIteratorIb7NonZeroIsEPslEENS0_5tupleIJPlS6_EEENSJ_IJSD_SD_EEES6_SK_JS6_EEE10hipError_tPvRmT3_T4_T5_T6_T7_T9_mT8_P12ihipStream_tbDpT10_ENKUlT_T0_E_clISt17integral_constantIbLb0EES16_EEDaS11_S12_EUlS11_E_NS1_11comp_targetILNS1_3genE0ELNS1_11target_archE4294967295ELNS1_3gpuE0ELNS1_3repE0EEENS1_30default_config_static_selectorELNS0_4arch9wavefront6targetE1EEEvT1_,comdat
	.protected	_ZN7rocprim17ROCPRIM_400000_NS6detail17trampoline_kernelINS0_14default_configENS1_25partition_config_selectorILNS1_17partition_subalgoE5ElNS0_10empty_typeEbEEZZNS1_14partition_implILS5_5ELb0ES3_mN6hipcub16HIPCUB_304000_NS21CountingInputIteratorIllEEPS6_NSA_22TransformInputIteratorIb7NonZeroIsEPslEENS0_5tupleIJPlS6_EEENSJ_IJSD_SD_EEES6_SK_JS6_EEE10hipError_tPvRmT3_T4_T5_T6_T7_T9_mT8_P12ihipStream_tbDpT10_ENKUlT_T0_E_clISt17integral_constantIbLb0EES16_EEDaS11_S12_EUlS11_E_NS1_11comp_targetILNS1_3genE0ELNS1_11target_archE4294967295ELNS1_3gpuE0ELNS1_3repE0EEENS1_30default_config_static_selectorELNS0_4arch9wavefront6targetE1EEEvT1_ ; -- Begin function _ZN7rocprim17ROCPRIM_400000_NS6detail17trampoline_kernelINS0_14default_configENS1_25partition_config_selectorILNS1_17partition_subalgoE5ElNS0_10empty_typeEbEEZZNS1_14partition_implILS5_5ELb0ES3_mN6hipcub16HIPCUB_304000_NS21CountingInputIteratorIllEEPS6_NSA_22TransformInputIteratorIb7NonZeroIsEPslEENS0_5tupleIJPlS6_EEENSJ_IJSD_SD_EEES6_SK_JS6_EEE10hipError_tPvRmT3_T4_T5_T6_T7_T9_mT8_P12ihipStream_tbDpT10_ENKUlT_T0_E_clISt17integral_constantIbLb0EES16_EEDaS11_S12_EUlS11_E_NS1_11comp_targetILNS1_3genE0ELNS1_11target_archE4294967295ELNS1_3gpuE0ELNS1_3repE0EEENS1_30default_config_static_selectorELNS0_4arch9wavefront6targetE1EEEvT1_
	.globl	_ZN7rocprim17ROCPRIM_400000_NS6detail17trampoline_kernelINS0_14default_configENS1_25partition_config_selectorILNS1_17partition_subalgoE5ElNS0_10empty_typeEbEEZZNS1_14partition_implILS5_5ELb0ES3_mN6hipcub16HIPCUB_304000_NS21CountingInputIteratorIllEEPS6_NSA_22TransformInputIteratorIb7NonZeroIsEPslEENS0_5tupleIJPlS6_EEENSJ_IJSD_SD_EEES6_SK_JS6_EEE10hipError_tPvRmT3_T4_T5_T6_T7_T9_mT8_P12ihipStream_tbDpT10_ENKUlT_T0_E_clISt17integral_constantIbLb0EES16_EEDaS11_S12_EUlS11_E_NS1_11comp_targetILNS1_3genE0ELNS1_11target_archE4294967295ELNS1_3gpuE0ELNS1_3repE0EEENS1_30default_config_static_selectorELNS0_4arch9wavefront6targetE1EEEvT1_
	.p2align	8
	.type	_ZN7rocprim17ROCPRIM_400000_NS6detail17trampoline_kernelINS0_14default_configENS1_25partition_config_selectorILNS1_17partition_subalgoE5ElNS0_10empty_typeEbEEZZNS1_14partition_implILS5_5ELb0ES3_mN6hipcub16HIPCUB_304000_NS21CountingInputIteratorIllEEPS6_NSA_22TransformInputIteratorIb7NonZeroIsEPslEENS0_5tupleIJPlS6_EEENSJ_IJSD_SD_EEES6_SK_JS6_EEE10hipError_tPvRmT3_T4_T5_T6_T7_T9_mT8_P12ihipStream_tbDpT10_ENKUlT_T0_E_clISt17integral_constantIbLb0EES16_EEDaS11_S12_EUlS11_E_NS1_11comp_targetILNS1_3genE0ELNS1_11target_archE4294967295ELNS1_3gpuE0ELNS1_3repE0EEENS1_30default_config_static_selectorELNS0_4arch9wavefront6targetE1EEEvT1_,@function
_ZN7rocprim17ROCPRIM_400000_NS6detail17trampoline_kernelINS0_14default_configENS1_25partition_config_selectorILNS1_17partition_subalgoE5ElNS0_10empty_typeEbEEZZNS1_14partition_implILS5_5ELb0ES3_mN6hipcub16HIPCUB_304000_NS21CountingInputIteratorIllEEPS6_NSA_22TransformInputIteratorIb7NonZeroIsEPslEENS0_5tupleIJPlS6_EEENSJ_IJSD_SD_EEES6_SK_JS6_EEE10hipError_tPvRmT3_T4_T5_T6_T7_T9_mT8_P12ihipStream_tbDpT10_ENKUlT_T0_E_clISt17integral_constantIbLb0EES16_EEDaS11_S12_EUlS11_E_NS1_11comp_targetILNS1_3genE0ELNS1_11target_archE4294967295ELNS1_3gpuE0ELNS1_3repE0EEENS1_30default_config_static_selectorELNS0_4arch9wavefront6targetE1EEEvT1_: ; @_ZN7rocprim17ROCPRIM_400000_NS6detail17trampoline_kernelINS0_14default_configENS1_25partition_config_selectorILNS1_17partition_subalgoE5ElNS0_10empty_typeEbEEZZNS1_14partition_implILS5_5ELb0ES3_mN6hipcub16HIPCUB_304000_NS21CountingInputIteratorIllEEPS6_NSA_22TransformInputIteratorIb7NonZeroIsEPslEENS0_5tupleIJPlS6_EEENSJ_IJSD_SD_EEES6_SK_JS6_EEE10hipError_tPvRmT3_T4_T5_T6_T7_T9_mT8_P12ihipStream_tbDpT10_ENKUlT_T0_E_clISt17integral_constantIbLb0EES16_EEDaS11_S12_EUlS11_E_NS1_11comp_targetILNS1_3genE0ELNS1_11target_archE4294967295ELNS1_3gpuE0ELNS1_3repE0EEENS1_30default_config_static_selectorELNS0_4arch9wavefront6targetE1EEEvT1_
; %bb.0:
	.section	.rodata,"a",@progbits
	.p2align	6, 0x0
	.amdhsa_kernel _ZN7rocprim17ROCPRIM_400000_NS6detail17trampoline_kernelINS0_14default_configENS1_25partition_config_selectorILNS1_17partition_subalgoE5ElNS0_10empty_typeEbEEZZNS1_14partition_implILS5_5ELb0ES3_mN6hipcub16HIPCUB_304000_NS21CountingInputIteratorIllEEPS6_NSA_22TransformInputIteratorIb7NonZeroIsEPslEENS0_5tupleIJPlS6_EEENSJ_IJSD_SD_EEES6_SK_JS6_EEE10hipError_tPvRmT3_T4_T5_T6_T7_T9_mT8_P12ihipStream_tbDpT10_ENKUlT_T0_E_clISt17integral_constantIbLb0EES16_EEDaS11_S12_EUlS11_E_NS1_11comp_targetILNS1_3genE0ELNS1_11target_archE4294967295ELNS1_3gpuE0ELNS1_3repE0EEENS1_30default_config_static_selectorELNS0_4arch9wavefront6targetE1EEEvT1_
		.amdhsa_group_segment_fixed_size 0
		.amdhsa_private_segment_fixed_size 0
		.amdhsa_kernarg_size 120
		.amdhsa_user_sgpr_count 6
		.amdhsa_user_sgpr_private_segment_buffer 1
		.amdhsa_user_sgpr_dispatch_ptr 0
		.amdhsa_user_sgpr_queue_ptr 0
		.amdhsa_user_sgpr_kernarg_segment_ptr 1
		.amdhsa_user_sgpr_dispatch_id 0
		.amdhsa_user_sgpr_flat_scratch_init 0
		.amdhsa_user_sgpr_private_segment_size 0
		.amdhsa_uses_dynamic_stack 0
		.amdhsa_system_sgpr_private_segment_wavefront_offset 0
		.amdhsa_system_sgpr_workgroup_id_x 1
		.amdhsa_system_sgpr_workgroup_id_y 0
		.amdhsa_system_sgpr_workgroup_id_z 0
		.amdhsa_system_sgpr_workgroup_info 0
		.amdhsa_system_vgpr_workitem_id 0
		.amdhsa_next_free_vgpr 1
		.amdhsa_next_free_sgpr 0
		.amdhsa_reserve_vcc 0
		.amdhsa_reserve_flat_scratch 0
		.amdhsa_float_round_mode_32 0
		.amdhsa_float_round_mode_16_64 0
		.amdhsa_float_denorm_mode_32 3
		.amdhsa_float_denorm_mode_16_64 3
		.amdhsa_dx10_clamp 1
		.amdhsa_ieee_mode 1
		.amdhsa_fp16_overflow 0
		.amdhsa_exception_fp_ieee_invalid_op 0
		.amdhsa_exception_fp_denorm_src 0
		.amdhsa_exception_fp_ieee_div_zero 0
		.amdhsa_exception_fp_ieee_overflow 0
		.amdhsa_exception_fp_ieee_underflow 0
		.amdhsa_exception_fp_ieee_inexact 0
		.amdhsa_exception_int_div_zero 0
	.end_amdhsa_kernel
	.section	.text._ZN7rocprim17ROCPRIM_400000_NS6detail17trampoline_kernelINS0_14default_configENS1_25partition_config_selectorILNS1_17partition_subalgoE5ElNS0_10empty_typeEbEEZZNS1_14partition_implILS5_5ELb0ES3_mN6hipcub16HIPCUB_304000_NS21CountingInputIteratorIllEEPS6_NSA_22TransformInputIteratorIb7NonZeroIsEPslEENS0_5tupleIJPlS6_EEENSJ_IJSD_SD_EEES6_SK_JS6_EEE10hipError_tPvRmT3_T4_T5_T6_T7_T9_mT8_P12ihipStream_tbDpT10_ENKUlT_T0_E_clISt17integral_constantIbLb0EES16_EEDaS11_S12_EUlS11_E_NS1_11comp_targetILNS1_3genE0ELNS1_11target_archE4294967295ELNS1_3gpuE0ELNS1_3repE0EEENS1_30default_config_static_selectorELNS0_4arch9wavefront6targetE1EEEvT1_,"axG",@progbits,_ZN7rocprim17ROCPRIM_400000_NS6detail17trampoline_kernelINS0_14default_configENS1_25partition_config_selectorILNS1_17partition_subalgoE5ElNS0_10empty_typeEbEEZZNS1_14partition_implILS5_5ELb0ES3_mN6hipcub16HIPCUB_304000_NS21CountingInputIteratorIllEEPS6_NSA_22TransformInputIteratorIb7NonZeroIsEPslEENS0_5tupleIJPlS6_EEENSJ_IJSD_SD_EEES6_SK_JS6_EEE10hipError_tPvRmT3_T4_T5_T6_T7_T9_mT8_P12ihipStream_tbDpT10_ENKUlT_T0_E_clISt17integral_constantIbLb0EES16_EEDaS11_S12_EUlS11_E_NS1_11comp_targetILNS1_3genE0ELNS1_11target_archE4294967295ELNS1_3gpuE0ELNS1_3repE0EEENS1_30default_config_static_selectorELNS0_4arch9wavefront6targetE1EEEvT1_,comdat
.Lfunc_end117:
	.size	_ZN7rocprim17ROCPRIM_400000_NS6detail17trampoline_kernelINS0_14default_configENS1_25partition_config_selectorILNS1_17partition_subalgoE5ElNS0_10empty_typeEbEEZZNS1_14partition_implILS5_5ELb0ES3_mN6hipcub16HIPCUB_304000_NS21CountingInputIteratorIllEEPS6_NSA_22TransformInputIteratorIb7NonZeroIsEPslEENS0_5tupleIJPlS6_EEENSJ_IJSD_SD_EEES6_SK_JS6_EEE10hipError_tPvRmT3_T4_T5_T6_T7_T9_mT8_P12ihipStream_tbDpT10_ENKUlT_T0_E_clISt17integral_constantIbLb0EES16_EEDaS11_S12_EUlS11_E_NS1_11comp_targetILNS1_3genE0ELNS1_11target_archE4294967295ELNS1_3gpuE0ELNS1_3repE0EEENS1_30default_config_static_selectorELNS0_4arch9wavefront6targetE1EEEvT1_, .Lfunc_end117-_ZN7rocprim17ROCPRIM_400000_NS6detail17trampoline_kernelINS0_14default_configENS1_25partition_config_selectorILNS1_17partition_subalgoE5ElNS0_10empty_typeEbEEZZNS1_14partition_implILS5_5ELb0ES3_mN6hipcub16HIPCUB_304000_NS21CountingInputIteratorIllEEPS6_NSA_22TransformInputIteratorIb7NonZeroIsEPslEENS0_5tupleIJPlS6_EEENSJ_IJSD_SD_EEES6_SK_JS6_EEE10hipError_tPvRmT3_T4_T5_T6_T7_T9_mT8_P12ihipStream_tbDpT10_ENKUlT_T0_E_clISt17integral_constantIbLb0EES16_EEDaS11_S12_EUlS11_E_NS1_11comp_targetILNS1_3genE0ELNS1_11target_archE4294967295ELNS1_3gpuE0ELNS1_3repE0EEENS1_30default_config_static_selectorELNS0_4arch9wavefront6targetE1EEEvT1_
                                        ; -- End function
	.set _ZN7rocprim17ROCPRIM_400000_NS6detail17trampoline_kernelINS0_14default_configENS1_25partition_config_selectorILNS1_17partition_subalgoE5ElNS0_10empty_typeEbEEZZNS1_14partition_implILS5_5ELb0ES3_mN6hipcub16HIPCUB_304000_NS21CountingInputIteratorIllEEPS6_NSA_22TransformInputIteratorIb7NonZeroIsEPslEENS0_5tupleIJPlS6_EEENSJ_IJSD_SD_EEES6_SK_JS6_EEE10hipError_tPvRmT3_T4_T5_T6_T7_T9_mT8_P12ihipStream_tbDpT10_ENKUlT_T0_E_clISt17integral_constantIbLb0EES16_EEDaS11_S12_EUlS11_E_NS1_11comp_targetILNS1_3genE0ELNS1_11target_archE4294967295ELNS1_3gpuE0ELNS1_3repE0EEENS1_30default_config_static_selectorELNS0_4arch9wavefront6targetE1EEEvT1_.num_vgpr, 0
	.set _ZN7rocprim17ROCPRIM_400000_NS6detail17trampoline_kernelINS0_14default_configENS1_25partition_config_selectorILNS1_17partition_subalgoE5ElNS0_10empty_typeEbEEZZNS1_14partition_implILS5_5ELb0ES3_mN6hipcub16HIPCUB_304000_NS21CountingInputIteratorIllEEPS6_NSA_22TransformInputIteratorIb7NonZeroIsEPslEENS0_5tupleIJPlS6_EEENSJ_IJSD_SD_EEES6_SK_JS6_EEE10hipError_tPvRmT3_T4_T5_T6_T7_T9_mT8_P12ihipStream_tbDpT10_ENKUlT_T0_E_clISt17integral_constantIbLb0EES16_EEDaS11_S12_EUlS11_E_NS1_11comp_targetILNS1_3genE0ELNS1_11target_archE4294967295ELNS1_3gpuE0ELNS1_3repE0EEENS1_30default_config_static_selectorELNS0_4arch9wavefront6targetE1EEEvT1_.num_agpr, 0
	.set _ZN7rocprim17ROCPRIM_400000_NS6detail17trampoline_kernelINS0_14default_configENS1_25partition_config_selectorILNS1_17partition_subalgoE5ElNS0_10empty_typeEbEEZZNS1_14partition_implILS5_5ELb0ES3_mN6hipcub16HIPCUB_304000_NS21CountingInputIteratorIllEEPS6_NSA_22TransformInputIteratorIb7NonZeroIsEPslEENS0_5tupleIJPlS6_EEENSJ_IJSD_SD_EEES6_SK_JS6_EEE10hipError_tPvRmT3_T4_T5_T6_T7_T9_mT8_P12ihipStream_tbDpT10_ENKUlT_T0_E_clISt17integral_constantIbLb0EES16_EEDaS11_S12_EUlS11_E_NS1_11comp_targetILNS1_3genE0ELNS1_11target_archE4294967295ELNS1_3gpuE0ELNS1_3repE0EEENS1_30default_config_static_selectorELNS0_4arch9wavefront6targetE1EEEvT1_.numbered_sgpr, 0
	.set _ZN7rocprim17ROCPRIM_400000_NS6detail17trampoline_kernelINS0_14default_configENS1_25partition_config_selectorILNS1_17partition_subalgoE5ElNS0_10empty_typeEbEEZZNS1_14partition_implILS5_5ELb0ES3_mN6hipcub16HIPCUB_304000_NS21CountingInputIteratorIllEEPS6_NSA_22TransformInputIteratorIb7NonZeroIsEPslEENS0_5tupleIJPlS6_EEENSJ_IJSD_SD_EEES6_SK_JS6_EEE10hipError_tPvRmT3_T4_T5_T6_T7_T9_mT8_P12ihipStream_tbDpT10_ENKUlT_T0_E_clISt17integral_constantIbLb0EES16_EEDaS11_S12_EUlS11_E_NS1_11comp_targetILNS1_3genE0ELNS1_11target_archE4294967295ELNS1_3gpuE0ELNS1_3repE0EEENS1_30default_config_static_selectorELNS0_4arch9wavefront6targetE1EEEvT1_.num_named_barrier, 0
	.set _ZN7rocprim17ROCPRIM_400000_NS6detail17trampoline_kernelINS0_14default_configENS1_25partition_config_selectorILNS1_17partition_subalgoE5ElNS0_10empty_typeEbEEZZNS1_14partition_implILS5_5ELb0ES3_mN6hipcub16HIPCUB_304000_NS21CountingInputIteratorIllEEPS6_NSA_22TransformInputIteratorIb7NonZeroIsEPslEENS0_5tupleIJPlS6_EEENSJ_IJSD_SD_EEES6_SK_JS6_EEE10hipError_tPvRmT3_T4_T5_T6_T7_T9_mT8_P12ihipStream_tbDpT10_ENKUlT_T0_E_clISt17integral_constantIbLb0EES16_EEDaS11_S12_EUlS11_E_NS1_11comp_targetILNS1_3genE0ELNS1_11target_archE4294967295ELNS1_3gpuE0ELNS1_3repE0EEENS1_30default_config_static_selectorELNS0_4arch9wavefront6targetE1EEEvT1_.private_seg_size, 0
	.set _ZN7rocprim17ROCPRIM_400000_NS6detail17trampoline_kernelINS0_14default_configENS1_25partition_config_selectorILNS1_17partition_subalgoE5ElNS0_10empty_typeEbEEZZNS1_14partition_implILS5_5ELb0ES3_mN6hipcub16HIPCUB_304000_NS21CountingInputIteratorIllEEPS6_NSA_22TransformInputIteratorIb7NonZeroIsEPslEENS0_5tupleIJPlS6_EEENSJ_IJSD_SD_EEES6_SK_JS6_EEE10hipError_tPvRmT3_T4_T5_T6_T7_T9_mT8_P12ihipStream_tbDpT10_ENKUlT_T0_E_clISt17integral_constantIbLb0EES16_EEDaS11_S12_EUlS11_E_NS1_11comp_targetILNS1_3genE0ELNS1_11target_archE4294967295ELNS1_3gpuE0ELNS1_3repE0EEENS1_30default_config_static_selectorELNS0_4arch9wavefront6targetE1EEEvT1_.uses_vcc, 0
	.set _ZN7rocprim17ROCPRIM_400000_NS6detail17trampoline_kernelINS0_14default_configENS1_25partition_config_selectorILNS1_17partition_subalgoE5ElNS0_10empty_typeEbEEZZNS1_14partition_implILS5_5ELb0ES3_mN6hipcub16HIPCUB_304000_NS21CountingInputIteratorIllEEPS6_NSA_22TransformInputIteratorIb7NonZeroIsEPslEENS0_5tupleIJPlS6_EEENSJ_IJSD_SD_EEES6_SK_JS6_EEE10hipError_tPvRmT3_T4_T5_T6_T7_T9_mT8_P12ihipStream_tbDpT10_ENKUlT_T0_E_clISt17integral_constantIbLb0EES16_EEDaS11_S12_EUlS11_E_NS1_11comp_targetILNS1_3genE0ELNS1_11target_archE4294967295ELNS1_3gpuE0ELNS1_3repE0EEENS1_30default_config_static_selectorELNS0_4arch9wavefront6targetE1EEEvT1_.uses_flat_scratch, 0
	.set _ZN7rocprim17ROCPRIM_400000_NS6detail17trampoline_kernelINS0_14default_configENS1_25partition_config_selectorILNS1_17partition_subalgoE5ElNS0_10empty_typeEbEEZZNS1_14partition_implILS5_5ELb0ES3_mN6hipcub16HIPCUB_304000_NS21CountingInputIteratorIllEEPS6_NSA_22TransformInputIteratorIb7NonZeroIsEPslEENS0_5tupleIJPlS6_EEENSJ_IJSD_SD_EEES6_SK_JS6_EEE10hipError_tPvRmT3_T4_T5_T6_T7_T9_mT8_P12ihipStream_tbDpT10_ENKUlT_T0_E_clISt17integral_constantIbLb0EES16_EEDaS11_S12_EUlS11_E_NS1_11comp_targetILNS1_3genE0ELNS1_11target_archE4294967295ELNS1_3gpuE0ELNS1_3repE0EEENS1_30default_config_static_selectorELNS0_4arch9wavefront6targetE1EEEvT1_.has_dyn_sized_stack, 0
	.set _ZN7rocprim17ROCPRIM_400000_NS6detail17trampoline_kernelINS0_14default_configENS1_25partition_config_selectorILNS1_17partition_subalgoE5ElNS0_10empty_typeEbEEZZNS1_14partition_implILS5_5ELb0ES3_mN6hipcub16HIPCUB_304000_NS21CountingInputIteratorIllEEPS6_NSA_22TransformInputIteratorIb7NonZeroIsEPslEENS0_5tupleIJPlS6_EEENSJ_IJSD_SD_EEES6_SK_JS6_EEE10hipError_tPvRmT3_T4_T5_T6_T7_T9_mT8_P12ihipStream_tbDpT10_ENKUlT_T0_E_clISt17integral_constantIbLb0EES16_EEDaS11_S12_EUlS11_E_NS1_11comp_targetILNS1_3genE0ELNS1_11target_archE4294967295ELNS1_3gpuE0ELNS1_3repE0EEENS1_30default_config_static_selectorELNS0_4arch9wavefront6targetE1EEEvT1_.has_recursion, 0
	.set _ZN7rocprim17ROCPRIM_400000_NS6detail17trampoline_kernelINS0_14default_configENS1_25partition_config_selectorILNS1_17partition_subalgoE5ElNS0_10empty_typeEbEEZZNS1_14partition_implILS5_5ELb0ES3_mN6hipcub16HIPCUB_304000_NS21CountingInputIteratorIllEEPS6_NSA_22TransformInputIteratorIb7NonZeroIsEPslEENS0_5tupleIJPlS6_EEENSJ_IJSD_SD_EEES6_SK_JS6_EEE10hipError_tPvRmT3_T4_T5_T6_T7_T9_mT8_P12ihipStream_tbDpT10_ENKUlT_T0_E_clISt17integral_constantIbLb0EES16_EEDaS11_S12_EUlS11_E_NS1_11comp_targetILNS1_3genE0ELNS1_11target_archE4294967295ELNS1_3gpuE0ELNS1_3repE0EEENS1_30default_config_static_selectorELNS0_4arch9wavefront6targetE1EEEvT1_.has_indirect_call, 0
	.section	.AMDGPU.csdata,"",@progbits
; Kernel info:
; codeLenInByte = 0
; TotalNumSgprs: 4
; NumVgprs: 0
; ScratchSize: 0
; MemoryBound: 0
; FloatMode: 240
; IeeeMode: 1
; LDSByteSize: 0 bytes/workgroup (compile time only)
; SGPRBlocks: 0
; VGPRBlocks: 0
; NumSGPRsForWavesPerEU: 4
; NumVGPRsForWavesPerEU: 1
; Occupancy: 10
; WaveLimiterHint : 0
; COMPUTE_PGM_RSRC2:SCRATCH_EN: 0
; COMPUTE_PGM_RSRC2:USER_SGPR: 6
; COMPUTE_PGM_RSRC2:TRAP_HANDLER: 0
; COMPUTE_PGM_RSRC2:TGID_X_EN: 1
; COMPUTE_PGM_RSRC2:TGID_Y_EN: 0
; COMPUTE_PGM_RSRC2:TGID_Z_EN: 0
; COMPUTE_PGM_RSRC2:TIDIG_COMP_CNT: 0
	.section	.text._ZN7rocprim17ROCPRIM_400000_NS6detail17trampoline_kernelINS0_14default_configENS1_25partition_config_selectorILNS1_17partition_subalgoE5ElNS0_10empty_typeEbEEZZNS1_14partition_implILS5_5ELb0ES3_mN6hipcub16HIPCUB_304000_NS21CountingInputIteratorIllEEPS6_NSA_22TransformInputIteratorIb7NonZeroIsEPslEENS0_5tupleIJPlS6_EEENSJ_IJSD_SD_EEES6_SK_JS6_EEE10hipError_tPvRmT3_T4_T5_T6_T7_T9_mT8_P12ihipStream_tbDpT10_ENKUlT_T0_E_clISt17integral_constantIbLb0EES16_EEDaS11_S12_EUlS11_E_NS1_11comp_targetILNS1_3genE5ELNS1_11target_archE942ELNS1_3gpuE9ELNS1_3repE0EEENS1_30default_config_static_selectorELNS0_4arch9wavefront6targetE1EEEvT1_,"axG",@progbits,_ZN7rocprim17ROCPRIM_400000_NS6detail17trampoline_kernelINS0_14default_configENS1_25partition_config_selectorILNS1_17partition_subalgoE5ElNS0_10empty_typeEbEEZZNS1_14partition_implILS5_5ELb0ES3_mN6hipcub16HIPCUB_304000_NS21CountingInputIteratorIllEEPS6_NSA_22TransformInputIteratorIb7NonZeroIsEPslEENS0_5tupleIJPlS6_EEENSJ_IJSD_SD_EEES6_SK_JS6_EEE10hipError_tPvRmT3_T4_T5_T6_T7_T9_mT8_P12ihipStream_tbDpT10_ENKUlT_T0_E_clISt17integral_constantIbLb0EES16_EEDaS11_S12_EUlS11_E_NS1_11comp_targetILNS1_3genE5ELNS1_11target_archE942ELNS1_3gpuE9ELNS1_3repE0EEENS1_30default_config_static_selectorELNS0_4arch9wavefront6targetE1EEEvT1_,comdat
	.protected	_ZN7rocprim17ROCPRIM_400000_NS6detail17trampoline_kernelINS0_14default_configENS1_25partition_config_selectorILNS1_17partition_subalgoE5ElNS0_10empty_typeEbEEZZNS1_14partition_implILS5_5ELb0ES3_mN6hipcub16HIPCUB_304000_NS21CountingInputIteratorIllEEPS6_NSA_22TransformInputIteratorIb7NonZeroIsEPslEENS0_5tupleIJPlS6_EEENSJ_IJSD_SD_EEES6_SK_JS6_EEE10hipError_tPvRmT3_T4_T5_T6_T7_T9_mT8_P12ihipStream_tbDpT10_ENKUlT_T0_E_clISt17integral_constantIbLb0EES16_EEDaS11_S12_EUlS11_E_NS1_11comp_targetILNS1_3genE5ELNS1_11target_archE942ELNS1_3gpuE9ELNS1_3repE0EEENS1_30default_config_static_selectorELNS0_4arch9wavefront6targetE1EEEvT1_ ; -- Begin function _ZN7rocprim17ROCPRIM_400000_NS6detail17trampoline_kernelINS0_14default_configENS1_25partition_config_selectorILNS1_17partition_subalgoE5ElNS0_10empty_typeEbEEZZNS1_14partition_implILS5_5ELb0ES3_mN6hipcub16HIPCUB_304000_NS21CountingInputIteratorIllEEPS6_NSA_22TransformInputIteratorIb7NonZeroIsEPslEENS0_5tupleIJPlS6_EEENSJ_IJSD_SD_EEES6_SK_JS6_EEE10hipError_tPvRmT3_T4_T5_T6_T7_T9_mT8_P12ihipStream_tbDpT10_ENKUlT_T0_E_clISt17integral_constantIbLb0EES16_EEDaS11_S12_EUlS11_E_NS1_11comp_targetILNS1_3genE5ELNS1_11target_archE942ELNS1_3gpuE9ELNS1_3repE0EEENS1_30default_config_static_selectorELNS0_4arch9wavefront6targetE1EEEvT1_
	.globl	_ZN7rocprim17ROCPRIM_400000_NS6detail17trampoline_kernelINS0_14default_configENS1_25partition_config_selectorILNS1_17partition_subalgoE5ElNS0_10empty_typeEbEEZZNS1_14partition_implILS5_5ELb0ES3_mN6hipcub16HIPCUB_304000_NS21CountingInputIteratorIllEEPS6_NSA_22TransformInputIteratorIb7NonZeroIsEPslEENS0_5tupleIJPlS6_EEENSJ_IJSD_SD_EEES6_SK_JS6_EEE10hipError_tPvRmT3_T4_T5_T6_T7_T9_mT8_P12ihipStream_tbDpT10_ENKUlT_T0_E_clISt17integral_constantIbLb0EES16_EEDaS11_S12_EUlS11_E_NS1_11comp_targetILNS1_3genE5ELNS1_11target_archE942ELNS1_3gpuE9ELNS1_3repE0EEENS1_30default_config_static_selectorELNS0_4arch9wavefront6targetE1EEEvT1_
	.p2align	8
	.type	_ZN7rocprim17ROCPRIM_400000_NS6detail17trampoline_kernelINS0_14default_configENS1_25partition_config_selectorILNS1_17partition_subalgoE5ElNS0_10empty_typeEbEEZZNS1_14partition_implILS5_5ELb0ES3_mN6hipcub16HIPCUB_304000_NS21CountingInputIteratorIllEEPS6_NSA_22TransformInputIteratorIb7NonZeroIsEPslEENS0_5tupleIJPlS6_EEENSJ_IJSD_SD_EEES6_SK_JS6_EEE10hipError_tPvRmT3_T4_T5_T6_T7_T9_mT8_P12ihipStream_tbDpT10_ENKUlT_T0_E_clISt17integral_constantIbLb0EES16_EEDaS11_S12_EUlS11_E_NS1_11comp_targetILNS1_3genE5ELNS1_11target_archE942ELNS1_3gpuE9ELNS1_3repE0EEENS1_30default_config_static_selectorELNS0_4arch9wavefront6targetE1EEEvT1_,@function
_ZN7rocprim17ROCPRIM_400000_NS6detail17trampoline_kernelINS0_14default_configENS1_25partition_config_selectorILNS1_17partition_subalgoE5ElNS0_10empty_typeEbEEZZNS1_14partition_implILS5_5ELb0ES3_mN6hipcub16HIPCUB_304000_NS21CountingInputIteratorIllEEPS6_NSA_22TransformInputIteratorIb7NonZeroIsEPslEENS0_5tupleIJPlS6_EEENSJ_IJSD_SD_EEES6_SK_JS6_EEE10hipError_tPvRmT3_T4_T5_T6_T7_T9_mT8_P12ihipStream_tbDpT10_ENKUlT_T0_E_clISt17integral_constantIbLb0EES16_EEDaS11_S12_EUlS11_E_NS1_11comp_targetILNS1_3genE5ELNS1_11target_archE942ELNS1_3gpuE9ELNS1_3repE0EEENS1_30default_config_static_selectorELNS0_4arch9wavefront6targetE1EEEvT1_: ; @_ZN7rocprim17ROCPRIM_400000_NS6detail17trampoline_kernelINS0_14default_configENS1_25partition_config_selectorILNS1_17partition_subalgoE5ElNS0_10empty_typeEbEEZZNS1_14partition_implILS5_5ELb0ES3_mN6hipcub16HIPCUB_304000_NS21CountingInputIteratorIllEEPS6_NSA_22TransformInputIteratorIb7NonZeroIsEPslEENS0_5tupleIJPlS6_EEENSJ_IJSD_SD_EEES6_SK_JS6_EEE10hipError_tPvRmT3_T4_T5_T6_T7_T9_mT8_P12ihipStream_tbDpT10_ENKUlT_T0_E_clISt17integral_constantIbLb0EES16_EEDaS11_S12_EUlS11_E_NS1_11comp_targetILNS1_3genE5ELNS1_11target_archE942ELNS1_3gpuE9ELNS1_3repE0EEENS1_30default_config_static_selectorELNS0_4arch9wavefront6targetE1EEEvT1_
; %bb.0:
	.section	.rodata,"a",@progbits
	.p2align	6, 0x0
	.amdhsa_kernel _ZN7rocprim17ROCPRIM_400000_NS6detail17trampoline_kernelINS0_14default_configENS1_25partition_config_selectorILNS1_17partition_subalgoE5ElNS0_10empty_typeEbEEZZNS1_14partition_implILS5_5ELb0ES3_mN6hipcub16HIPCUB_304000_NS21CountingInputIteratorIllEEPS6_NSA_22TransformInputIteratorIb7NonZeroIsEPslEENS0_5tupleIJPlS6_EEENSJ_IJSD_SD_EEES6_SK_JS6_EEE10hipError_tPvRmT3_T4_T5_T6_T7_T9_mT8_P12ihipStream_tbDpT10_ENKUlT_T0_E_clISt17integral_constantIbLb0EES16_EEDaS11_S12_EUlS11_E_NS1_11comp_targetILNS1_3genE5ELNS1_11target_archE942ELNS1_3gpuE9ELNS1_3repE0EEENS1_30default_config_static_selectorELNS0_4arch9wavefront6targetE1EEEvT1_
		.amdhsa_group_segment_fixed_size 0
		.amdhsa_private_segment_fixed_size 0
		.amdhsa_kernarg_size 120
		.amdhsa_user_sgpr_count 6
		.amdhsa_user_sgpr_private_segment_buffer 1
		.amdhsa_user_sgpr_dispatch_ptr 0
		.amdhsa_user_sgpr_queue_ptr 0
		.amdhsa_user_sgpr_kernarg_segment_ptr 1
		.amdhsa_user_sgpr_dispatch_id 0
		.amdhsa_user_sgpr_flat_scratch_init 0
		.amdhsa_user_sgpr_private_segment_size 0
		.amdhsa_uses_dynamic_stack 0
		.amdhsa_system_sgpr_private_segment_wavefront_offset 0
		.amdhsa_system_sgpr_workgroup_id_x 1
		.amdhsa_system_sgpr_workgroup_id_y 0
		.amdhsa_system_sgpr_workgroup_id_z 0
		.amdhsa_system_sgpr_workgroup_info 0
		.amdhsa_system_vgpr_workitem_id 0
		.amdhsa_next_free_vgpr 1
		.amdhsa_next_free_sgpr 0
		.amdhsa_reserve_vcc 0
		.amdhsa_reserve_flat_scratch 0
		.amdhsa_float_round_mode_32 0
		.amdhsa_float_round_mode_16_64 0
		.amdhsa_float_denorm_mode_32 3
		.amdhsa_float_denorm_mode_16_64 3
		.amdhsa_dx10_clamp 1
		.amdhsa_ieee_mode 1
		.amdhsa_fp16_overflow 0
		.amdhsa_exception_fp_ieee_invalid_op 0
		.amdhsa_exception_fp_denorm_src 0
		.amdhsa_exception_fp_ieee_div_zero 0
		.amdhsa_exception_fp_ieee_overflow 0
		.amdhsa_exception_fp_ieee_underflow 0
		.amdhsa_exception_fp_ieee_inexact 0
		.amdhsa_exception_int_div_zero 0
	.end_amdhsa_kernel
	.section	.text._ZN7rocprim17ROCPRIM_400000_NS6detail17trampoline_kernelINS0_14default_configENS1_25partition_config_selectorILNS1_17partition_subalgoE5ElNS0_10empty_typeEbEEZZNS1_14partition_implILS5_5ELb0ES3_mN6hipcub16HIPCUB_304000_NS21CountingInputIteratorIllEEPS6_NSA_22TransformInputIteratorIb7NonZeroIsEPslEENS0_5tupleIJPlS6_EEENSJ_IJSD_SD_EEES6_SK_JS6_EEE10hipError_tPvRmT3_T4_T5_T6_T7_T9_mT8_P12ihipStream_tbDpT10_ENKUlT_T0_E_clISt17integral_constantIbLb0EES16_EEDaS11_S12_EUlS11_E_NS1_11comp_targetILNS1_3genE5ELNS1_11target_archE942ELNS1_3gpuE9ELNS1_3repE0EEENS1_30default_config_static_selectorELNS0_4arch9wavefront6targetE1EEEvT1_,"axG",@progbits,_ZN7rocprim17ROCPRIM_400000_NS6detail17trampoline_kernelINS0_14default_configENS1_25partition_config_selectorILNS1_17partition_subalgoE5ElNS0_10empty_typeEbEEZZNS1_14partition_implILS5_5ELb0ES3_mN6hipcub16HIPCUB_304000_NS21CountingInputIteratorIllEEPS6_NSA_22TransformInputIteratorIb7NonZeroIsEPslEENS0_5tupleIJPlS6_EEENSJ_IJSD_SD_EEES6_SK_JS6_EEE10hipError_tPvRmT3_T4_T5_T6_T7_T9_mT8_P12ihipStream_tbDpT10_ENKUlT_T0_E_clISt17integral_constantIbLb0EES16_EEDaS11_S12_EUlS11_E_NS1_11comp_targetILNS1_3genE5ELNS1_11target_archE942ELNS1_3gpuE9ELNS1_3repE0EEENS1_30default_config_static_selectorELNS0_4arch9wavefront6targetE1EEEvT1_,comdat
.Lfunc_end118:
	.size	_ZN7rocprim17ROCPRIM_400000_NS6detail17trampoline_kernelINS0_14default_configENS1_25partition_config_selectorILNS1_17partition_subalgoE5ElNS0_10empty_typeEbEEZZNS1_14partition_implILS5_5ELb0ES3_mN6hipcub16HIPCUB_304000_NS21CountingInputIteratorIllEEPS6_NSA_22TransformInputIteratorIb7NonZeroIsEPslEENS0_5tupleIJPlS6_EEENSJ_IJSD_SD_EEES6_SK_JS6_EEE10hipError_tPvRmT3_T4_T5_T6_T7_T9_mT8_P12ihipStream_tbDpT10_ENKUlT_T0_E_clISt17integral_constantIbLb0EES16_EEDaS11_S12_EUlS11_E_NS1_11comp_targetILNS1_3genE5ELNS1_11target_archE942ELNS1_3gpuE9ELNS1_3repE0EEENS1_30default_config_static_selectorELNS0_4arch9wavefront6targetE1EEEvT1_, .Lfunc_end118-_ZN7rocprim17ROCPRIM_400000_NS6detail17trampoline_kernelINS0_14default_configENS1_25partition_config_selectorILNS1_17partition_subalgoE5ElNS0_10empty_typeEbEEZZNS1_14partition_implILS5_5ELb0ES3_mN6hipcub16HIPCUB_304000_NS21CountingInputIteratorIllEEPS6_NSA_22TransformInputIteratorIb7NonZeroIsEPslEENS0_5tupleIJPlS6_EEENSJ_IJSD_SD_EEES6_SK_JS6_EEE10hipError_tPvRmT3_T4_T5_T6_T7_T9_mT8_P12ihipStream_tbDpT10_ENKUlT_T0_E_clISt17integral_constantIbLb0EES16_EEDaS11_S12_EUlS11_E_NS1_11comp_targetILNS1_3genE5ELNS1_11target_archE942ELNS1_3gpuE9ELNS1_3repE0EEENS1_30default_config_static_selectorELNS0_4arch9wavefront6targetE1EEEvT1_
                                        ; -- End function
	.set _ZN7rocprim17ROCPRIM_400000_NS6detail17trampoline_kernelINS0_14default_configENS1_25partition_config_selectorILNS1_17partition_subalgoE5ElNS0_10empty_typeEbEEZZNS1_14partition_implILS5_5ELb0ES3_mN6hipcub16HIPCUB_304000_NS21CountingInputIteratorIllEEPS6_NSA_22TransformInputIteratorIb7NonZeroIsEPslEENS0_5tupleIJPlS6_EEENSJ_IJSD_SD_EEES6_SK_JS6_EEE10hipError_tPvRmT3_T4_T5_T6_T7_T9_mT8_P12ihipStream_tbDpT10_ENKUlT_T0_E_clISt17integral_constantIbLb0EES16_EEDaS11_S12_EUlS11_E_NS1_11comp_targetILNS1_3genE5ELNS1_11target_archE942ELNS1_3gpuE9ELNS1_3repE0EEENS1_30default_config_static_selectorELNS0_4arch9wavefront6targetE1EEEvT1_.num_vgpr, 0
	.set _ZN7rocprim17ROCPRIM_400000_NS6detail17trampoline_kernelINS0_14default_configENS1_25partition_config_selectorILNS1_17partition_subalgoE5ElNS0_10empty_typeEbEEZZNS1_14partition_implILS5_5ELb0ES3_mN6hipcub16HIPCUB_304000_NS21CountingInputIteratorIllEEPS6_NSA_22TransformInputIteratorIb7NonZeroIsEPslEENS0_5tupleIJPlS6_EEENSJ_IJSD_SD_EEES6_SK_JS6_EEE10hipError_tPvRmT3_T4_T5_T6_T7_T9_mT8_P12ihipStream_tbDpT10_ENKUlT_T0_E_clISt17integral_constantIbLb0EES16_EEDaS11_S12_EUlS11_E_NS1_11comp_targetILNS1_3genE5ELNS1_11target_archE942ELNS1_3gpuE9ELNS1_3repE0EEENS1_30default_config_static_selectorELNS0_4arch9wavefront6targetE1EEEvT1_.num_agpr, 0
	.set _ZN7rocprim17ROCPRIM_400000_NS6detail17trampoline_kernelINS0_14default_configENS1_25partition_config_selectorILNS1_17partition_subalgoE5ElNS0_10empty_typeEbEEZZNS1_14partition_implILS5_5ELb0ES3_mN6hipcub16HIPCUB_304000_NS21CountingInputIteratorIllEEPS6_NSA_22TransformInputIteratorIb7NonZeroIsEPslEENS0_5tupleIJPlS6_EEENSJ_IJSD_SD_EEES6_SK_JS6_EEE10hipError_tPvRmT3_T4_T5_T6_T7_T9_mT8_P12ihipStream_tbDpT10_ENKUlT_T0_E_clISt17integral_constantIbLb0EES16_EEDaS11_S12_EUlS11_E_NS1_11comp_targetILNS1_3genE5ELNS1_11target_archE942ELNS1_3gpuE9ELNS1_3repE0EEENS1_30default_config_static_selectorELNS0_4arch9wavefront6targetE1EEEvT1_.numbered_sgpr, 0
	.set _ZN7rocprim17ROCPRIM_400000_NS6detail17trampoline_kernelINS0_14default_configENS1_25partition_config_selectorILNS1_17partition_subalgoE5ElNS0_10empty_typeEbEEZZNS1_14partition_implILS5_5ELb0ES3_mN6hipcub16HIPCUB_304000_NS21CountingInputIteratorIllEEPS6_NSA_22TransformInputIteratorIb7NonZeroIsEPslEENS0_5tupleIJPlS6_EEENSJ_IJSD_SD_EEES6_SK_JS6_EEE10hipError_tPvRmT3_T4_T5_T6_T7_T9_mT8_P12ihipStream_tbDpT10_ENKUlT_T0_E_clISt17integral_constantIbLb0EES16_EEDaS11_S12_EUlS11_E_NS1_11comp_targetILNS1_3genE5ELNS1_11target_archE942ELNS1_3gpuE9ELNS1_3repE0EEENS1_30default_config_static_selectorELNS0_4arch9wavefront6targetE1EEEvT1_.num_named_barrier, 0
	.set _ZN7rocprim17ROCPRIM_400000_NS6detail17trampoline_kernelINS0_14default_configENS1_25partition_config_selectorILNS1_17partition_subalgoE5ElNS0_10empty_typeEbEEZZNS1_14partition_implILS5_5ELb0ES3_mN6hipcub16HIPCUB_304000_NS21CountingInputIteratorIllEEPS6_NSA_22TransformInputIteratorIb7NonZeroIsEPslEENS0_5tupleIJPlS6_EEENSJ_IJSD_SD_EEES6_SK_JS6_EEE10hipError_tPvRmT3_T4_T5_T6_T7_T9_mT8_P12ihipStream_tbDpT10_ENKUlT_T0_E_clISt17integral_constantIbLb0EES16_EEDaS11_S12_EUlS11_E_NS1_11comp_targetILNS1_3genE5ELNS1_11target_archE942ELNS1_3gpuE9ELNS1_3repE0EEENS1_30default_config_static_selectorELNS0_4arch9wavefront6targetE1EEEvT1_.private_seg_size, 0
	.set _ZN7rocprim17ROCPRIM_400000_NS6detail17trampoline_kernelINS0_14default_configENS1_25partition_config_selectorILNS1_17partition_subalgoE5ElNS0_10empty_typeEbEEZZNS1_14partition_implILS5_5ELb0ES3_mN6hipcub16HIPCUB_304000_NS21CountingInputIteratorIllEEPS6_NSA_22TransformInputIteratorIb7NonZeroIsEPslEENS0_5tupleIJPlS6_EEENSJ_IJSD_SD_EEES6_SK_JS6_EEE10hipError_tPvRmT3_T4_T5_T6_T7_T9_mT8_P12ihipStream_tbDpT10_ENKUlT_T0_E_clISt17integral_constantIbLb0EES16_EEDaS11_S12_EUlS11_E_NS1_11comp_targetILNS1_3genE5ELNS1_11target_archE942ELNS1_3gpuE9ELNS1_3repE0EEENS1_30default_config_static_selectorELNS0_4arch9wavefront6targetE1EEEvT1_.uses_vcc, 0
	.set _ZN7rocprim17ROCPRIM_400000_NS6detail17trampoline_kernelINS0_14default_configENS1_25partition_config_selectorILNS1_17partition_subalgoE5ElNS0_10empty_typeEbEEZZNS1_14partition_implILS5_5ELb0ES3_mN6hipcub16HIPCUB_304000_NS21CountingInputIteratorIllEEPS6_NSA_22TransformInputIteratorIb7NonZeroIsEPslEENS0_5tupleIJPlS6_EEENSJ_IJSD_SD_EEES6_SK_JS6_EEE10hipError_tPvRmT3_T4_T5_T6_T7_T9_mT8_P12ihipStream_tbDpT10_ENKUlT_T0_E_clISt17integral_constantIbLb0EES16_EEDaS11_S12_EUlS11_E_NS1_11comp_targetILNS1_3genE5ELNS1_11target_archE942ELNS1_3gpuE9ELNS1_3repE0EEENS1_30default_config_static_selectorELNS0_4arch9wavefront6targetE1EEEvT1_.uses_flat_scratch, 0
	.set _ZN7rocprim17ROCPRIM_400000_NS6detail17trampoline_kernelINS0_14default_configENS1_25partition_config_selectorILNS1_17partition_subalgoE5ElNS0_10empty_typeEbEEZZNS1_14partition_implILS5_5ELb0ES3_mN6hipcub16HIPCUB_304000_NS21CountingInputIteratorIllEEPS6_NSA_22TransformInputIteratorIb7NonZeroIsEPslEENS0_5tupleIJPlS6_EEENSJ_IJSD_SD_EEES6_SK_JS6_EEE10hipError_tPvRmT3_T4_T5_T6_T7_T9_mT8_P12ihipStream_tbDpT10_ENKUlT_T0_E_clISt17integral_constantIbLb0EES16_EEDaS11_S12_EUlS11_E_NS1_11comp_targetILNS1_3genE5ELNS1_11target_archE942ELNS1_3gpuE9ELNS1_3repE0EEENS1_30default_config_static_selectorELNS0_4arch9wavefront6targetE1EEEvT1_.has_dyn_sized_stack, 0
	.set _ZN7rocprim17ROCPRIM_400000_NS6detail17trampoline_kernelINS0_14default_configENS1_25partition_config_selectorILNS1_17partition_subalgoE5ElNS0_10empty_typeEbEEZZNS1_14partition_implILS5_5ELb0ES3_mN6hipcub16HIPCUB_304000_NS21CountingInputIteratorIllEEPS6_NSA_22TransformInputIteratorIb7NonZeroIsEPslEENS0_5tupleIJPlS6_EEENSJ_IJSD_SD_EEES6_SK_JS6_EEE10hipError_tPvRmT3_T4_T5_T6_T7_T9_mT8_P12ihipStream_tbDpT10_ENKUlT_T0_E_clISt17integral_constantIbLb0EES16_EEDaS11_S12_EUlS11_E_NS1_11comp_targetILNS1_3genE5ELNS1_11target_archE942ELNS1_3gpuE9ELNS1_3repE0EEENS1_30default_config_static_selectorELNS0_4arch9wavefront6targetE1EEEvT1_.has_recursion, 0
	.set _ZN7rocprim17ROCPRIM_400000_NS6detail17trampoline_kernelINS0_14default_configENS1_25partition_config_selectorILNS1_17partition_subalgoE5ElNS0_10empty_typeEbEEZZNS1_14partition_implILS5_5ELb0ES3_mN6hipcub16HIPCUB_304000_NS21CountingInputIteratorIllEEPS6_NSA_22TransformInputIteratorIb7NonZeroIsEPslEENS0_5tupleIJPlS6_EEENSJ_IJSD_SD_EEES6_SK_JS6_EEE10hipError_tPvRmT3_T4_T5_T6_T7_T9_mT8_P12ihipStream_tbDpT10_ENKUlT_T0_E_clISt17integral_constantIbLb0EES16_EEDaS11_S12_EUlS11_E_NS1_11comp_targetILNS1_3genE5ELNS1_11target_archE942ELNS1_3gpuE9ELNS1_3repE0EEENS1_30default_config_static_selectorELNS0_4arch9wavefront6targetE1EEEvT1_.has_indirect_call, 0
	.section	.AMDGPU.csdata,"",@progbits
; Kernel info:
; codeLenInByte = 0
; TotalNumSgprs: 4
; NumVgprs: 0
; ScratchSize: 0
; MemoryBound: 0
; FloatMode: 240
; IeeeMode: 1
; LDSByteSize: 0 bytes/workgroup (compile time only)
; SGPRBlocks: 0
; VGPRBlocks: 0
; NumSGPRsForWavesPerEU: 4
; NumVGPRsForWavesPerEU: 1
; Occupancy: 10
; WaveLimiterHint : 0
; COMPUTE_PGM_RSRC2:SCRATCH_EN: 0
; COMPUTE_PGM_RSRC2:USER_SGPR: 6
; COMPUTE_PGM_RSRC2:TRAP_HANDLER: 0
; COMPUTE_PGM_RSRC2:TGID_X_EN: 1
; COMPUTE_PGM_RSRC2:TGID_Y_EN: 0
; COMPUTE_PGM_RSRC2:TGID_Z_EN: 0
; COMPUTE_PGM_RSRC2:TIDIG_COMP_CNT: 0
	.section	.text._ZN7rocprim17ROCPRIM_400000_NS6detail17trampoline_kernelINS0_14default_configENS1_25partition_config_selectorILNS1_17partition_subalgoE5ElNS0_10empty_typeEbEEZZNS1_14partition_implILS5_5ELb0ES3_mN6hipcub16HIPCUB_304000_NS21CountingInputIteratorIllEEPS6_NSA_22TransformInputIteratorIb7NonZeroIsEPslEENS0_5tupleIJPlS6_EEENSJ_IJSD_SD_EEES6_SK_JS6_EEE10hipError_tPvRmT3_T4_T5_T6_T7_T9_mT8_P12ihipStream_tbDpT10_ENKUlT_T0_E_clISt17integral_constantIbLb0EES16_EEDaS11_S12_EUlS11_E_NS1_11comp_targetILNS1_3genE4ELNS1_11target_archE910ELNS1_3gpuE8ELNS1_3repE0EEENS1_30default_config_static_selectorELNS0_4arch9wavefront6targetE1EEEvT1_,"axG",@progbits,_ZN7rocprim17ROCPRIM_400000_NS6detail17trampoline_kernelINS0_14default_configENS1_25partition_config_selectorILNS1_17partition_subalgoE5ElNS0_10empty_typeEbEEZZNS1_14partition_implILS5_5ELb0ES3_mN6hipcub16HIPCUB_304000_NS21CountingInputIteratorIllEEPS6_NSA_22TransformInputIteratorIb7NonZeroIsEPslEENS0_5tupleIJPlS6_EEENSJ_IJSD_SD_EEES6_SK_JS6_EEE10hipError_tPvRmT3_T4_T5_T6_T7_T9_mT8_P12ihipStream_tbDpT10_ENKUlT_T0_E_clISt17integral_constantIbLb0EES16_EEDaS11_S12_EUlS11_E_NS1_11comp_targetILNS1_3genE4ELNS1_11target_archE910ELNS1_3gpuE8ELNS1_3repE0EEENS1_30default_config_static_selectorELNS0_4arch9wavefront6targetE1EEEvT1_,comdat
	.protected	_ZN7rocprim17ROCPRIM_400000_NS6detail17trampoline_kernelINS0_14default_configENS1_25partition_config_selectorILNS1_17partition_subalgoE5ElNS0_10empty_typeEbEEZZNS1_14partition_implILS5_5ELb0ES3_mN6hipcub16HIPCUB_304000_NS21CountingInputIteratorIllEEPS6_NSA_22TransformInputIteratorIb7NonZeroIsEPslEENS0_5tupleIJPlS6_EEENSJ_IJSD_SD_EEES6_SK_JS6_EEE10hipError_tPvRmT3_T4_T5_T6_T7_T9_mT8_P12ihipStream_tbDpT10_ENKUlT_T0_E_clISt17integral_constantIbLb0EES16_EEDaS11_S12_EUlS11_E_NS1_11comp_targetILNS1_3genE4ELNS1_11target_archE910ELNS1_3gpuE8ELNS1_3repE0EEENS1_30default_config_static_selectorELNS0_4arch9wavefront6targetE1EEEvT1_ ; -- Begin function _ZN7rocprim17ROCPRIM_400000_NS6detail17trampoline_kernelINS0_14default_configENS1_25partition_config_selectorILNS1_17partition_subalgoE5ElNS0_10empty_typeEbEEZZNS1_14partition_implILS5_5ELb0ES3_mN6hipcub16HIPCUB_304000_NS21CountingInputIteratorIllEEPS6_NSA_22TransformInputIteratorIb7NonZeroIsEPslEENS0_5tupleIJPlS6_EEENSJ_IJSD_SD_EEES6_SK_JS6_EEE10hipError_tPvRmT3_T4_T5_T6_T7_T9_mT8_P12ihipStream_tbDpT10_ENKUlT_T0_E_clISt17integral_constantIbLb0EES16_EEDaS11_S12_EUlS11_E_NS1_11comp_targetILNS1_3genE4ELNS1_11target_archE910ELNS1_3gpuE8ELNS1_3repE0EEENS1_30default_config_static_selectorELNS0_4arch9wavefront6targetE1EEEvT1_
	.globl	_ZN7rocprim17ROCPRIM_400000_NS6detail17trampoline_kernelINS0_14default_configENS1_25partition_config_selectorILNS1_17partition_subalgoE5ElNS0_10empty_typeEbEEZZNS1_14partition_implILS5_5ELb0ES3_mN6hipcub16HIPCUB_304000_NS21CountingInputIteratorIllEEPS6_NSA_22TransformInputIteratorIb7NonZeroIsEPslEENS0_5tupleIJPlS6_EEENSJ_IJSD_SD_EEES6_SK_JS6_EEE10hipError_tPvRmT3_T4_T5_T6_T7_T9_mT8_P12ihipStream_tbDpT10_ENKUlT_T0_E_clISt17integral_constantIbLb0EES16_EEDaS11_S12_EUlS11_E_NS1_11comp_targetILNS1_3genE4ELNS1_11target_archE910ELNS1_3gpuE8ELNS1_3repE0EEENS1_30default_config_static_selectorELNS0_4arch9wavefront6targetE1EEEvT1_
	.p2align	8
	.type	_ZN7rocprim17ROCPRIM_400000_NS6detail17trampoline_kernelINS0_14default_configENS1_25partition_config_selectorILNS1_17partition_subalgoE5ElNS0_10empty_typeEbEEZZNS1_14partition_implILS5_5ELb0ES3_mN6hipcub16HIPCUB_304000_NS21CountingInputIteratorIllEEPS6_NSA_22TransformInputIteratorIb7NonZeroIsEPslEENS0_5tupleIJPlS6_EEENSJ_IJSD_SD_EEES6_SK_JS6_EEE10hipError_tPvRmT3_T4_T5_T6_T7_T9_mT8_P12ihipStream_tbDpT10_ENKUlT_T0_E_clISt17integral_constantIbLb0EES16_EEDaS11_S12_EUlS11_E_NS1_11comp_targetILNS1_3genE4ELNS1_11target_archE910ELNS1_3gpuE8ELNS1_3repE0EEENS1_30default_config_static_selectorELNS0_4arch9wavefront6targetE1EEEvT1_,@function
_ZN7rocprim17ROCPRIM_400000_NS6detail17trampoline_kernelINS0_14default_configENS1_25partition_config_selectorILNS1_17partition_subalgoE5ElNS0_10empty_typeEbEEZZNS1_14partition_implILS5_5ELb0ES3_mN6hipcub16HIPCUB_304000_NS21CountingInputIteratorIllEEPS6_NSA_22TransformInputIteratorIb7NonZeroIsEPslEENS0_5tupleIJPlS6_EEENSJ_IJSD_SD_EEES6_SK_JS6_EEE10hipError_tPvRmT3_T4_T5_T6_T7_T9_mT8_P12ihipStream_tbDpT10_ENKUlT_T0_E_clISt17integral_constantIbLb0EES16_EEDaS11_S12_EUlS11_E_NS1_11comp_targetILNS1_3genE4ELNS1_11target_archE910ELNS1_3gpuE8ELNS1_3repE0EEENS1_30default_config_static_selectorELNS0_4arch9wavefront6targetE1EEEvT1_: ; @_ZN7rocprim17ROCPRIM_400000_NS6detail17trampoline_kernelINS0_14default_configENS1_25partition_config_selectorILNS1_17partition_subalgoE5ElNS0_10empty_typeEbEEZZNS1_14partition_implILS5_5ELb0ES3_mN6hipcub16HIPCUB_304000_NS21CountingInputIteratorIllEEPS6_NSA_22TransformInputIteratorIb7NonZeroIsEPslEENS0_5tupleIJPlS6_EEENSJ_IJSD_SD_EEES6_SK_JS6_EEE10hipError_tPvRmT3_T4_T5_T6_T7_T9_mT8_P12ihipStream_tbDpT10_ENKUlT_T0_E_clISt17integral_constantIbLb0EES16_EEDaS11_S12_EUlS11_E_NS1_11comp_targetILNS1_3genE4ELNS1_11target_archE910ELNS1_3gpuE8ELNS1_3repE0EEENS1_30default_config_static_selectorELNS0_4arch9wavefront6targetE1EEEvT1_
; %bb.0:
	.section	.rodata,"a",@progbits
	.p2align	6, 0x0
	.amdhsa_kernel _ZN7rocprim17ROCPRIM_400000_NS6detail17trampoline_kernelINS0_14default_configENS1_25partition_config_selectorILNS1_17partition_subalgoE5ElNS0_10empty_typeEbEEZZNS1_14partition_implILS5_5ELb0ES3_mN6hipcub16HIPCUB_304000_NS21CountingInputIteratorIllEEPS6_NSA_22TransformInputIteratorIb7NonZeroIsEPslEENS0_5tupleIJPlS6_EEENSJ_IJSD_SD_EEES6_SK_JS6_EEE10hipError_tPvRmT3_T4_T5_T6_T7_T9_mT8_P12ihipStream_tbDpT10_ENKUlT_T0_E_clISt17integral_constantIbLb0EES16_EEDaS11_S12_EUlS11_E_NS1_11comp_targetILNS1_3genE4ELNS1_11target_archE910ELNS1_3gpuE8ELNS1_3repE0EEENS1_30default_config_static_selectorELNS0_4arch9wavefront6targetE1EEEvT1_
		.amdhsa_group_segment_fixed_size 0
		.amdhsa_private_segment_fixed_size 0
		.amdhsa_kernarg_size 120
		.amdhsa_user_sgpr_count 6
		.amdhsa_user_sgpr_private_segment_buffer 1
		.amdhsa_user_sgpr_dispatch_ptr 0
		.amdhsa_user_sgpr_queue_ptr 0
		.amdhsa_user_sgpr_kernarg_segment_ptr 1
		.amdhsa_user_sgpr_dispatch_id 0
		.amdhsa_user_sgpr_flat_scratch_init 0
		.amdhsa_user_sgpr_private_segment_size 0
		.amdhsa_uses_dynamic_stack 0
		.amdhsa_system_sgpr_private_segment_wavefront_offset 0
		.amdhsa_system_sgpr_workgroup_id_x 1
		.amdhsa_system_sgpr_workgroup_id_y 0
		.amdhsa_system_sgpr_workgroup_id_z 0
		.amdhsa_system_sgpr_workgroup_info 0
		.amdhsa_system_vgpr_workitem_id 0
		.amdhsa_next_free_vgpr 1
		.amdhsa_next_free_sgpr 0
		.amdhsa_reserve_vcc 0
		.amdhsa_reserve_flat_scratch 0
		.amdhsa_float_round_mode_32 0
		.amdhsa_float_round_mode_16_64 0
		.amdhsa_float_denorm_mode_32 3
		.amdhsa_float_denorm_mode_16_64 3
		.amdhsa_dx10_clamp 1
		.amdhsa_ieee_mode 1
		.amdhsa_fp16_overflow 0
		.amdhsa_exception_fp_ieee_invalid_op 0
		.amdhsa_exception_fp_denorm_src 0
		.amdhsa_exception_fp_ieee_div_zero 0
		.amdhsa_exception_fp_ieee_overflow 0
		.amdhsa_exception_fp_ieee_underflow 0
		.amdhsa_exception_fp_ieee_inexact 0
		.amdhsa_exception_int_div_zero 0
	.end_amdhsa_kernel
	.section	.text._ZN7rocprim17ROCPRIM_400000_NS6detail17trampoline_kernelINS0_14default_configENS1_25partition_config_selectorILNS1_17partition_subalgoE5ElNS0_10empty_typeEbEEZZNS1_14partition_implILS5_5ELb0ES3_mN6hipcub16HIPCUB_304000_NS21CountingInputIteratorIllEEPS6_NSA_22TransformInputIteratorIb7NonZeroIsEPslEENS0_5tupleIJPlS6_EEENSJ_IJSD_SD_EEES6_SK_JS6_EEE10hipError_tPvRmT3_T4_T5_T6_T7_T9_mT8_P12ihipStream_tbDpT10_ENKUlT_T0_E_clISt17integral_constantIbLb0EES16_EEDaS11_S12_EUlS11_E_NS1_11comp_targetILNS1_3genE4ELNS1_11target_archE910ELNS1_3gpuE8ELNS1_3repE0EEENS1_30default_config_static_selectorELNS0_4arch9wavefront6targetE1EEEvT1_,"axG",@progbits,_ZN7rocprim17ROCPRIM_400000_NS6detail17trampoline_kernelINS0_14default_configENS1_25partition_config_selectorILNS1_17partition_subalgoE5ElNS0_10empty_typeEbEEZZNS1_14partition_implILS5_5ELb0ES3_mN6hipcub16HIPCUB_304000_NS21CountingInputIteratorIllEEPS6_NSA_22TransformInputIteratorIb7NonZeroIsEPslEENS0_5tupleIJPlS6_EEENSJ_IJSD_SD_EEES6_SK_JS6_EEE10hipError_tPvRmT3_T4_T5_T6_T7_T9_mT8_P12ihipStream_tbDpT10_ENKUlT_T0_E_clISt17integral_constantIbLb0EES16_EEDaS11_S12_EUlS11_E_NS1_11comp_targetILNS1_3genE4ELNS1_11target_archE910ELNS1_3gpuE8ELNS1_3repE0EEENS1_30default_config_static_selectorELNS0_4arch9wavefront6targetE1EEEvT1_,comdat
.Lfunc_end119:
	.size	_ZN7rocprim17ROCPRIM_400000_NS6detail17trampoline_kernelINS0_14default_configENS1_25partition_config_selectorILNS1_17partition_subalgoE5ElNS0_10empty_typeEbEEZZNS1_14partition_implILS5_5ELb0ES3_mN6hipcub16HIPCUB_304000_NS21CountingInputIteratorIllEEPS6_NSA_22TransformInputIteratorIb7NonZeroIsEPslEENS0_5tupleIJPlS6_EEENSJ_IJSD_SD_EEES6_SK_JS6_EEE10hipError_tPvRmT3_T4_T5_T6_T7_T9_mT8_P12ihipStream_tbDpT10_ENKUlT_T0_E_clISt17integral_constantIbLb0EES16_EEDaS11_S12_EUlS11_E_NS1_11comp_targetILNS1_3genE4ELNS1_11target_archE910ELNS1_3gpuE8ELNS1_3repE0EEENS1_30default_config_static_selectorELNS0_4arch9wavefront6targetE1EEEvT1_, .Lfunc_end119-_ZN7rocprim17ROCPRIM_400000_NS6detail17trampoline_kernelINS0_14default_configENS1_25partition_config_selectorILNS1_17partition_subalgoE5ElNS0_10empty_typeEbEEZZNS1_14partition_implILS5_5ELb0ES3_mN6hipcub16HIPCUB_304000_NS21CountingInputIteratorIllEEPS6_NSA_22TransformInputIteratorIb7NonZeroIsEPslEENS0_5tupleIJPlS6_EEENSJ_IJSD_SD_EEES6_SK_JS6_EEE10hipError_tPvRmT3_T4_T5_T6_T7_T9_mT8_P12ihipStream_tbDpT10_ENKUlT_T0_E_clISt17integral_constantIbLb0EES16_EEDaS11_S12_EUlS11_E_NS1_11comp_targetILNS1_3genE4ELNS1_11target_archE910ELNS1_3gpuE8ELNS1_3repE0EEENS1_30default_config_static_selectorELNS0_4arch9wavefront6targetE1EEEvT1_
                                        ; -- End function
	.set _ZN7rocprim17ROCPRIM_400000_NS6detail17trampoline_kernelINS0_14default_configENS1_25partition_config_selectorILNS1_17partition_subalgoE5ElNS0_10empty_typeEbEEZZNS1_14partition_implILS5_5ELb0ES3_mN6hipcub16HIPCUB_304000_NS21CountingInputIteratorIllEEPS6_NSA_22TransformInputIteratorIb7NonZeroIsEPslEENS0_5tupleIJPlS6_EEENSJ_IJSD_SD_EEES6_SK_JS6_EEE10hipError_tPvRmT3_T4_T5_T6_T7_T9_mT8_P12ihipStream_tbDpT10_ENKUlT_T0_E_clISt17integral_constantIbLb0EES16_EEDaS11_S12_EUlS11_E_NS1_11comp_targetILNS1_3genE4ELNS1_11target_archE910ELNS1_3gpuE8ELNS1_3repE0EEENS1_30default_config_static_selectorELNS0_4arch9wavefront6targetE1EEEvT1_.num_vgpr, 0
	.set _ZN7rocprim17ROCPRIM_400000_NS6detail17trampoline_kernelINS0_14default_configENS1_25partition_config_selectorILNS1_17partition_subalgoE5ElNS0_10empty_typeEbEEZZNS1_14partition_implILS5_5ELb0ES3_mN6hipcub16HIPCUB_304000_NS21CountingInputIteratorIllEEPS6_NSA_22TransformInputIteratorIb7NonZeroIsEPslEENS0_5tupleIJPlS6_EEENSJ_IJSD_SD_EEES6_SK_JS6_EEE10hipError_tPvRmT3_T4_T5_T6_T7_T9_mT8_P12ihipStream_tbDpT10_ENKUlT_T0_E_clISt17integral_constantIbLb0EES16_EEDaS11_S12_EUlS11_E_NS1_11comp_targetILNS1_3genE4ELNS1_11target_archE910ELNS1_3gpuE8ELNS1_3repE0EEENS1_30default_config_static_selectorELNS0_4arch9wavefront6targetE1EEEvT1_.num_agpr, 0
	.set _ZN7rocprim17ROCPRIM_400000_NS6detail17trampoline_kernelINS0_14default_configENS1_25partition_config_selectorILNS1_17partition_subalgoE5ElNS0_10empty_typeEbEEZZNS1_14partition_implILS5_5ELb0ES3_mN6hipcub16HIPCUB_304000_NS21CountingInputIteratorIllEEPS6_NSA_22TransformInputIteratorIb7NonZeroIsEPslEENS0_5tupleIJPlS6_EEENSJ_IJSD_SD_EEES6_SK_JS6_EEE10hipError_tPvRmT3_T4_T5_T6_T7_T9_mT8_P12ihipStream_tbDpT10_ENKUlT_T0_E_clISt17integral_constantIbLb0EES16_EEDaS11_S12_EUlS11_E_NS1_11comp_targetILNS1_3genE4ELNS1_11target_archE910ELNS1_3gpuE8ELNS1_3repE0EEENS1_30default_config_static_selectorELNS0_4arch9wavefront6targetE1EEEvT1_.numbered_sgpr, 0
	.set _ZN7rocprim17ROCPRIM_400000_NS6detail17trampoline_kernelINS0_14default_configENS1_25partition_config_selectorILNS1_17partition_subalgoE5ElNS0_10empty_typeEbEEZZNS1_14partition_implILS5_5ELb0ES3_mN6hipcub16HIPCUB_304000_NS21CountingInputIteratorIllEEPS6_NSA_22TransformInputIteratorIb7NonZeroIsEPslEENS0_5tupleIJPlS6_EEENSJ_IJSD_SD_EEES6_SK_JS6_EEE10hipError_tPvRmT3_T4_T5_T6_T7_T9_mT8_P12ihipStream_tbDpT10_ENKUlT_T0_E_clISt17integral_constantIbLb0EES16_EEDaS11_S12_EUlS11_E_NS1_11comp_targetILNS1_3genE4ELNS1_11target_archE910ELNS1_3gpuE8ELNS1_3repE0EEENS1_30default_config_static_selectorELNS0_4arch9wavefront6targetE1EEEvT1_.num_named_barrier, 0
	.set _ZN7rocprim17ROCPRIM_400000_NS6detail17trampoline_kernelINS0_14default_configENS1_25partition_config_selectorILNS1_17partition_subalgoE5ElNS0_10empty_typeEbEEZZNS1_14partition_implILS5_5ELb0ES3_mN6hipcub16HIPCUB_304000_NS21CountingInputIteratorIllEEPS6_NSA_22TransformInputIteratorIb7NonZeroIsEPslEENS0_5tupleIJPlS6_EEENSJ_IJSD_SD_EEES6_SK_JS6_EEE10hipError_tPvRmT3_T4_T5_T6_T7_T9_mT8_P12ihipStream_tbDpT10_ENKUlT_T0_E_clISt17integral_constantIbLb0EES16_EEDaS11_S12_EUlS11_E_NS1_11comp_targetILNS1_3genE4ELNS1_11target_archE910ELNS1_3gpuE8ELNS1_3repE0EEENS1_30default_config_static_selectorELNS0_4arch9wavefront6targetE1EEEvT1_.private_seg_size, 0
	.set _ZN7rocprim17ROCPRIM_400000_NS6detail17trampoline_kernelINS0_14default_configENS1_25partition_config_selectorILNS1_17partition_subalgoE5ElNS0_10empty_typeEbEEZZNS1_14partition_implILS5_5ELb0ES3_mN6hipcub16HIPCUB_304000_NS21CountingInputIteratorIllEEPS6_NSA_22TransformInputIteratorIb7NonZeroIsEPslEENS0_5tupleIJPlS6_EEENSJ_IJSD_SD_EEES6_SK_JS6_EEE10hipError_tPvRmT3_T4_T5_T6_T7_T9_mT8_P12ihipStream_tbDpT10_ENKUlT_T0_E_clISt17integral_constantIbLb0EES16_EEDaS11_S12_EUlS11_E_NS1_11comp_targetILNS1_3genE4ELNS1_11target_archE910ELNS1_3gpuE8ELNS1_3repE0EEENS1_30default_config_static_selectorELNS0_4arch9wavefront6targetE1EEEvT1_.uses_vcc, 0
	.set _ZN7rocprim17ROCPRIM_400000_NS6detail17trampoline_kernelINS0_14default_configENS1_25partition_config_selectorILNS1_17partition_subalgoE5ElNS0_10empty_typeEbEEZZNS1_14partition_implILS5_5ELb0ES3_mN6hipcub16HIPCUB_304000_NS21CountingInputIteratorIllEEPS6_NSA_22TransformInputIteratorIb7NonZeroIsEPslEENS0_5tupleIJPlS6_EEENSJ_IJSD_SD_EEES6_SK_JS6_EEE10hipError_tPvRmT3_T4_T5_T6_T7_T9_mT8_P12ihipStream_tbDpT10_ENKUlT_T0_E_clISt17integral_constantIbLb0EES16_EEDaS11_S12_EUlS11_E_NS1_11comp_targetILNS1_3genE4ELNS1_11target_archE910ELNS1_3gpuE8ELNS1_3repE0EEENS1_30default_config_static_selectorELNS0_4arch9wavefront6targetE1EEEvT1_.uses_flat_scratch, 0
	.set _ZN7rocprim17ROCPRIM_400000_NS6detail17trampoline_kernelINS0_14default_configENS1_25partition_config_selectorILNS1_17partition_subalgoE5ElNS0_10empty_typeEbEEZZNS1_14partition_implILS5_5ELb0ES3_mN6hipcub16HIPCUB_304000_NS21CountingInputIteratorIllEEPS6_NSA_22TransformInputIteratorIb7NonZeroIsEPslEENS0_5tupleIJPlS6_EEENSJ_IJSD_SD_EEES6_SK_JS6_EEE10hipError_tPvRmT3_T4_T5_T6_T7_T9_mT8_P12ihipStream_tbDpT10_ENKUlT_T0_E_clISt17integral_constantIbLb0EES16_EEDaS11_S12_EUlS11_E_NS1_11comp_targetILNS1_3genE4ELNS1_11target_archE910ELNS1_3gpuE8ELNS1_3repE0EEENS1_30default_config_static_selectorELNS0_4arch9wavefront6targetE1EEEvT1_.has_dyn_sized_stack, 0
	.set _ZN7rocprim17ROCPRIM_400000_NS6detail17trampoline_kernelINS0_14default_configENS1_25partition_config_selectorILNS1_17partition_subalgoE5ElNS0_10empty_typeEbEEZZNS1_14partition_implILS5_5ELb0ES3_mN6hipcub16HIPCUB_304000_NS21CountingInputIteratorIllEEPS6_NSA_22TransformInputIteratorIb7NonZeroIsEPslEENS0_5tupleIJPlS6_EEENSJ_IJSD_SD_EEES6_SK_JS6_EEE10hipError_tPvRmT3_T4_T5_T6_T7_T9_mT8_P12ihipStream_tbDpT10_ENKUlT_T0_E_clISt17integral_constantIbLb0EES16_EEDaS11_S12_EUlS11_E_NS1_11comp_targetILNS1_3genE4ELNS1_11target_archE910ELNS1_3gpuE8ELNS1_3repE0EEENS1_30default_config_static_selectorELNS0_4arch9wavefront6targetE1EEEvT1_.has_recursion, 0
	.set _ZN7rocprim17ROCPRIM_400000_NS6detail17trampoline_kernelINS0_14default_configENS1_25partition_config_selectorILNS1_17partition_subalgoE5ElNS0_10empty_typeEbEEZZNS1_14partition_implILS5_5ELb0ES3_mN6hipcub16HIPCUB_304000_NS21CountingInputIteratorIllEEPS6_NSA_22TransformInputIteratorIb7NonZeroIsEPslEENS0_5tupleIJPlS6_EEENSJ_IJSD_SD_EEES6_SK_JS6_EEE10hipError_tPvRmT3_T4_T5_T6_T7_T9_mT8_P12ihipStream_tbDpT10_ENKUlT_T0_E_clISt17integral_constantIbLb0EES16_EEDaS11_S12_EUlS11_E_NS1_11comp_targetILNS1_3genE4ELNS1_11target_archE910ELNS1_3gpuE8ELNS1_3repE0EEENS1_30default_config_static_selectorELNS0_4arch9wavefront6targetE1EEEvT1_.has_indirect_call, 0
	.section	.AMDGPU.csdata,"",@progbits
; Kernel info:
; codeLenInByte = 0
; TotalNumSgprs: 4
; NumVgprs: 0
; ScratchSize: 0
; MemoryBound: 0
; FloatMode: 240
; IeeeMode: 1
; LDSByteSize: 0 bytes/workgroup (compile time only)
; SGPRBlocks: 0
; VGPRBlocks: 0
; NumSGPRsForWavesPerEU: 4
; NumVGPRsForWavesPerEU: 1
; Occupancy: 10
; WaveLimiterHint : 0
; COMPUTE_PGM_RSRC2:SCRATCH_EN: 0
; COMPUTE_PGM_RSRC2:USER_SGPR: 6
; COMPUTE_PGM_RSRC2:TRAP_HANDLER: 0
; COMPUTE_PGM_RSRC2:TGID_X_EN: 1
; COMPUTE_PGM_RSRC2:TGID_Y_EN: 0
; COMPUTE_PGM_RSRC2:TGID_Z_EN: 0
; COMPUTE_PGM_RSRC2:TIDIG_COMP_CNT: 0
	.section	.text._ZN7rocprim17ROCPRIM_400000_NS6detail17trampoline_kernelINS0_14default_configENS1_25partition_config_selectorILNS1_17partition_subalgoE5ElNS0_10empty_typeEbEEZZNS1_14partition_implILS5_5ELb0ES3_mN6hipcub16HIPCUB_304000_NS21CountingInputIteratorIllEEPS6_NSA_22TransformInputIteratorIb7NonZeroIsEPslEENS0_5tupleIJPlS6_EEENSJ_IJSD_SD_EEES6_SK_JS6_EEE10hipError_tPvRmT3_T4_T5_T6_T7_T9_mT8_P12ihipStream_tbDpT10_ENKUlT_T0_E_clISt17integral_constantIbLb0EES16_EEDaS11_S12_EUlS11_E_NS1_11comp_targetILNS1_3genE3ELNS1_11target_archE908ELNS1_3gpuE7ELNS1_3repE0EEENS1_30default_config_static_selectorELNS0_4arch9wavefront6targetE1EEEvT1_,"axG",@progbits,_ZN7rocprim17ROCPRIM_400000_NS6detail17trampoline_kernelINS0_14default_configENS1_25partition_config_selectorILNS1_17partition_subalgoE5ElNS0_10empty_typeEbEEZZNS1_14partition_implILS5_5ELb0ES3_mN6hipcub16HIPCUB_304000_NS21CountingInputIteratorIllEEPS6_NSA_22TransformInputIteratorIb7NonZeroIsEPslEENS0_5tupleIJPlS6_EEENSJ_IJSD_SD_EEES6_SK_JS6_EEE10hipError_tPvRmT3_T4_T5_T6_T7_T9_mT8_P12ihipStream_tbDpT10_ENKUlT_T0_E_clISt17integral_constantIbLb0EES16_EEDaS11_S12_EUlS11_E_NS1_11comp_targetILNS1_3genE3ELNS1_11target_archE908ELNS1_3gpuE7ELNS1_3repE0EEENS1_30default_config_static_selectorELNS0_4arch9wavefront6targetE1EEEvT1_,comdat
	.protected	_ZN7rocprim17ROCPRIM_400000_NS6detail17trampoline_kernelINS0_14default_configENS1_25partition_config_selectorILNS1_17partition_subalgoE5ElNS0_10empty_typeEbEEZZNS1_14partition_implILS5_5ELb0ES3_mN6hipcub16HIPCUB_304000_NS21CountingInputIteratorIllEEPS6_NSA_22TransformInputIteratorIb7NonZeroIsEPslEENS0_5tupleIJPlS6_EEENSJ_IJSD_SD_EEES6_SK_JS6_EEE10hipError_tPvRmT3_T4_T5_T6_T7_T9_mT8_P12ihipStream_tbDpT10_ENKUlT_T0_E_clISt17integral_constantIbLb0EES16_EEDaS11_S12_EUlS11_E_NS1_11comp_targetILNS1_3genE3ELNS1_11target_archE908ELNS1_3gpuE7ELNS1_3repE0EEENS1_30default_config_static_selectorELNS0_4arch9wavefront6targetE1EEEvT1_ ; -- Begin function _ZN7rocprim17ROCPRIM_400000_NS6detail17trampoline_kernelINS0_14default_configENS1_25partition_config_selectorILNS1_17partition_subalgoE5ElNS0_10empty_typeEbEEZZNS1_14partition_implILS5_5ELb0ES3_mN6hipcub16HIPCUB_304000_NS21CountingInputIteratorIllEEPS6_NSA_22TransformInputIteratorIb7NonZeroIsEPslEENS0_5tupleIJPlS6_EEENSJ_IJSD_SD_EEES6_SK_JS6_EEE10hipError_tPvRmT3_T4_T5_T6_T7_T9_mT8_P12ihipStream_tbDpT10_ENKUlT_T0_E_clISt17integral_constantIbLb0EES16_EEDaS11_S12_EUlS11_E_NS1_11comp_targetILNS1_3genE3ELNS1_11target_archE908ELNS1_3gpuE7ELNS1_3repE0EEENS1_30default_config_static_selectorELNS0_4arch9wavefront6targetE1EEEvT1_
	.globl	_ZN7rocprim17ROCPRIM_400000_NS6detail17trampoline_kernelINS0_14default_configENS1_25partition_config_selectorILNS1_17partition_subalgoE5ElNS0_10empty_typeEbEEZZNS1_14partition_implILS5_5ELb0ES3_mN6hipcub16HIPCUB_304000_NS21CountingInputIteratorIllEEPS6_NSA_22TransformInputIteratorIb7NonZeroIsEPslEENS0_5tupleIJPlS6_EEENSJ_IJSD_SD_EEES6_SK_JS6_EEE10hipError_tPvRmT3_T4_T5_T6_T7_T9_mT8_P12ihipStream_tbDpT10_ENKUlT_T0_E_clISt17integral_constantIbLb0EES16_EEDaS11_S12_EUlS11_E_NS1_11comp_targetILNS1_3genE3ELNS1_11target_archE908ELNS1_3gpuE7ELNS1_3repE0EEENS1_30default_config_static_selectorELNS0_4arch9wavefront6targetE1EEEvT1_
	.p2align	8
	.type	_ZN7rocprim17ROCPRIM_400000_NS6detail17trampoline_kernelINS0_14default_configENS1_25partition_config_selectorILNS1_17partition_subalgoE5ElNS0_10empty_typeEbEEZZNS1_14partition_implILS5_5ELb0ES3_mN6hipcub16HIPCUB_304000_NS21CountingInputIteratorIllEEPS6_NSA_22TransformInputIteratorIb7NonZeroIsEPslEENS0_5tupleIJPlS6_EEENSJ_IJSD_SD_EEES6_SK_JS6_EEE10hipError_tPvRmT3_T4_T5_T6_T7_T9_mT8_P12ihipStream_tbDpT10_ENKUlT_T0_E_clISt17integral_constantIbLb0EES16_EEDaS11_S12_EUlS11_E_NS1_11comp_targetILNS1_3genE3ELNS1_11target_archE908ELNS1_3gpuE7ELNS1_3repE0EEENS1_30default_config_static_selectorELNS0_4arch9wavefront6targetE1EEEvT1_,@function
_ZN7rocprim17ROCPRIM_400000_NS6detail17trampoline_kernelINS0_14default_configENS1_25partition_config_selectorILNS1_17partition_subalgoE5ElNS0_10empty_typeEbEEZZNS1_14partition_implILS5_5ELb0ES3_mN6hipcub16HIPCUB_304000_NS21CountingInputIteratorIllEEPS6_NSA_22TransformInputIteratorIb7NonZeroIsEPslEENS0_5tupleIJPlS6_EEENSJ_IJSD_SD_EEES6_SK_JS6_EEE10hipError_tPvRmT3_T4_T5_T6_T7_T9_mT8_P12ihipStream_tbDpT10_ENKUlT_T0_E_clISt17integral_constantIbLb0EES16_EEDaS11_S12_EUlS11_E_NS1_11comp_targetILNS1_3genE3ELNS1_11target_archE908ELNS1_3gpuE7ELNS1_3repE0EEENS1_30default_config_static_selectorELNS0_4arch9wavefront6targetE1EEEvT1_: ; @_ZN7rocprim17ROCPRIM_400000_NS6detail17trampoline_kernelINS0_14default_configENS1_25partition_config_selectorILNS1_17partition_subalgoE5ElNS0_10empty_typeEbEEZZNS1_14partition_implILS5_5ELb0ES3_mN6hipcub16HIPCUB_304000_NS21CountingInputIteratorIllEEPS6_NSA_22TransformInputIteratorIb7NonZeroIsEPslEENS0_5tupleIJPlS6_EEENSJ_IJSD_SD_EEES6_SK_JS6_EEE10hipError_tPvRmT3_T4_T5_T6_T7_T9_mT8_P12ihipStream_tbDpT10_ENKUlT_T0_E_clISt17integral_constantIbLb0EES16_EEDaS11_S12_EUlS11_E_NS1_11comp_targetILNS1_3genE3ELNS1_11target_archE908ELNS1_3gpuE7ELNS1_3repE0EEENS1_30default_config_static_selectorELNS0_4arch9wavefront6targetE1EEEvT1_
; %bb.0:
	.section	.rodata,"a",@progbits
	.p2align	6, 0x0
	.amdhsa_kernel _ZN7rocprim17ROCPRIM_400000_NS6detail17trampoline_kernelINS0_14default_configENS1_25partition_config_selectorILNS1_17partition_subalgoE5ElNS0_10empty_typeEbEEZZNS1_14partition_implILS5_5ELb0ES3_mN6hipcub16HIPCUB_304000_NS21CountingInputIteratorIllEEPS6_NSA_22TransformInputIteratorIb7NonZeroIsEPslEENS0_5tupleIJPlS6_EEENSJ_IJSD_SD_EEES6_SK_JS6_EEE10hipError_tPvRmT3_T4_T5_T6_T7_T9_mT8_P12ihipStream_tbDpT10_ENKUlT_T0_E_clISt17integral_constantIbLb0EES16_EEDaS11_S12_EUlS11_E_NS1_11comp_targetILNS1_3genE3ELNS1_11target_archE908ELNS1_3gpuE7ELNS1_3repE0EEENS1_30default_config_static_selectorELNS0_4arch9wavefront6targetE1EEEvT1_
		.amdhsa_group_segment_fixed_size 0
		.amdhsa_private_segment_fixed_size 0
		.amdhsa_kernarg_size 120
		.amdhsa_user_sgpr_count 6
		.amdhsa_user_sgpr_private_segment_buffer 1
		.amdhsa_user_sgpr_dispatch_ptr 0
		.amdhsa_user_sgpr_queue_ptr 0
		.amdhsa_user_sgpr_kernarg_segment_ptr 1
		.amdhsa_user_sgpr_dispatch_id 0
		.amdhsa_user_sgpr_flat_scratch_init 0
		.amdhsa_user_sgpr_private_segment_size 0
		.amdhsa_uses_dynamic_stack 0
		.amdhsa_system_sgpr_private_segment_wavefront_offset 0
		.amdhsa_system_sgpr_workgroup_id_x 1
		.amdhsa_system_sgpr_workgroup_id_y 0
		.amdhsa_system_sgpr_workgroup_id_z 0
		.amdhsa_system_sgpr_workgroup_info 0
		.amdhsa_system_vgpr_workitem_id 0
		.amdhsa_next_free_vgpr 1
		.amdhsa_next_free_sgpr 0
		.amdhsa_reserve_vcc 0
		.amdhsa_reserve_flat_scratch 0
		.amdhsa_float_round_mode_32 0
		.amdhsa_float_round_mode_16_64 0
		.amdhsa_float_denorm_mode_32 3
		.amdhsa_float_denorm_mode_16_64 3
		.amdhsa_dx10_clamp 1
		.amdhsa_ieee_mode 1
		.amdhsa_fp16_overflow 0
		.amdhsa_exception_fp_ieee_invalid_op 0
		.amdhsa_exception_fp_denorm_src 0
		.amdhsa_exception_fp_ieee_div_zero 0
		.amdhsa_exception_fp_ieee_overflow 0
		.amdhsa_exception_fp_ieee_underflow 0
		.amdhsa_exception_fp_ieee_inexact 0
		.amdhsa_exception_int_div_zero 0
	.end_amdhsa_kernel
	.section	.text._ZN7rocprim17ROCPRIM_400000_NS6detail17trampoline_kernelINS0_14default_configENS1_25partition_config_selectorILNS1_17partition_subalgoE5ElNS0_10empty_typeEbEEZZNS1_14partition_implILS5_5ELb0ES3_mN6hipcub16HIPCUB_304000_NS21CountingInputIteratorIllEEPS6_NSA_22TransformInputIteratorIb7NonZeroIsEPslEENS0_5tupleIJPlS6_EEENSJ_IJSD_SD_EEES6_SK_JS6_EEE10hipError_tPvRmT3_T4_T5_T6_T7_T9_mT8_P12ihipStream_tbDpT10_ENKUlT_T0_E_clISt17integral_constantIbLb0EES16_EEDaS11_S12_EUlS11_E_NS1_11comp_targetILNS1_3genE3ELNS1_11target_archE908ELNS1_3gpuE7ELNS1_3repE0EEENS1_30default_config_static_selectorELNS0_4arch9wavefront6targetE1EEEvT1_,"axG",@progbits,_ZN7rocprim17ROCPRIM_400000_NS6detail17trampoline_kernelINS0_14default_configENS1_25partition_config_selectorILNS1_17partition_subalgoE5ElNS0_10empty_typeEbEEZZNS1_14partition_implILS5_5ELb0ES3_mN6hipcub16HIPCUB_304000_NS21CountingInputIteratorIllEEPS6_NSA_22TransformInputIteratorIb7NonZeroIsEPslEENS0_5tupleIJPlS6_EEENSJ_IJSD_SD_EEES6_SK_JS6_EEE10hipError_tPvRmT3_T4_T5_T6_T7_T9_mT8_P12ihipStream_tbDpT10_ENKUlT_T0_E_clISt17integral_constantIbLb0EES16_EEDaS11_S12_EUlS11_E_NS1_11comp_targetILNS1_3genE3ELNS1_11target_archE908ELNS1_3gpuE7ELNS1_3repE0EEENS1_30default_config_static_selectorELNS0_4arch9wavefront6targetE1EEEvT1_,comdat
.Lfunc_end120:
	.size	_ZN7rocprim17ROCPRIM_400000_NS6detail17trampoline_kernelINS0_14default_configENS1_25partition_config_selectorILNS1_17partition_subalgoE5ElNS0_10empty_typeEbEEZZNS1_14partition_implILS5_5ELb0ES3_mN6hipcub16HIPCUB_304000_NS21CountingInputIteratorIllEEPS6_NSA_22TransformInputIteratorIb7NonZeroIsEPslEENS0_5tupleIJPlS6_EEENSJ_IJSD_SD_EEES6_SK_JS6_EEE10hipError_tPvRmT3_T4_T5_T6_T7_T9_mT8_P12ihipStream_tbDpT10_ENKUlT_T0_E_clISt17integral_constantIbLb0EES16_EEDaS11_S12_EUlS11_E_NS1_11comp_targetILNS1_3genE3ELNS1_11target_archE908ELNS1_3gpuE7ELNS1_3repE0EEENS1_30default_config_static_selectorELNS0_4arch9wavefront6targetE1EEEvT1_, .Lfunc_end120-_ZN7rocprim17ROCPRIM_400000_NS6detail17trampoline_kernelINS0_14default_configENS1_25partition_config_selectorILNS1_17partition_subalgoE5ElNS0_10empty_typeEbEEZZNS1_14partition_implILS5_5ELb0ES3_mN6hipcub16HIPCUB_304000_NS21CountingInputIteratorIllEEPS6_NSA_22TransformInputIteratorIb7NonZeroIsEPslEENS0_5tupleIJPlS6_EEENSJ_IJSD_SD_EEES6_SK_JS6_EEE10hipError_tPvRmT3_T4_T5_T6_T7_T9_mT8_P12ihipStream_tbDpT10_ENKUlT_T0_E_clISt17integral_constantIbLb0EES16_EEDaS11_S12_EUlS11_E_NS1_11comp_targetILNS1_3genE3ELNS1_11target_archE908ELNS1_3gpuE7ELNS1_3repE0EEENS1_30default_config_static_selectorELNS0_4arch9wavefront6targetE1EEEvT1_
                                        ; -- End function
	.set _ZN7rocprim17ROCPRIM_400000_NS6detail17trampoline_kernelINS0_14default_configENS1_25partition_config_selectorILNS1_17partition_subalgoE5ElNS0_10empty_typeEbEEZZNS1_14partition_implILS5_5ELb0ES3_mN6hipcub16HIPCUB_304000_NS21CountingInputIteratorIllEEPS6_NSA_22TransformInputIteratorIb7NonZeroIsEPslEENS0_5tupleIJPlS6_EEENSJ_IJSD_SD_EEES6_SK_JS6_EEE10hipError_tPvRmT3_T4_T5_T6_T7_T9_mT8_P12ihipStream_tbDpT10_ENKUlT_T0_E_clISt17integral_constantIbLb0EES16_EEDaS11_S12_EUlS11_E_NS1_11comp_targetILNS1_3genE3ELNS1_11target_archE908ELNS1_3gpuE7ELNS1_3repE0EEENS1_30default_config_static_selectorELNS0_4arch9wavefront6targetE1EEEvT1_.num_vgpr, 0
	.set _ZN7rocprim17ROCPRIM_400000_NS6detail17trampoline_kernelINS0_14default_configENS1_25partition_config_selectorILNS1_17partition_subalgoE5ElNS0_10empty_typeEbEEZZNS1_14partition_implILS5_5ELb0ES3_mN6hipcub16HIPCUB_304000_NS21CountingInputIteratorIllEEPS6_NSA_22TransformInputIteratorIb7NonZeroIsEPslEENS0_5tupleIJPlS6_EEENSJ_IJSD_SD_EEES6_SK_JS6_EEE10hipError_tPvRmT3_T4_T5_T6_T7_T9_mT8_P12ihipStream_tbDpT10_ENKUlT_T0_E_clISt17integral_constantIbLb0EES16_EEDaS11_S12_EUlS11_E_NS1_11comp_targetILNS1_3genE3ELNS1_11target_archE908ELNS1_3gpuE7ELNS1_3repE0EEENS1_30default_config_static_selectorELNS0_4arch9wavefront6targetE1EEEvT1_.num_agpr, 0
	.set _ZN7rocprim17ROCPRIM_400000_NS6detail17trampoline_kernelINS0_14default_configENS1_25partition_config_selectorILNS1_17partition_subalgoE5ElNS0_10empty_typeEbEEZZNS1_14partition_implILS5_5ELb0ES3_mN6hipcub16HIPCUB_304000_NS21CountingInputIteratorIllEEPS6_NSA_22TransformInputIteratorIb7NonZeroIsEPslEENS0_5tupleIJPlS6_EEENSJ_IJSD_SD_EEES6_SK_JS6_EEE10hipError_tPvRmT3_T4_T5_T6_T7_T9_mT8_P12ihipStream_tbDpT10_ENKUlT_T0_E_clISt17integral_constantIbLb0EES16_EEDaS11_S12_EUlS11_E_NS1_11comp_targetILNS1_3genE3ELNS1_11target_archE908ELNS1_3gpuE7ELNS1_3repE0EEENS1_30default_config_static_selectorELNS0_4arch9wavefront6targetE1EEEvT1_.numbered_sgpr, 0
	.set _ZN7rocprim17ROCPRIM_400000_NS6detail17trampoline_kernelINS0_14default_configENS1_25partition_config_selectorILNS1_17partition_subalgoE5ElNS0_10empty_typeEbEEZZNS1_14partition_implILS5_5ELb0ES3_mN6hipcub16HIPCUB_304000_NS21CountingInputIteratorIllEEPS6_NSA_22TransformInputIteratorIb7NonZeroIsEPslEENS0_5tupleIJPlS6_EEENSJ_IJSD_SD_EEES6_SK_JS6_EEE10hipError_tPvRmT3_T4_T5_T6_T7_T9_mT8_P12ihipStream_tbDpT10_ENKUlT_T0_E_clISt17integral_constantIbLb0EES16_EEDaS11_S12_EUlS11_E_NS1_11comp_targetILNS1_3genE3ELNS1_11target_archE908ELNS1_3gpuE7ELNS1_3repE0EEENS1_30default_config_static_selectorELNS0_4arch9wavefront6targetE1EEEvT1_.num_named_barrier, 0
	.set _ZN7rocprim17ROCPRIM_400000_NS6detail17trampoline_kernelINS0_14default_configENS1_25partition_config_selectorILNS1_17partition_subalgoE5ElNS0_10empty_typeEbEEZZNS1_14partition_implILS5_5ELb0ES3_mN6hipcub16HIPCUB_304000_NS21CountingInputIteratorIllEEPS6_NSA_22TransformInputIteratorIb7NonZeroIsEPslEENS0_5tupleIJPlS6_EEENSJ_IJSD_SD_EEES6_SK_JS6_EEE10hipError_tPvRmT3_T4_T5_T6_T7_T9_mT8_P12ihipStream_tbDpT10_ENKUlT_T0_E_clISt17integral_constantIbLb0EES16_EEDaS11_S12_EUlS11_E_NS1_11comp_targetILNS1_3genE3ELNS1_11target_archE908ELNS1_3gpuE7ELNS1_3repE0EEENS1_30default_config_static_selectorELNS0_4arch9wavefront6targetE1EEEvT1_.private_seg_size, 0
	.set _ZN7rocprim17ROCPRIM_400000_NS6detail17trampoline_kernelINS0_14default_configENS1_25partition_config_selectorILNS1_17partition_subalgoE5ElNS0_10empty_typeEbEEZZNS1_14partition_implILS5_5ELb0ES3_mN6hipcub16HIPCUB_304000_NS21CountingInputIteratorIllEEPS6_NSA_22TransformInputIteratorIb7NonZeroIsEPslEENS0_5tupleIJPlS6_EEENSJ_IJSD_SD_EEES6_SK_JS6_EEE10hipError_tPvRmT3_T4_T5_T6_T7_T9_mT8_P12ihipStream_tbDpT10_ENKUlT_T0_E_clISt17integral_constantIbLb0EES16_EEDaS11_S12_EUlS11_E_NS1_11comp_targetILNS1_3genE3ELNS1_11target_archE908ELNS1_3gpuE7ELNS1_3repE0EEENS1_30default_config_static_selectorELNS0_4arch9wavefront6targetE1EEEvT1_.uses_vcc, 0
	.set _ZN7rocprim17ROCPRIM_400000_NS6detail17trampoline_kernelINS0_14default_configENS1_25partition_config_selectorILNS1_17partition_subalgoE5ElNS0_10empty_typeEbEEZZNS1_14partition_implILS5_5ELb0ES3_mN6hipcub16HIPCUB_304000_NS21CountingInputIteratorIllEEPS6_NSA_22TransformInputIteratorIb7NonZeroIsEPslEENS0_5tupleIJPlS6_EEENSJ_IJSD_SD_EEES6_SK_JS6_EEE10hipError_tPvRmT3_T4_T5_T6_T7_T9_mT8_P12ihipStream_tbDpT10_ENKUlT_T0_E_clISt17integral_constantIbLb0EES16_EEDaS11_S12_EUlS11_E_NS1_11comp_targetILNS1_3genE3ELNS1_11target_archE908ELNS1_3gpuE7ELNS1_3repE0EEENS1_30default_config_static_selectorELNS0_4arch9wavefront6targetE1EEEvT1_.uses_flat_scratch, 0
	.set _ZN7rocprim17ROCPRIM_400000_NS6detail17trampoline_kernelINS0_14default_configENS1_25partition_config_selectorILNS1_17partition_subalgoE5ElNS0_10empty_typeEbEEZZNS1_14partition_implILS5_5ELb0ES3_mN6hipcub16HIPCUB_304000_NS21CountingInputIteratorIllEEPS6_NSA_22TransformInputIteratorIb7NonZeroIsEPslEENS0_5tupleIJPlS6_EEENSJ_IJSD_SD_EEES6_SK_JS6_EEE10hipError_tPvRmT3_T4_T5_T6_T7_T9_mT8_P12ihipStream_tbDpT10_ENKUlT_T0_E_clISt17integral_constantIbLb0EES16_EEDaS11_S12_EUlS11_E_NS1_11comp_targetILNS1_3genE3ELNS1_11target_archE908ELNS1_3gpuE7ELNS1_3repE0EEENS1_30default_config_static_selectorELNS0_4arch9wavefront6targetE1EEEvT1_.has_dyn_sized_stack, 0
	.set _ZN7rocprim17ROCPRIM_400000_NS6detail17trampoline_kernelINS0_14default_configENS1_25partition_config_selectorILNS1_17partition_subalgoE5ElNS0_10empty_typeEbEEZZNS1_14partition_implILS5_5ELb0ES3_mN6hipcub16HIPCUB_304000_NS21CountingInputIteratorIllEEPS6_NSA_22TransformInputIteratorIb7NonZeroIsEPslEENS0_5tupleIJPlS6_EEENSJ_IJSD_SD_EEES6_SK_JS6_EEE10hipError_tPvRmT3_T4_T5_T6_T7_T9_mT8_P12ihipStream_tbDpT10_ENKUlT_T0_E_clISt17integral_constantIbLb0EES16_EEDaS11_S12_EUlS11_E_NS1_11comp_targetILNS1_3genE3ELNS1_11target_archE908ELNS1_3gpuE7ELNS1_3repE0EEENS1_30default_config_static_selectorELNS0_4arch9wavefront6targetE1EEEvT1_.has_recursion, 0
	.set _ZN7rocprim17ROCPRIM_400000_NS6detail17trampoline_kernelINS0_14default_configENS1_25partition_config_selectorILNS1_17partition_subalgoE5ElNS0_10empty_typeEbEEZZNS1_14partition_implILS5_5ELb0ES3_mN6hipcub16HIPCUB_304000_NS21CountingInputIteratorIllEEPS6_NSA_22TransformInputIteratorIb7NonZeroIsEPslEENS0_5tupleIJPlS6_EEENSJ_IJSD_SD_EEES6_SK_JS6_EEE10hipError_tPvRmT3_T4_T5_T6_T7_T9_mT8_P12ihipStream_tbDpT10_ENKUlT_T0_E_clISt17integral_constantIbLb0EES16_EEDaS11_S12_EUlS11_E_NS1_11comp_targetILNS1_3genE3ELNS1_11target_archE908ELNS1_3gpuE7ELNS1_3repE0EEENS1_30default_config_static_selectorELNS0_4arch9wavefront6targetE1EEEvT1_.has_indirect_call, 0
	.section	.AMDGPU.csdata,"",@progbits
; Kernel info:
; codeLenInByte = 0
; TotalNumSgprs: 4
; NumVgprs: 0
; ScratchSize: 0
; MemoryBound: 0
; FloatMode: 240
; IeeeMode: 1
; LDSByteSize: 0 bytes/workgroup (compile time only)
; SGPRBlocks: 0
; VGPRBlocks: 0
; NumSGPRsForWavesPerEU: 4
; NumVGPRsForWavesPerEU: 1
; Occupancy: 10
; WaveLimiterHint : 0
; COMPUTE_PGM_RSRC2:SCRATCH_EN: 0
; COMPUTE_PGM_RSRC2:USER_SGPR: 6
; COMPUTE_PGM_RSRC2:TRAP_HANDLER: 0
; COMPUTE_PGM_RSRC2:TGID_X_EN: 1
; COMPUTE_PGM_RSRC2:TGID_Y_EN: 0
; COMPUTE_PGM_RSRC2:TGID_Z_EN: 0
; COMPUTE_PGM_RSRC2:TIDIG_COMP_CNT: 0
	.section	.text._ZN7rocprim17ROCPRIM_400000_NS6detail17trampoline_kernelINS0_14default_configENS1_25partition_config_selectorILNS1_17partition_subalgoE5ElNS0_10empty_typeEbEEZZNS1_14partition_implILS5_5ELb0ES3_mN6hipcub16HIPCUB_304000_NS21CountingInputIteratorIllEEPS6_NSA_22TransformInputIteratorIb7NonZeroIsEPslEENS0_5tupleIJPlS6_EEENSJ_IJSD_SD_EEES6_SK_JS6_EEE10hipError_tPvRmT3_T4_T5_T6_T7_T9_mT8_P12ihipStream_tbDpT10_ENKUlT_T0_E_clISt17integral_constantIbLb0EES16_EEDaS11_S12_EUlS11_E_NS1_11comp_targetILNS1_3genE2ELNS1_11target_archE906ELNS1_3gpuE6ELNS1_3repE0EEENS1_30default_config_static_selectorELNS0_4arch9wavefront6targetE1EEEvT1_,"axG",@progbits,_ZN7rocprim17ROCPRIM_400000_NS6detail17trampoline_kernelINS0_14default_configENS1_25partition_config_selectorILNS1_17partition_subalgoE5ElNS0_10empty_typeEbEEZZNS1_14partition_implILS5_5ELb0ES3_mN6hipcub16HIPCUB_304000_NS21CountingInputIteratorIllEEPS6_NSA_22TransformInputIteratorIb7NonZeroIsEPslEENS0_5tupleIJPlS6_EEENSJ_IJSD_SD_EEES6_SK_JS6_EEE10hipError_tPvRmT3_T4_T5_T6_T7_T9_mT8_P12ihipStream_tbDpT10_ENKUlT_T0_E_clISt17integral_constantIbLb0EES16_EEDaS11_S12_EUlS11_E_NS1_11comp_targetILNS1_3genE2ELNS1_11target_archE906ELNS1_3gpuE6ELNS1_3repE0EEENS1_30default_config_static_selectorELNS0_4arch9wavefront6targetE1EEEvT1_,comdat
	.protected	_ZN7rocprim17ROCPRIM_400000_NS6detail17trampoline_kernelINS0_14default_configENS1_25partition_config_selectorILNS1_17partition_subalgoE5ElNS0_10empty_typeEbEEZZNS1_14partition_implILS5_5ELb0ES3_mN6hipcub16HIPCUB_304000_NS21CountingInputIteratorIllEEPS6_NSA_22TransformInputIteratorIb7NonZeroIsEPslEENS0_5tupleIJPlS6_EEENSJ_IJSD_SD_EEES6_SK_JS6_EEE10hipError_tPvRmT3_T4_T5_T6_T7_T9_mT8_P12ihipStream_tbDpT10_ENKUlT_T0_E_clISt17integral_constantIbLb0EES16_EEDaS11_S12_EUlS11_E_NS1_11comp_targetILNS1_3genE2ELNS1_11target_archE906ELNS1_3gpuE6ELNS1_3repE0EEENS1_30default_config_static_selectorELNS0_4arch9wavefront6targetE1EEEvT1_ ; -- Begin function _ZN7rocprim17ROCPRIM_400000_NS6detail17trampoline_kernelINS0_14default_configENS1_25partition_config_selectorILNS1_17partition_subalgoE5ElNS0_10empty_typeEbEEZZNS1_14partition_implILS5_5ELb0ES3_mN6hipcub16HIPCUB_304000_NS21CountingInputIteratorIllEEPS6_NSA_22TransformInputIteratorIb7NonZeroIsEPslEENS0_5tupleIJPlS6_EEENSJ_IJSD_SD_EEES6_SK_JS6_EEE10hipError_tPvRmT3_T4_T5_T6_T7_T9_mT8_P12ihipStream_tbDpT10_ENKUlT_T0_E_clISt17integral_constantIbLb0EES16_EEDaS11_S12_EUlS11_E_NS1_11comp_targetILNS1_3genE2ELNS1_11target_archE906ELNS1_3gpuE6ELNS1_3repE0EEENS1_30default_config_static_selectorELNS0_4arch9wavefront6targetE1EEEvT1_
	.globl	_ZN7rocprim17ROCPRIM_400000_NS6detail17trampoline_kernelINS0_14default_configENS1_25partition_config_selectorILNS1_17partition_subalgoE5ElNS0_10empty_typeEbEEZZNS1_14partition_implILS5_5ELb0ES3_mN6hipcub16HIPCUB_304000_NS21CountingInputIteratorIllEEPS6_NSA_22TransformInputIteratorIb7NonZeroIsEPslEENS0_5tupleIJPlS6_EEENSJ_IJSD_SD_EEES6_SK_JS6_EEE10hipError_tPvRmT3_T4_T5_T6_T7_T9_mT8_P12ihipStream_tbDpT10_ENKUlT_T0_E_clISt17integral_constantIbLb0EES16_EEDaS11_S12_EUlS11_E_NS1_11comp_targetILNS1_3genE2ELNS1_11target_archE906ELNS1_3gpuE6ELNS1_3repE0EEENS1_30default_config_static_selectorELNS0_4arch9wavefront6targetE1EEEvT1_
	.p2align	8
	.type	_ZN7rocprim17ROCPRIM_400000_NS6detail17trampoline_kernelINS0_14default_configENS1_25partition_config_selectorILNS1_17partition_subalgoE5ElNS0_10empty_typeEbEEZZNS1_14partition_implILS5_5ELb0ES3_mN6hipcub16HIPCUB_304000_NS21CountingInputIteratorIllEEPS6_NSA_22TransformInputIteratorIb7NonZeroIsEPslEENS0_5tupleIJPlS6_EEENSJ_IJSD_SD_EEES6_SK_JS6_EEE10hipError_tPvRmT3_T4_T5_T6_T7_T9_mT8_P12ihipStream_tbDpT10_ENKUlT_T0_E_clISt17integral_constantIbLb0EES16_EEDaS11_S12_EUlS11_E_NS1_11comp_targetILNS1_3genE2ELNS1_11target_archE906ELNS1_3gpuE6ELNS1_3repE0EEENS1_30default_config_static_selectorELNS0_4arch9wavefront6targetE1EEEvT1_,@function
_ZN7rocprim17ROCPRIM_400000_NS6detail17trampoline_kernelINS0_14default_configENS1_25partition_config_selectorILNS1_17partition_subalgoE5ElNS0_10empty_typeEbEEZZNS1_14partition_implILS5_5ELb0ES3_mN6hipcub16HIPCUB_304000_NS21CountingInputIteratorIllEEPS6_NSA_22TransformInputIteratorIb7NonZeroIsEPslEENS0_5tupleIJPlS6_EEENSJ_IJSD_SD_EEES6_SK_JS6_EEE10hipError_tPvRmT3_T4_T5_T6_T7_T9_mT8_P12ihipStream_tbDpT10_ENKUlT_T0_E_clISt17integral_constantIbLb0EES16_EEDaS11_S12_EUlS11_E_NS1_11comp_targetILNS1_3genE2ELNS1_11target_archE906ELNS1_3gpuE6ELNS1_3repE0EEENS1_30default_config_static_selectorELNS0_4arch9wavefront6targetE1EEEvT1_: ; @_ZN7rocprim17ROCPRIM_400000_NS6detail17trampoline_kernelINS0_14default_configENS1_25partition_config_selectorILNS1_17partition_subalgoE5ElNS0_10empty_typeEbEEZZNS1_14partition_implILS5_5ELb0ES3_mN6hipcub16HIPCUB_304000_NS21CountingInputIteratorIllEEPS6_NSA_22TransformInputIteratorIb7NonZeroIsEPslEENS0_5tupleIJPlS6_EEENSJ_IJSD_SD_EEES6_SK_JS6_EEE10hipError_tPvRmT3_T4_T5_T6_T7_T9_mT8_P12ihipStream_tbDpT10_ENKUlT_T0_E_clISt17integral_constantIbLb0EES16_EEDaS11_S12_EUlS11_E_NS1_11comp_targetILNS1_3genE2ELNS1_11target_archE906ELNS1_3gpuE6ELNS1_3repE0EEENS1_30default_config_static_selectorELNS0_4arch9wavefront6targetE1EEEvT1_
; %bb.0:
	s_load_dwordx4 s[0:3], s[4:5], 0x8
	s_load_dwordx2 s[8:9], s[4:5], 0x58
	s_load_dwordx4 s[12:15], s[4:5], 0x48
	s_load_dwordx2 s[18:19], s[4:5], 0x20
	s_load_dword s7, s[4:5], 0x70
	s_waitcnt lgkmcnt(0)
	s_add_u32 s22, s2, s0
	s_addc_u32 s23, s3, s1
	s_load_dwordx2 s[10:11], s[14:15], 0x0
	s_mul_i32 s0, s6, 0x700
	s_add_i32 s16, s7, -1
	s_mulk_i32 s7, 0x700
	s_add_u32 s14, s2, s7
	s_addc_u32 s15, s3, 0
	v_mov_b32_e32 v1, s14
	v_mov_b32_e32 v2, s15
	v_cmp_le_u64_e32 vcc, s[8:9], v[1:2]
	s_cmp_eq_u32 s6, s16
	s_cselect_b64 s[14:15], -1, 0
	s_and_b64 s[16:17], s[14:15], vcc
	s_xor_b64 s[16:17], s[16:17], -1
	s_mov_b32 s1, 0
	s_mov_b64 s[20:21], -1
	s_and_b64 vcc, exec, s[16:17]
	s_cbranch_vccz .LBB121_2
; %bb.1:
	s_add_u32 s9, s22, s0
	s_addc_u32 s20, s23, 0
	v_mov_b32_e32 v2, s20
	v_add_co_u32_e32 v1, vcc, s9, v0
	v_addc_co_u32_e32 v2, vcc, 0, v2, vcc
	v_add_co_u32_e32 v3, vcc, 0x100, v1
	v_addc_co_u32_e32 v4, vcc, 0, v2, vcc
	;; [unrolled: 2-line block ×6, first 2 shown]
	v_add_co_u32_e32 v13, vcc, 0x600, v1
	v_lshlrev_b32_e32 v15, 3, v0
	v_addc_co_u32_e32 v14, vcc, 0, v2, vcc
	ds_write2st64_b64 v15, v[1:2], v[3:4] offset1:4
	ds_write2st64_b64 v15, v[5:6], v[7:8] offset0:8 offset1:12
	ds_write2st64_b64 v15, v[9:10], v[11:12] offset0:16 offset1:20
	ds_write_b64 v15, v[13:14] offset:12288
	s_waitcnt lgkmcnt(0)
	s_barrier
	s_mov_b64 s[20:21], 0
.LBB121_2:
	s_andn2_b64 vcc, exec, s[20:21]
	s_cbranch_vccnz .LBB121_4
; %bb.3:
	s_add_u32 s9, s22, s0
	s_addc_u32 s20, s23, 0
	v_mov_b32_e32 v2, s20
	v_add_co_u32_e32 v1, vcc, s9, v0
	v_addc_co_u32_e32 v2, vcc, 0, v2, vcc
	v_or_b32_e32 v3, 0x100, v0
	v_mov_b32_e32 v4, s20
	v_add_co_u32_e32 v3, vcc, s9, v3
	v_addc_co_u32_e32 v4, vcc, 0, v4, vcc
	v_or_b32_e32 v5, 0x200, v0
	;; [unrolled: 4-line block ×6, first 2 shown]
	v_mov_b32_e32 v14, s20
	v_add_co_u32_e32 v13, vcc, s9, v13
	v_lshlrev_b32_e32 v15, 3, v0
	v_addc_co_u32_e32 v14, vcc, 0, v14, vcc
	ds_write2st64_b64 v15, v[1:2], v[3:4] offset1:4
	ds_write2st64_b64 v15, v[5:6], v[7:8] offset0:8 offset1:12
	ds_write2st64_b64 v15, v[9:10], v[11:12] offset0:16 offset1:20
	ds_write_b64 v15, v[13:14] offset:12288
	s_waitcnt lgkmcnt(0)
	s_barrier
.LBB121_4:
	v_mul_u32_u24_e32 v1, 7, v0
	v_lshlrev_b32_e32 v13, 3, v1
	s_waitcnt lgkmcnt(0)
	ds_read_b64 v[21:22], v13 offset:48
	ds_read2_b64 v[1:4], v13 offset0:4 offset1:5
	ds_read2_b64 v[5:8], v13 offset0:2 offset1:3
	ds_read2_b64 v[9:12], v13 offset1:1
	s_lshl_b64 s[20:21], s[2:3], 1
	s_add_u32 s3, s18, s20
	s_addc_u32 s9, s19, s21
	s_lshl_b64 s[0:1], s[0:1], 1
	s_add_u32 s0, s3, s0
	s_addc_u32 s1, s9, s1
	s_mov_b64 s[20:21], -1
	s_and_b64 vcc, exec, s[16:17]
	v_lshlrev_b32_e32 v14, 1, v0
	s_waitcnt lgkmcnt(0)
	s_barrier
	s_cbranch_vccz .LBB121_6
; %bb.5:
	global_load_ushort v15, v14, s[0:1]
	global_load_ushort v16, v14, s[0:1] offset:512
	global_load_ushort v17, v14, s[0:1] offset:1024
	;; [unrolled: 1-line block ×6, first 2 shown]
	s_mov_b64 s[20:21], 0
	s_waitcnt vmcnt(6)
	v_cmp_ne_u16_e32 vcc, 0, v15
	v_cndmask_b32_e64 v15, 0, 1, vcc
	s_waitcnt vmcnt(5)
	v_cmp_ne_u16_e32 vcc, 0, v16
	v_cndmask_b32_e64 v16, 0, 1, vcc
	;; [unrolled: 3-line block ×7, first 2 shown]
	ds_write_b8 v0, v15
	ds_write_b8 v0, v16 offset:256
	ds_write_b8 v0, v17 offset:512
	;; [unrolled: 1-line block ×6, first 2 shown]
	s_waitcnt lgkmcnt(0)
	s_barrier
.LBB121_6:
	s_load_dwordx2 s[18:19], s[4:5], 0x68
	s_andn2_b64 vcc, exec, s[20:21]
	s_cbranch_vccnz .LBB121_22
; %bb.7:
	s_add_i32 s7, s7, s2
	s_sub_i32 s7, s8, s7
	s_addk_i32 s7, 0x700
	v_mov_b32_e32 v15, 0
	v_cmp_gt_u32_e32 vcc, s7, v0
	s_mov_b32 s8, 0
	v_mov_b32_e32 v17, v15
	v_mov_b32_e32 v16, v15
	s_and_saveexec_b64 s[2:3], vcc
	s_cbranch_execz .LBB121_9
; %bb.8:
	global_load_ushort v15, v14, s[0:1]
	v_mov_b32_e32 v17, s8
	s_waitcnt vmcnt(0)
	v_cmp_ne_u16_e32 vcc, 0, v15
	v_cndmask_b32_e64 v15, 0, 1, vcc
	v_mov_b32_e32 v16, v15
.LBB121_9:
	s_or_b64 exec, exec, s[2:3]
	v_or_b32_e32 v18, 0x100, v0
	v_cmp_gt_u32_e32 vcc, s7, v18
	s_and_saveexec_b64 s[2:3], vcc
	s_cbranch_execz .LBB121_11
; %bb.10:
	global_load_ushort v18, v14, s[0:1] offset:512
	v_mov_b32_e32 v20, 8
	s_movk_i32 s8, 0xff
	v_lshrrev_b32_e32 v19, 24, v15
	v_lshrrev_b32_sdwa v20, v20, v17 dst_sel:BYTE_1 dst_unused:UNUSED_PAD src0_sel:DWORD src1_sel:DWORD
	v_bfe_u32 v23, v17, 16, 8
	v_lshlrev_b16_e32 v19, 8, v19
	v_and_b32_sdwa v24, v15, s8 dst_sel:DWORD dst_unused:UNUSED_PAD src0_sel:WORD_1 src1_sel:DWORD
	v_or_b32_sdwa v17, v17, v20 dst_sel:DWORD dst_unused:UNUSED_PAD src0_sel:BYTE_0 src1_sel:DWORD
	v_or_b32_sdwa v19, v24, v19 dst_sel:WORD_1 dst_unused:UNUSED_PAD src0_sel:DWORD src1_sel:DWORD
	v_and_b32_e32 v17, 0xffff, v17
	v_lshl_or_b32 v17, v23, 16, v17
	s_waitcnt vmcnt(0)
	v_cmp_ne_u16_e32 vcc, 0, v18
	v_cndmask_b32_e64 v18, 0, 1, vcc
	v_lshlrev_b16_e32 v18, 8, v18
	v_or_b32_sdwa v15, v15, v18 dst_sel:DWORD dst_unused:UNUSED_PAD src0_sel:BYTE_0 src1_sel:DWORD
	v_or_b32_sdwa v15, v15, v19 dst_sel:DWORD dst_unused:UNUSED_PAD src0_sel:WORD_0 src1_sel:DWORD
.LBB121_11:
	s_or_b64 exec, exec, s[2:3]
	v_or_b32_e32 v18, 0x200, v0
	v_cmp_gt_u32_e32 vcc, s7, v18
	s_and_saveexec_b64 s[2:3], vcc
	s_cbranch_execz .LBB121_13
; %bb.12:
	global_load_ushort v18, v14, s[0:1] offset:1024
	v_mov_b32_e32 v19, 8
	v_lshrrev_b32_e32 v23, 24, v15
	v_lshrrev_b32_sdwa v19, v19, v17 dst_sel:BYTE_1 dst_unused:UNUSED_PAD src0_sel:DWORD src1_sel:DWORD
	v_bfe_u32 v20, v17, 16, 8
	s_mov_b32 s8, 0xc0c0104
	v_lshlrev_b16_e32 v23, 8, v23
	v_or_b32_sdwa v17, v17, v19 dst_sel:DWORD dst_unused:UNUSED_PAD src0_sel:BYTE_0 src1_sel:DWORD
	v_and_b32_e32 v17, 0xffff, v17
	v_perm_b32 v15, v15, v15, s8
	v_lshl_or_b32 v17, v20, 16, v17
	s_waitcnt vmcnt(0)
	v_cmp_ne_u16_e32 vcc, 0, v18
	v_cndmask_b32_e64 v18, 0, 1, vcc
	v_or_b32_sdwa v18, v18, v23 dst_sel:WORD_1 dst_unused:UNUSED_PAD src0_sel:DWORD src1_sel:DWORD
	v_or_b32_e32 v15, v15, v18
.LBB121_13:
	s_or_b64 exec, exec, s[2:3]
	v_or_b32_e32 v18, 0x300, v0
	v_cmp_gt_u32_e32 vcc, s7, v18
	s_and_saveexec_b64 s[2:3], vcc
	s_cbranch_execz .LBB121_15
; %bb.14:
	global_load_ushort v18, v14, s[0:1] offset:1536
	v_mov_b32_e32 v19, 8
	s_movk_i32 s8, 0xff
	v_lshrrev_b32_sdwa v19, v19, v17 dst_sel:BYTE_1 dst_unused:UNUSED_PAD src0_sel:DWORD src1_sel:DWORD
	v_bfe_u32 v20, v17, 16, 8
	s_mov_b32 s9, 0xc0c0104
	v_and_b32_sdwa v23, v15, s8 dst_sel:DWORD dst_unused:UNUSED_PAD src0_sel:WORD_1 src1_sel:DWORD
	v_or_b32_sdwa v17, v17, v19 dst_sel:DWORD dst_unused:UNUSED_PAD src0_sel:BYTE_0 src1_sel:DWORD
	v_and_b32_e32 v17, 0xffff, v17
	v_perm_b32 v15, v15, v15, s9
	v_lshl_or_b32 v17, v20, 16, v17
	s_waitcnt vmcnt(0)
	v_cmp_ne_u16_e32 vcc, 0, v18
	v_cndmask_b32_e64 v18, 0, 1, vcc
	v_lshlrev_b16_e32 v18, 8, v18
	v_or_b32_sdwa v18, v23, v18 dst_sel:WORD_1 dst_unused:UNUSED_PAD src0_sel:DWORD src1_sel:DWORD
	v_or_b32_e32 v15, v15, v18
.LBB121_15:
	s_or_b64 exec, exec, s[2:3]
	v_or_b32_e32 v18, 0x400, v0
	v_cmp_gt_u32_e32 vcc, s7, v18
	s_and_saveexec_b64 s[2:3], vcc
	s_cbranch_execz .LBB121_17
; %bb.16:
	global_load_ushort v18, v14, s[0:1] offset:2048
	v_mov_b32_e32 v19, 8
	v_bfe_u32 v20, v17, 16, 8
	v_lshrrev_b32_sdwa v17, v19, v17 dst_sel:BYTE_1 dst_unused:UNUSED_PAD src0_sel:DWORD src1_sel:DWORD
	s_mov_b32 s8, 0x3020104
	v_perm_b32 v15, v15, v15, s8
	s_waitcnt vmcnt(0)
	v_cmp_ne_u16_e32 vcc, 0, v18
	v_cndmask_b32_e64 v18, 0, 1, vcc
	v_or_b32_e32 v17, v18, v17
	v_and_b32_e32 v17, 0xffff, v17
	v_lshl_or_b32 v17, v20, 16, v17
.LBB121_17:
	s_or_b64 exec, exec, s[2:3]
	v_or_b32_e32 v18, 0x500, v0
	v_cmp_gt_u32_e32 vcc, s7, v18
	s_and_saveexec_b64 s[2:3], vcc
	s_cbranch_execz .LBB121_19
; %bb.18:
	global_load_ushort v18, v14, s[0:1] offset:2560
	v_bfe_u32 v19, v17, 16, 8
	s_mov_b32 s8, 0x3020104
	v_perm_b32 v15, v15, v15, s8
	s_waitcnt vmcnt(0)
	v_cmp_ne_u16_e32 vcc, 0, v18
	v_cndmask_b32_e64 v18, 0, 1, vcc
	v_lshlrev_b16_e32 v18, 8, v18
	v_or_b32_sdwa v17, v17, v18 dst_sel:DWORD dst_unused:UNUSED_PAD src0_sel:BYTE_0 src1_sel:DWORD
	v_and_b32_e32 v17, 0xffff, v17
	v_lshl_or_b32 v17, v19, 16, v17
.LBB121_19:
	s_or_b64 exec, exec, s[2:3]
	v_or_b32_e32 v18, 0x600, v0
	v_cmp_gt_u32_e32 vcc, s7, v18
	s_and_saveexec_b64 s[2:3], vcc
	s_cbranch_execz .LBB121_21
; %bb.20:
	global_load_ushort v14, v14, s[0:1] offset:3072
	v_mov_b32_e32 v18, 8
	v_lshrrev_b32_sdwa v18, v18, v17 dst_sel:BYTE_1 dst_unused:UNUSED_PAD src0_sel:DWORD src1_sel:DWORD
	v_or_b32_sdwa v17, v17, v18 dst_sel:DWORD dst_unused:UNUSED_PAD src0_sel:BYTE_0 src1_sel:DWORD
	s_mov_b32 s0, 0x3020104
	v_and_b32_e32 v17, 0xffff, v17
	v_perm_b32 v15, v15, v15, s0
	s_waitcnt vmcnt(0)
	v_cmp_ne_u16_e32 vcc, 0, v14
	v_cndmask_b32_e64 v14, 0, 1, vcc
	v_lshl_or_b32 v17, v14, 16, v17
.LBB121_21:
	s_or_b64 exec, exec, s[2:3]
	v_lshrrev_b32_e32 v14, 8, v15
	ds_write_b8 v0, v16
	ds_write_b8 v0, v14 offset:256
	ds_write_b8_d16_hi v0, v15 offset:512
	v_lshrrev_b32_e32 v14, 24, v15
	ds_write_b8 v0, v14 offset:768
	ds_write_b8 v0, v17 offset:1024
	v_lshrrev_b32_e32 v14, 8, v17
	ds_write_b8 v0, v14 offset:1280
	ds_write_b8_d16_hi v0, v17 offset:1536
	s_waitcnt lgkmcnt(0)
	s_barrier
.LBB121_22:
	s_movk_i32 s0, 0xffcf
	v_mad_i32_i24 v43, v0, s0, v13
	s_waitcnt lgkmcnt(0)
	ds_read_u8 v13, v43
	ds_read_u8 v15, v43 offset:1
	ds_read_u8 v16, v43 offset:2
	;; [unrolled: 1-line block ×6, first 2 shown]
	s_waitcnt lgkmcnt(6)
	v_and_b32_e32 v41, 1, v13
	s_waitcnt lgkmcnt(5)
	v_and_b32_e32 v40, 1, v15
	;; [unrolled: 2-line block ×4, first 2 shown]
	v_add3_u32 v13, v40, v41, v39
	s_waitcnt lgkmcnt(2)
	v_and_b32_e32 v37, 1, v18
	v_add_co_u32_e32 v13, vcc, v13, v38
	v_addc_co_u32_e64 v15, s[0:1], 0, 0, vcc
	v_add_co_u32_e32 v13, vcc, v13, v37
	s_waitcnt lgkmcnt(1)
	v_and_b32_e32 v36, 1, v19
	v_addc_co_u32_e32 v15, vcc, 0, v15, vcc
	v_add_co_u32_e32 v13, vcc, v13, v36
	s_waitcnt lgkmcnt(0)
	v_and_b32_e32 v35, 1, v20
	v_addc_co_u32_e32 v15, vcc, 0, v15, vcc
	v_add_co_u32_e32 v23, vcc, v13, v35
	v_mbcnt_lo_u32_b32 v13, -1, 0
	v_mbcnt_hi_u32_b32 v42, -1, v13
	v_and_b32_e32 v44, 15, v42
	s_cmp_lg_u32 s6, 0
	v_mov_b32_e32 v14, 0
	v_addc_co_u32_e32 v24, vcc, 0, v15, vcc
	v_cmp_ne_u32_e64 s[0:1], 0, v44
	s_barrier
	s_cbranch_scc0 .LBB121_78
; %bb.23:
	v_mov_b32_e32 v15, v23
	v_mov_b32_dpp v13, v23 row_shr:1 row_mask:0xf bank_mask:0xf
	v_mov_b32_dpp v18, v14 row_shr:1 row_mask:0xf bank_mask:0xf
	v_mov_b32_e32 v17, v23
	v_mov_b32_e32 v16, v24
	s_and_saveexec_b64 s[2:3], s[0:1]
; %bb.24:
	v_add_co_u32_e32 v17, vcc, v23, v13
	v_addc_co_u32_e32 v14, vcc, 0, v24, vcc
	v_add_co_u32_e32 v13, vcc, 0, v17
	v_addc_co_u32_e32 v14, vcc, v18, v14, vcc
	v_mov_b32_e32 v16, v14
	v_mov_b32_e32 v15, v13
; %bb.25:
	s_or_b64 exec, exec, s[2:3]
	v_mov_b32_dpp v13, v17 row_shr:2 row_mask:0xf bank_mask:0xf
	v_mov_b32_dpp v18, v14 row_shr:2 row_mask:0xf bank_mask:0xf
	v_cmp_lt_u32_e32 vcc, 1, v44
	s_and_saveexec_b64 s[2:3], vcc
; %bb.26:
	v_add_co_u32_e32 v17, vcc, v15, v13
	v_addc_co_u32_e32 v14, vcc, 0, v16, vcc
	v_add_co_u32_e32 v13, vcc, 0, v17
	v_addc_co_u32_e32 v14, vcc, v18, v14, vcc
	v_mov_b32_e32 v16, v14
	v_mov_b32_e32 v15, v13
; %bb.27:
	s_or_b64 exec, exec, s[2:3]
	v_mov_b32_dpp v13, v17 row_shr:4 row_mask:0xf bank_mask:0xf
	v_mov_b32_dpp v18, v14 row_shr:4 row_mask:0xf bank_mask:0xf
	v_cmp_lt_u32_e32 vcc, 3, v44
	s_and_saveexec_b64 s[2:3], vcc
	;; [unrolled: 13-line block ×3, first 2 shown]
; %bb.30:
	v_add_co_u32_e32 v17, vcc, v15, v13
	v_addc_co_u32_e32 v14, vcc, 0, v16, vcc
	v_add_co_u32_e32 v13, vcc, 0, v17
	v_addc_co_u32_e32 v14, vcc, v18, v14, vcc
	v_mov_b32_e32 v16, v14
	v_mov_b32_e32 v15, v13
; %bb.31:
	s_or_b64 exec, exec, s[2:3]
	v_and_b32_e32 v19, 16, v42
	v_mov_b32_dpp v13, v17 row_bcast:15 row_mask:0xf bank_mask:0xf
	v_mov_b32_dpp v18, v14 row_bcast:15 row_mask:0xf bank_mask:0xf
	v_cmp_ne_u32_e32 vcc, 0, v19
	s_and_saveexec_b64 s[2:3], vcc
; %bb.32:
	v_add_co_u32_e32 v17, vcc, v15, v13
	v_addc_co_u32_e32 v14, vcc, 0, v16, vcc
	v_add_co_u32_e32 v13, vcc, 0, v17
	v_addc_co_u32_e32 v14, vcc, v18, v14, vcc
	v_mov_b32_e32 v16, v14
	v_mov_b32_e32 v15, v13
; %bb.33:
	s_or_b64 exec, exec, s[2:3]
	v_mov_b32_dpp v13, v17 row_bcast:31 row_mask:0xf bank_mask:0xf
	v_mov_b32_dpp v18, v14 row_bcast:31 row_mask:0xf bank_mask:0xf
	v_cmp_lt_u32_e32 vcc, 31, v42
	s_and_saveexec_b64 s[2:3], vcc
; %bb.34:
	v_add_co_u32_e32 v17, vcc, v15, v13
	v_addc_co_u32_e32 v14, vcc, 0, v16, vcc
	v_add_co_u32_e32 v13, vcc, 0, v17
	v_addc_co_u32_e32 v14, vcc, v18, v14, vcc
	v_mov_b32_e32 v16, v14
	v_mov_b32_e32 v15, v13
; %bb.35:
	s_or_b64 exec, exec, s[2:3]
	v_or_b32_e32 v18, 63, v0
	v_lshrrev_b32_e32 v13, 6, v0
	v_cmp_eq_u32_e32 vcc, v0, v18
	s_and_saveexec_b64 s[2:3], vcc
; %bb.36:
	v_lshlrev_b32_e32 v18, 3, v13
	ds_write_b64 v18, v[15:16]
; %bb.37:
	s_or_b64 exec, exec, s[2:3]
	v_cmp_gt_u32_e32 vcc, 4, v0
	s_waitcnt lgkmcnt(0)
	s_barrier
	s_and_saveexec_b64 s[2:3], vcc
	s_cbranch_execz .LBB121_41
; %bb.38:
	v_lshlrev_b32_e32 v18, 3, v0
	ds_read_b64 v[15:16], v18
	v_and_b32_e32 v19, 3, v42
	v_cmp_ne_u32_e32 vcc, 0, v19
	s_waitcnt lgkmcnt(0)
	v_mov_b32_dpp v26, v15 row_shr:1 row_mask:0xf bank_mask:0xf
	v_mov_b32_dpp v25, v16 row_shr:1 row_mask:0xf bank_mask:0xf
	v_mov_b32_e32 v20, v15
	s_and_saveexec_b64 s[8:9], vcc
; %bb.39:
	v_add_co_u32_e32 v20, vcc, v15, v26
	v_addc_co_u32_e32 v16, vcc, 0, v16, vcc
	v_add_co_u32_e32 v15, vcc, 0, v20
	v_addc_co_u32_e32 v16, vcc, v25, v16, vcc
; %bb.40:
	s_or_b64 exec, exec, s[8:9]
	v_mov_b32_dpp v20, v20 row_shr:2 row_mask:0xf bank_mask:0xf
	v_add_co_u32_e32 v20, vcc, v15, v20
	v_addc_co_u32_e32 v26, vcc, 0, v16, vcc
	v_mov_b32_dpp v25, v16 row_shr:2 row_mask:0xf bank_mask:0xf
	v_add_co_u32_e32 v20, vcc, 0, v20
	v_addc_co_u32_e32 v25, vcc, v26, v25, vcc
	v_cmp_lt_u32_e32 vcc, 1, v19
	v_cndmask_b32_e32 v16, v16, v25, vcc
	v_cndmask_b32_e32 v15, v15, v20, vcc
	ds_write_b64 v18, v[15:16]
.LBB121_41:
	s_or_b64 exec, exec, s[2:3]
	v_cmp_gt_u32_e32 vcc, 64, v0
	v_cmp_lt_u32_e64 s[2:3], 63, v0
	s_waitcnt lgkmcnt(0)
	s_barrier
                                        ; implicit-def: $vgpr25_vgpr26
	s_and_saveexec_b64 s[8:9], s[2:3]
	s_cbranch_execz .LBB121_43
; %bb.42:
	v_lshl_add_u32 v13, v13, 3, -8
	ds_read_b64 v[25:26], v13
	s_waitcnt lgkmcnt(0)
	v_add_co_u32_e64 v17, s[2:3], v17, v25
	v_addc_co_u32_e64 v14, s[2:3], v14, v26, s[2:3]
.LBB121_43:
	s_or_b64 exec, exec, s[8:9]
	v_subrev_co_u32_e64 v13, s[2:3], 1, v42
	v_and_b32_e32 v15, 64, v42
	v_cmp_lt_i32_e64 s[8:9], v13, v15
	v_cndmask_b32_e64 v13, v13, v42, s[8:9]
	v_lshlrev_b32_e32 v13, 2, v13
	ds_bpermute_b32 v33, v13, v17
	ds_bpermute_b32 v34, v13, v14
	s_and_saveexec_b64 s[8:9], vcc
	s_cbranch_execz .LBB121_83
; %bb.44:
	v_mov_b32_e32 v16, 0
	ds_read_b64 v[13:14], v16 offset:24
	s_and_saveexec_b64 s[20:21], s[2:3]
	s_cbranch_execz .LBB121_46
; %bb.45:
	s_add_i32 s22, s6, 64
	s_mov_b32 s23, 0
	s_lshl_b64 s[22:23], s[22:23], 4
	s_add_u32 s22, s18, s22
	s_addc_u32 s23, s19, s23
	v_mov_b32_e32 v17, s22
	v_mov_b32_e32 v15, 1
	;; [unrolled: 1-line block ×3, first 2 shown]
	s_waitcnt lgkmcnt(0)
	;;#ASMSTART
	global_store_dwordx4 v[17:18], v[13:16] off	
s_waitcnt vmcnt(0)
	;;#ASMEND
.LBB121_46:
	s_or_b64 exec, exec, s[20:21]
	v_xad_u32 v27, v42, -1, s6
	v_add_u32_e32 v15, 64, v27
	v_lshlrev_b64 v[17:18], 4, v[15:16]
	v_mov_b32_e32 v15, s19
	v_add_co_u32_e32 v28, vcc, s18, v17
	v_addc_co_u32_e32 v29, vcc, v15, v18, vcc
	;;#ASMSTART
	global_load_dwordx4 v[17:20], v[28:29] off glc	
s_waitcnt vmcnt(0)
	;;#ASMEND
	v_cmp_eq_u16_sdwa s[22:23], v19, v16 src0_sel:BYTE_0 src1_sel:DWORD
	s_and_saveexec_b64 s[20:21], s[22:23]
	s_cbranch_execz .LBB121_50
; %bb.47:
	s_mov_b64 s[22:23], 0
	v_mov_b32_e32 v15, 0
.LBB121_48:                             ; =>This Inner Loop Header: Depth=1
	;;#ASMSTART
	global_load_dwordx4 v[17:20], v[28:29] off glc	
s_waitcnt vmcnt(0)
	;;#ASMEND
	v_cmp_ne_u16_sdwa s[24:25], v19, v15 src0_sel:BYTE_0 src1_sel:DWORD
	s_or_b64 s[22:23], s[24:25], s[22:23]
	s_andn2_b64 exec, exec, s[22:23]
	s_cbranch_execnz .LBB121_48
; %bb.49:
	s_or_b64 exec, exec, s[22:23]
.LBB121_50:
	s_or_b64 exec, exec, s[20:21]
	v_and_b32_e32 v45, 63, v42
	v_mov_b32_e32 v15, 2
	v_lshlrev_b64 v[29:30], v42, -1
	v_cmp_ne_u32_e32 vcc, 63, v45
	v_cmp_eq_u16_sdwa s[20:21], v19, v15 src0_sel:BYTE_0 src1_sel:DWORD
	v_addc_co_u32_e32 v20, vcc, 0, v42, vcc
	v_and_b32_e32 v15, s21, v30
	v_lshlrev_b32_e32 v46, 2, v20
	v_or_b32_e32 v15, 0x80000000, v15
	ds_bpermute_b32 v28, v46, v17
	ds_bpermute_b32 v20, v46, v18
	v_and_b32_e32 v16, s20, v29
	v_ffbl_b32_e32 v15, v15
	v_add_u32_e32 v15, 32, v15
	v_ffbl_b32_e32 v16, v16
	v_min_u32_e32 v15, v16, v15
	v_cmp_lt_u32_e32 vcc, v45, v15
	v_mov_b32_e32 v16, v17
	s_and_saveexec_b64 s[20:21], vcc
	s_cbranch_execz .LBB121_52
; %bb.51:
	s_waitcnt lgkmcnt(1)
	v_add_co_u32_e32 v16, vcc, v17, v28
	v_addc_co_u32_e32 v18, vcc, 0, v18, vcc
	v_add_co_u32_e32 v17, vcc, 0, v16
	s_waitcnt lgkmcnt(0)
	v_addc_co_u32_e32 v18, vcc, v20, v18, vcc
.LBB121_52:
	s_or_b64 exec, exec, s[20:21]
	v_cmp_gt_u32_e32 vcc, 62, v45
	s_waitcnt lgkmcnt(0)
	v_cndmask_b32_e64 v20, 0, 2, vcc
	v_add_lshl_u32 v47, v20, v42, 2
	ds_bpermute_b32 v28, v47, v16
	ds_bpermute_b32 v20, v47, v18
	v_add_u32_e32 v48, 2, v45
	v_cmp_le_u32_e32 vcc, v48, v15
	s_and_saveexec_b64 s[20:21], vcc
	s_cbranch_execz .LBB121_54
; %bb.53:
	s_waitcnt lgkmcnt(1)
	v_add_co_u32_e32 v16, vcc, v17, v28
	v_addc_co_u32_e32 v18, vcc, 0, v18, vcc
	v_add_co_u32_e32 v17, vcc, 0, v16
	s_waitcnt lgkmcnt(0)
	v_addc_co_u32_e32 v18, vcc, v20, v18, vcc
.LBB121_54:
	s_or_b64 exec, exec, s[20:21]
	v_cmp_gt_u32_e32 vcc, 60, v45
	s_waitcnt lgkmcnt(0)
	v_cndmask_b32_e64 v20, 0, 4, vcc
	v_add_lshl_u32 v49, v20, v42, 2
	ds_bpermute_b32 v28, v49, v16
	ds_bpermute_b32 v20, v49, v18
	v_add_u32_e32 v50, 4, v45
	v_cmp_le_u32_e32 vcc, v50, v15
	;; [unrolled: 19-line block ×4, first 2 shown]
	s_and_saveexec_b64 s[20:21], vcc
	s_cbranch_execz .LBB121_60
; %bb.59:
	s_waitcnt lgkmcnt(1)
	v_add_co_u32_e32 v16, vcc, v17, v28
	v_addc_co_u32_e32 v18, vcc, 0, v18, vcc
	v_add_co_u32_e32 v17, vcc, 0, v16
	s_waitcnt lgkmcnt(0)
	v_addc_co_u32_e32 v18, vcc, v20, v18, vcc
.LBB121_60:
	s_or_b64 exec, exec, s[20:21]
	s_waitcnt lgkmcnt(0)
	v_mov_b32_e32 v20, 0x80
	v_lshl_or_b32 v55, v42, 2, v20
	ds_bpermute_b32 v16, v55, v16
	ds_bpermute_b32 v20, v55, v18
	v_add_u32_e32 v56, 32, v45
	v_mov_b32_e32 v28, 0
	v_mov_b32_e32 v57, 2
	s_waitcnt lgkmcnt(1)
	v_add_co_u32_e32 v16, vcc, v17, v16
	v_addc_co_u32_e32 v31, vcc, 0, v18, vcc
	v_add_co_u32_e32 v16, vcc, 0, v16
	s_waitcnt lgkmcnt(0)
	v_addc_co_u32_e32 v20, vcc, v31, v20, vcc
	v_cmp_gt_u32_e32 vcc, v56, v15
	v_cndmask_b32_e32 v18, v20, v18, vcc
	v_cndmask_b32_e32 v17, v16, v17, vcc
	s_branch .LBB121_63
.LBB121_61:                             ;   in Loop: Header=BB121_63 Depth=1
	s_or_b64 exec, exec, s[20:21]
	ds_bpermute_b32 v31, v55, v31
	s_waitcnt lgkmcnt(1)
	ds_bpermute_b32 v32, v55, v18
	v_subrev_u32_e32 v27, 64, v27
	s_mov_b64 s[20:21], 0
	s_waitcnt lgkmcnt(1)
	v_add_co_u32_e32 v31, vcc, v17, v31
	v_addc_co_u32_e32 v58, vcc, 0, v18, vcc
	v_add_co_u32_e32 v31, vcc, 0, v31
	s_waitcnt lgkmcnt(0)
	v_addc_co_u32_e32 v32, vcc, v58, v32, vcc
	v_cmp_gt_u32_e32 vcc, v56, v20
	v_cndmask_b32_e32 v17, v31, v17, vcc
	v_cndmask_b32_e32 v18, v32, v18, vcc
	v_add_co_u32_e32 v17, vcc, v17, v15
	v_addc_co_u32_e32 v18, vcc, v18, v16, vcc
.LBB121_62:                             ;   in Loop: Header=BB121_63 Depth=1
	s_and_b64 vcc, exec, s[20:21]
	s_cbranch_vccnz .LBB121_79
.LBB121_63:                             ; =>This Loop Header: Depth=1
                                        ;     Child Loop BB121_66 Depth 2
	v_mov_b32_e32 v15, v17
	v_cmp_ne_u16_sdwa s[20:21], v19, v57 src0_sel:BYTE_0 src1_sel:DWORD
	v_mov_b32_e32 v16, v18
	s_cmp_lg_u64 s[20:21], exec
	s_mov_b64 s[20:21], -1
                                        ; implicit-def: $vgpr17_vgpr18
                                        ; implicit-def: $vgpr19
	s_cbranch_scc1 .LBB121_62
; %bb.64:                               ;   in Loop: Header=BB121_63 Depth=1
	v_lshlrev_b64 v[17:18], 4, v[27:28]
	v_mov_b32_e32 v19, s19
	v_add_co_u32_e32 v31, vcc, s18, v17
	v_addc_co_u32_e32 v32, vcc, v19, v18, vcc
	;;#ASMSTART
	global_load_dwordx4 v[17:20], v[31:32] off glc	
s_waitcnt vmcnt(0)
	;;#ASMEND
	v_cmp_eq_u16_sdwa s[22:23], v19, v28 src0_sel:BYTE_0 src1_sel:DWORD
	s_and_saveexec_b64 s[20:21], s[22:23]
	s_cbranch_execz .LBB121_68
; %bb.65:                               ;   in Loop: Header=BB121_63 Depth=1
	s_mov_b64 s[22:23], 0
.LBB121_66:                             ;   Parent Loop BB121_63 Depth=1
                                        ; =>  This Inner Loop Header: Depth=2
	;;#ASMSTART
	global_load_dwordx4 v[17:20], v[31:32] off glc	
s_waitcnt vmcnt(0)
	;;#ASMEND
	v_cmp_ne_u16_sdwa s[24:25], v19, v28 src0_sel:BYTE_0 src1_sel:DWORD
	s_or_b64 s[22:23], s[24:25], s[22:23]
	s_andn2_b64 exec, exec, s[22:23]
	s_cbranch_execnz .LBB121_66
; %bb.67:                               ;   in Loop: Header=BB121_63 Depth=1
	s_or_b64 exec, exec, s[22:23]
.LBB121_68:                             ;   in Loop: Header=BB121_63 Depth=1
	s_or_b64 exec, exec, s[20:21]
	v_cmp_eq_u16_sdwa s[20:21], v19, v57 src0_sel:BYTE_0 src1_sel:DWORD
	v_and_b32_e32 v20, s21, v30
	v_or_b32_e32 v20, 0x80000000, v20
	ds_bpermute_b32 v58, v46, v17
	ds_bpermute_b32 v32, v46, v18
	v_and_b32_e32 v31, s20, v29
	v_ffbl_b32_e32 v20, v20
	v_add_u32_e32 v20, 32, v20
	v_ffbl_b32_e32 v31, v31
	v_min_u32_e32 v20, v31, v20
	v_cmp_lt_u32_e32 vcc, v45, v20
	v_mov_b32_e32 v31, v17
	s_and_saveexec_b64 s[20:21], vcc
	s_cbranch_execz .LBB121_70
; %bb.69:                               ;   in Loop: Header=BB121_63 Depth=1
	s_waitcnt lgkmcnt(1)
	v_add_co_u32_e32 v31, vcc, v17, v58
	v_addc_co_u32_e32 v18, vcc, 0, v18, vcc
	v_add_co_u32_e32 v17, vcc, 0, v31
	s_waitcnt lgkmcnt(0)
	v_addc_co_u32_e32 v18, vcc, v32, v18, vcc
.LBB121_70:                             ;   in Loop: Header=BB121_63 Depth=1
	s_or_b64 exec, exec, s[20:21]
	s_waitcnt lgkmcnt(1)
	ds_bpermute_b32 v58, v47, v31
	s_waitcnt lgkmcnt(1)
	ds_bpermute_b32 v32, v47, v18
	v_cmp_le_u32_e32 vcc, v48, v20
	s_and_saveexec_b64 s[20:21], vcc
	s_cbranch_execz .LBB121_72
; %bb.71:                               ;   in Loop: Header=BB121_63 Depth=1
	s_waitcnt lgkmcnt(1)
	v_add_co_u32_e32 v31, vcc, v17, v58
	v_addc_co_u32_e32 v18, vcc, 0, v18, vcc
	v_add_co_u32_e32 v17, vcc, 0, v31
	s_waitcnt lgkmcnt(0)
	v_addc_co_u32_e32 v18, vcc, v32, v18, vcc
.LBB121_72:                             ;   in Loop: Header=BB121_63 Depth=1
	s_or_b64 exec, exec, s[20:21]
	s_waitcnt lgkmcnt(1)
	ds_bpermute_b32 v58, v49, v31
	s_waitcnt lgkmcnt(1)
	ds_bpermute_b32 v32, v49, v18
	v_cmp_le_u32_e32 vcc, v50, v20
	;; [unrolled: 16-line block ×4, first 2 shown]
	s_and_saveexec_b64 s[20:21], vcc
	s_cbranch_execz .LBB121_61
; %bb.77:                               ;   in Loop: Header=BB121_63 Depth=1
	s_waitcnt lgkmcnt(1)
	v_add_co_u32_e32 v31, vcc, v17, v58
	v_addc_co_u32_e32 v18, vcc, 0, v18, vcc
	v_add_co_u32_e32 v17, vcc, 0, v31
	s_waitcnt lgkmcnt(0)
	v_addc_co_u32_e32 v18, vcc, v32, v18, vcc
	s_branch .LBB121_61
.LBB121_78:
                                        ; implicit-def: $vgpr19_vgpr20
                                        ; implicit-def: $vgpr17_vgpr18
                                        ; implicit-def: $vgpr25_vgpr26
                                        ; implicit-def: $vgpr27_vgpr28
                                        ; implicit-def: $vgpr29_vgpr30
                                        ; implicit-def: $vgpr31_vgpr32
                                        ; implicit-def: $vgpr33_vgpr34
                                        ; implicit-def: $vgpr15_vgpr16
	s_load_dwordx2 s[2:3], s[4:5], 0x30
	s_cbranch_execnz .LBB121_84
	s_branch .LBB121_105
.LBB121_79:
	s_and_saveexec_b64 s[20:21], s[2:3]
	s_cbranch_execz .LBB121_81
; %bb.80:
	s_add_i32 s6, s6, 64
	s_mov_b32 s7, 0
	s_lshl_b64 s[6:7], s[6:7], 4
	s_add_u32 s6, s18, s6
	s_addc_u32 s7, s19, s7
	v_add_co_u32_e32 v17, vcc, v15, v13
	v_mov_b32_e32 v28, s7
	v_addc_co_u32_e32 v18, vcc, v16, v14, vcc
	v_mov_b32_e32 v19, 2
	v_mov_b32_e32 v20, 0
	;; [unrolled: 1-line block ×3, first 2 shown]
	;;#ASMSTART
	global_store_dwordx4 v[27:28], v[17:20] off	
s_waitcnt vmcnt(0)
	;;#ASMEND
	ds_write_b128 v20, v[13:16] offset:14336
.LBB121_81:
	s_or_b64 exec, exec, s[20:21]
	v_cmp_eq_u32_e32 vcc, 0, v0
	s_and_b64 exec, exec, vcc
; %bb.82:
	v_mov_b32_e32 v13, 0
	ds_write_b64 v13, v[15:16] offset:24
.LBB121_83:
	s_or_b64 exec, exec, s[8:9]
	v_mov_b32_e32 v19, 0
	s_waitcnt lgkmcnt(0)
	s_barrier
	ds_read_b64 v[13:14], v19 offset:24
	v_cndmask_b32_e64 v15, v33, v25, s[2:3]
	v_cmp_ne_u32_e32 vcc, 0, v0
	v_cndmask_b32_e64 v16, v34, v26, s[2:3]
	v_cndmask_b32_e32 v15, 0, v15, vcc
	v_cndmask_b32_e32 v16, 0, v16, vcc
	s_waitcnt lgkmcnt(0)
	v_add_co_u32_e32 v33, vcc, v13, v15
	v_addc_co_u32_e32 v34, vcc, v14, v16, vcc
	v_add_co_u32_e32 v31, vcc, v33, v41
	v_addc_co_u32_e32 v32, vcc, 0, v34, vcc
	;; [unrolled: 2-line block ×5, first 2 shown]
	s_barrier
	ds_read_b128 v[13:16], v19 offset:14336
	v_add_co_u32_e32 v17, vcc, v25, v37
	v_addc_co_u32_e32 v18, vcc, 0, v26, vcc
	v_add_co_u32_e32 v19, vcc, v17, v36
	v_addc_co_u32_e32 v20, vcc, 0, v18, vcc
	s_load_dwordx2 s[2:3], s[4:5], 0x30
	s_branch .LBB121_105
.LBB121_84:
	s_waitcnt lgkmcnt(0)
	v_mov_b32_e32 v14, 0
	v_mov_b32_dpp v16, v23 row_shr:1 row_mask:0xf bank_mask:0xf
	v_mov_b32_e32 v15, v23
	v_mov_b32_dpp v13, v14 row_shr:1 row_mask:0xf bank_mask:0xf
	s_and_saveexec_b64 s[4:5], s[0:1]
; %bb.85:
	v_add_co_u32_e32 v15, vcc, v23, v16
	v_addc_co_u32_e32 v14, vcc, 0, v24, vcc
	v_add_co_u32_e32 v23, vcc, 0, v15
	v_addc_co_u32_e32 v24, vcc, v13, v14, vcc
	v_mov_b32_e32 v14, v24
; %bb.86:
	s_or_b64 exec, exec, s[4:5]
	v_mov_b32_dpp v13, v15 row_shr:2 row_mask:0xf bank_mask:0xf
	v_mov_b32_dpp v16, v14 row_shr:2 row_mask:0xf bank_mask:0xf
	v_cmp_lt_u32_e32 vcc, 1, v44
	s_and_saveexec_b64 s[0:1], vcc
; %bb.87:
	v_add_co_u32_e32 v15, vcc, v23, v13
	v_addc_co_u32_e32 v14, vcc, 0, v24, vcc
	v_add_co_u32_e32 v13, vcc, 0, v15
	v_addc_co_u32_e32 v14, vcc, v16, v14, vcc
	v_mov_b32_e32 v24, v14
	v_mov_b32_e32 v23, v13
; %bb.88:
	s_or_b64 exec, exec, s[0:1]
	v_mov_b32_dpp v13, v15 row_shr:4 row_mask:0xf bank_mask:0xf
	v_mov_b32_dpp v16, v14 row_shr:4 row_mask:0xf bank_mask:0xf
	v_cmp_lt_u32_e32 vcc, 3, v44
	s_and_saveexec_b64 s[0:1], vcc
; %bb.89:
	v_add_co_u32_e32 v15, vcc, v23, v13
	v_addc_co_u32_e32 v14, vcc, 0, v24, vcc
	v_add_co_u32_e32 v13, vcc, 0, v15
	v_addc_co_u32_e32 v14, vcc, v16, v14, vcc
	v_mov_b32_e32 v24, v14
	;; [unrolled: 13-line block ×3, first 2 shown]
	v_mov_b32_e32 v23, v13
; %bb.92:
	s_or_b64 exec, exec, s[0:1]
	v_and_b32_e32 v17, 16, v42
	v_mov_b32_dpp v16, v15 row_bcast:15 row_mask:0xf bank_mask:0xf
	v_mov_b32_dpp v13, v14 row_bcast:15 row_mask:0xf bank_mask:0xf
	v_cmp_ne_u32_e32 vcc, 0, v17
	s_and_saveexec_b64 s[0:1], vcc
; %bb.93:
	v_add_co_u32_e32 v15, vcc, v23, v16
	v_addc_co_u32_e32 v14, vcc, 0, v24, vcc
	v_add_co_u32_e32 v23, vcc, 0, v15
	v_addc_co_u32_e32 v24, vcc, v13, v14, vcc
	v_mov_b32_e32 v14, v24
; %bb.94:
	s_or_b64 exec, exec, s[0:1]
	v_mov_b32_dpp v13, v15 row_bcast:31 row_mask:0xf bank_mask:0xf
	v_add_co_u32_e32 v13, vcc, v23, v13
	v_addc_co_u32_e32 v15, vcc, 0, v24, vcc
	v_mov_b32_dpp v14, v14 row_bcast:31 row_mask:0xf bank_mask:0xf
	v_add_co_u32_e32 v13, vcc, 0, v13
	v_addc_co_u32_e32 v14, vcc, v15, v14, vcc
	v_cmp_lt_u32_e32 vcc, 31, v42
	v_or_b32_e32 v15, 63, v0
	v_cndmask_b32_e32 v14, v24, v14, vcc
	v_cndmask_b32_e32 v13, v23, v13, vcc
	v_lshrrev_b32_e32 v19, 6, v0
	v_cmp_eq_u32_e32 vcc, v0, v15
	s_and_saveexec_b64 s[0:1], vcc
; %bb.95:
	v_lshlrev_b32_e32 v15, 3, v19
	ds_write_b64 v15, v[13:14]
; %bb.96:
	s_or_b64 exec, exec, s[0:1]
	v_cmp_gt_u32_e32 vcc, 4, v0
	s_waitcnt lgkmcnt(0)
	s_barrier
	s_and_saveexec_b64 s[0:1], vcc
	s_cbranch_execz .LBB121_100
; %bb.97:
	v_add_u32_e32 v17, v43, v0
	ds_read_b64 v[15:16], v17
	v_and_b32_e32 v18, 3, v42
	v_cmp_ne_u32_e32 vcc, 0, v18
	s_waitcnt lgkmcnt(0)
	v_mov_b32_dpp v24, v15 row_shr:1 row_mask:0xf bank_mask:0xf
	v_mov_b32_dpp v23, v16 row_shr:1 row_mask:0xf bank_mask:0xf
	v_mov_b32_e32 v20, v15
	s_and_saveexec_b64 s[4:5], vcc
; %bb.98:
	v_add_co_u32_e32 v20, vcc, v15, v24
	v_addc_co_u32_e32 v16, vcc, 0, v16, vcc
	v_add_co_u32_e32 v15, vcc, 0, v20
	v_addc_co_u32_e32 v16, vcc, v23, v16, vcc
; %bb.99:
	s_or_b64 exec, exec, s[4:5]
	v_mov_b32_dpp v20, v20 row_shr:2 row_mask:0xf bank_mask:0xf
	v_add_co_u32_e32 v20, vcc, v15, v20
	v_addc_co_u32_e32 v24, vcc, 0, v16, vcc
	v_mov_b32_dpp v23, v16 row_shr:2 row_mask:0xf bank_mask:0xf
	v_add_co_u32_e32 v20, vcc, 0, v20
	v_addc_co_u32_e32 v23, vcc, v24, v23, vcc
	v_cmp_lt_u32_e32 vcc, 1, v18
	v_cndmask_b32_e32 v16, v16, v23, vcc
	v_cndmask_b32_e32 v15, v15, v20, vcc
	ds_write_b64 v17, v[15:16]
.LBB121_100:
	s_or_b64 exec, exec, s[0:1]
	v_mov_b32_e32 v17, 0
	v_mov_b32_e32 v18, 0
	v_cmp_lt_u32_e32 vcc, 63, v0
	s_waitcnt lgkmcnt(0)
	s_barrier
	s_and_saveexec_b64 s[0:1], vcc
; %bb.101:
	v_lshl_add_u32 v15, v19, 3, -8
	ds_read_b64 v[17:18], v15
; %bb.102:
	s_or_b64 exec, exec, s[0:1]
	s_waitcnt lgkmcnt(0)
	v_add_co_u32_e32 v13, vcc, v17, v13
	v_addc_co_u32_e32 v14, vcc, v18, v14, vcc
	v_subrev_co_u32_e32 v15, vcc, 1, v42
	v_and_b32_e32 v16, 64, v42
	v_cmp_lt_i32_e64 s[0:1], v15, v16
	v_cndmask_b32_e64 v15, v15, v42, s[0:1]
	v_lshlrev_b32_e32 v15, 2, v15
	v_mov_b32_e32 v16, 0
	ds_bpermute_b32 v19, v15, v13
	ds_bpermute_b32 v20, v15, v14
	ds_read_b64 v[13:14], v16 offset:24
	v_cmp_eq_u32_e64 s[0:1], 0, v0
	s_and_saveexec_b64 s[4:5], s[0:1]
	s_cbranch_execz .LBB121_104
; %bb.103:
	s_add_u32 s6, s18, 0x400
	s_addc_u32 s7, s19, 0
	v_mov_b32_e32 v24, s7
	v_mov_b32_e32 v15, 2
	v_mov_b32_e32 v23, s6
	s_waitcnt lgkmcnt(0)
	;;#ASMSTART
	global_store_dwordx4 v[23:24], v[13:16] off	
s_waitcnt vmcnt(0)
	;;#ASMEND
.LBB121_104:
	s_or_b64 exec, exec, s[4:5]
	s_waitcnt lgkmcnt(2)
	v_cndmask_b32_e32 v15, v19, v17, vcc
	s_waitcnt lgkmcnt(1)
	v_cndmask_b32_e32 v16, v20, v18, vcc
	v_cndmask_b32_e64 v33, v15, 0, s[0:1]
	v_cndmask_b32_e64 v34, v16, 0, s[0:1]
	v_add_co_u32_e32 v31, vcc, v33, v41
	v_addc_co_u32_e32 v32, vcc, 0, v34, vcc
	v_add_co_u32_e32 v29, vcc, v31, v40
	v_addc_co_u32_e32 v30, vcc, 0, v32, vcc
	;; [unrolled: 2-line block ×5, first 2 shown]
	v_add_co_u32_e32 v19, vcc, v17, v36
	v_mov_b32_e32 v15, 0
	v_addc_co_u32_e32 v20, vcc, 0, v18, vcc
	s_waitcnt lgkmcnt(0)
	s_barrier
	v_mov_b32_e32 v16, 0
.LBB121_105:
	s_mov_b64 s[0:1], 0x101
	s_waitcnt lgkmcnt(0)
	v_cmp_gt_u64_e32 vcc, s[0:1], v[13:14]
	s_mov_b64 s[4:5], -1
	v_cmp_eq_u32_e64 s[0:1], 1, v41
	s_cbranch_vccnz .LBB121_109
; %bb.106:
	s_and_b64 vcc, exec, s[4:5]
	s_cbranch_vccnz .LBB121_124
.LBB121_107:
	v_cmp_eq_u32_e32 vcc, 0, v0
	s_and_b64 s[0:1], vcc, s[14:15]
	s_and_saveexec_b64 s[2:3], s[0:1]
	s_cbranch_execnz .LBB121_135
.LBB121_108:
	s_endpgm
.LBB121_109:
	v_add_co_u32_e32 v23, vcc, v15, v13
	v_addc_co_u32_e32 v24, vcc, v16, v14, vcc
	v_cmp_lt_u64_e32 vcc, v[33:34], v[23:24]
	s_or_b64 s[4:5], s[16:17], vcc
	s_and_b64 s[4:5], s[4:5], s[0:1]
	s_and_saveexec_b64 s[0:1], s[4:5]
	s_cbranch_execz .LBB121_111
; %bb.110:
	s_lshl_b64 s[4:5], s[10:11], 3
	s_add_u32 s4, s2, s4
	v_lshlrev_b64 v[42:43], 3, v[33:34]
	s_addc_u32 s5, s3, s5
	v_mov_b32_e32 v34, s5
	v_add_co_u32_e32 v42, vcc, s4, v42
	v_addc_co_u32_e32 v43, vcc, v34, v43, vcc
	global_store_dwordx2 v[42:43], v[9:10], off
.LBB121_111:
	s_or_b64 exec, exec, s[0:1]
	v_cmp_lt_u64_e32 vcc, v[31:32], v[23:24]
	s_or_b64 s[0:1], s[16:17], vcc
	v_cmp_eq_u32_e32 vcc, 1, v40
	s_and_b64 s[4:5], s[0:1], vcc
	s_and_saveexec_b64 s[0:1], s[4:5]
	s_cbranch_execz .LBB121_113
; %bb.112:
	s_lshl_b64 s[4:5], s[10:11], 3
	s_add_u32 s4, s2, s4
	v_lshlrev_b64 v[42:43], 3, v[31:32]
	s_addc_u32 s5, s3, s5
	v_mov_b32_e32 v32, s5
	v_add_co_u32_e32 v42, vcc, s4, v42
	v_addc_co_u32_e32 v43, vcc, v32, v43, vcc
	global_store_dwordx2 v[42:43], v[11:12], off
.LBB121_113:
	s_or_b64 exec, exec, s[0:1]
	v_cmp_lt_u64_e32 vcc, v[29:30], v[23:24]
	s_or_b64 s[0:1], s[16:17], vcc
	v_cmp_eq_u32_e32 vcc, 1, v39
	s_and_b64 s[4:5], s[0:1], vcc
	;; [unrolled: 17-line block ×6, first 2 shown]
	s_and_saveexec_b64 s[0:1], s[4:5]
	s_cbranch_execz .LBB121_123
; %bb.122:
	s_lshl_b64 s[4:5], s[10:11], 3
	s_add_u32 s4, s2, s4
	v_lshlrev_b64 v[23:24], 3, v[19:20]
	s_addc_u32 s5, s3, s5
	v_mov_b32_e32 v18, s5
	v_add_co_u32_e32 v23, vcc, s4, v23
	v_addc_co_u32_e32 v24, vcc, v18, v24, vcc
	global_store_dwordx2 v[23:24], v[21:22], off
.LBB121_123:
	s_or_b64 exec, exec, s[0:1]
	s_branch .LBB121_107
.LBB121_124:
	v_cmp_eq_u32_e32 vcc, 1, v41
	s_and_saveexec_b64 s[0:1], vcc
	s_cbranch_execnz .LBB121_136
; %bb.125:
	s_or_b64 exec, exec, s[0:1]
	v_cmp_eq_u32_e32 vcc, 1, v40
	s_and_saveexec_b64 s[0:1], vcc
	s_cbranch_execnz .LBB121_137
.LBB121_126:
	s_or_b64 exec, exec, s[0:1]
	v_cmp_eq_u32_e32 vcc, 1, v39
	s_and_saveexec_b64 s[0:1], vcc
	s_cbranch_execnz .LBB121_138
.LBB121_127:
	s_or_b64 exec, exec, s[0:1]
	v_cmp_eq_u32_e32 vcc, 1, v38
	s_and_saveexec_b64 s[0:1], vcc
	s_cbranch_execnz .LBB121_139
.LBB121_128:
	s_or_b64 exec, exec, s[0:1]
	v_cmp_eq_u32_e32 vcc, 1, v37
	s_and_saveexec_b64 s[0:1], vcc
	s_cbranch_execnz .LBB121_140
.LBB121_129:
	s_or_b64 exec, exec, s[0:1]
	v_cmp_eq_u32_e32 vcc, 1, v36
	s_and_saveexec_b64 s[0:1], vcc
	s_cbranch_execnz .LBB121_141
.LBB121_130:
	s_or_b64 exec, exec, s[0:1]
	v_cmp_eq_u32_e32 vcc, 1, v35
	s_and_saveexec_b64 s[0:1], vcc
.LBB121_131:
	v_sub_u32_e32 v1, v19, v15
	v_lshlrev_b32_e32 v1, 3, v1
	ds_write_b64 v1, v[21:22]
.LBB121_132:
	s_or_b64 exec, exec, s[0:1]
	v_lshlrev_b64 v[4:5], 3, v[15:16]
	v_mov_b32_e32 v2, s3
	v_add_co_u32_e32 v4, vcc, s2, v4
	v_mov_b32_e32 v3, 0
	v_addc_co_u32_e32 v2, vcc, v2, v5, vcc
	s_lshl_b64 s[0:1], s[10:11], 3
	v_mov_b32_e32 v1, v3
	v_mov_b32_e32 v5, s1
	v_add_co_u32_e32 v6, vcc, s0, v4
	v_addc_co_u32_e32 v7, vcc, v2, v5, vcc
	v_mov_b32_e32 v5, v1
	v_or_b32_e32 v2, 0x100, v0
	s_mov_b64 s[2:3], 0
	v_mov_b32_e32 v4, v0
	s_waitcnt vmcnt(0) lgkmcnt(0)
	s_barrier
.LBB121_133:                            ; =>This Inner Loop Header: Depth=1
	v_lshlrev_b32_e32 v1, 3, v4
	ds_read_b64 v[10:11], v1
	v_lshlrev_b64 v[8:9], 3, v[4:5]
	v_cmp_le_u64_e32 vcc, v[13:14], v[2:3]
	v_mov_b32_e32 v5, v3
	v_add_co_u32_e64 v8, s[0:1], v6, v8
	v_mov_b32_e32 v4, v2
	v_add_u32_e32 v2, 0x100, v2
	v_addc_co_u32_e64 v9, s[0:1], v7, v9, s[0:1]
	s_or_b64 s[2:3], vcc, s[2:3]
	s_waitcnt lgkmcnt(0)
	global_store_dwordx2 v[8:9], v[10:11], off
	s_andn2_b64 exec, exec, s[2:3]
	s_cbranch_execnz .LBB121_133
; %bb.134:
	s_or_b64 exec, exec, s[2:3]
	v_cmp_eq_u32_e32 vcc, 0, v0
	s_and_b64 s[0:1], vcc, s[14:15]
	s_and_saveexec_b64 s[2:3], s[0:1]
	s_cbranch_execz .LBB121_108
.LBB121_135:
	v_add_co_u32_e32 v0, vcc, v15, v13
	v_addc_co_u32_e32 v1, vcc, v16, v14, vcc
	v_mov_b32_e32 v3, s11
	v_add_co_u32_e32 v0, vcc, s10, v0
	v_mov_b32_e32 v2, 0
	v_addc_co_u32_e32 v1, vcc, v1, v3, vcc
	global_store_dwordx2 v2, v[0:1], s[12:13]
	s_endpgm
.LBB121_136:
	v_sub_u32_e32 v18, v33, v15
	v_lshlrev_b32_e32 v18, 3, v18
	ds_write_b64 v18, v[9:10]
	s_or_b64 exec, exec, s[0:1]
	v_cmp_eq_u32_e32 vcc, 1, v40
	s_and_saveexec_b64 s[0:1], vcc
	s_cbranch_execz .LBB121_126
.LBB121_137:
	v_sub_u32_e32 v9, v31, v15
	v_lshlrev_b32_e32 v9, 3, v9
	ds_write_b64 v9, v[11:12]
	s_or_b64 exec, exec, s[0:1]
	v_cmp_eq_u32_e32 vcc, 1, v39
	s_and_saveexec_b64 s[0:1], vcc
	s_cbranch_execz .LBB121_127
.LBB121_138:
	v_sub_u32_e32 v9, v29, v15
	v_lshlrev_b32_e32 v9, 3, v9
	ds_write_b64 v9, v[5:6]
	s_or_b64 exec, exec, s[0:1]
	v_cmp_eq_u32_e32 vcc, 1, v38
	s_and_saveexec_b64 s[0:1], vcc
	s_cbranch_execz .LBB121_128
.LBB121_139:
	v_sub_u32_e32 v5, v27, v15
	v_lshlrev_b32_e32 v5, 3, v5
	ds_write_b64 v5, v[7:8]
	s_or_b64 exec, exec, s[0:1]
	v_cmp_eq_u32_e32 vcc, 1, v37
	s_and_saveexec_b64 s[0:1], vcc
	s_cbranch_execz .LBB121_129
.LBB121_140:
	v_sub_u32_e32 v5, v25, v15
	v_lshlrev_b32_e32 v5, 3, v5
	ds_write_b64 v5, v[1:2]
	s_or_b64 exec, exec, s[0:1]
	v_cmp_eq_u32_e32 vcc, 1, v36
	s_and_saveexec_b64 s[0:1], vcc
	s_cbranch_execz .LBB121_130
.LBB121_141:
	v_sub_u32_e32 v1, v17, v15
	v_lshlrev_b32_e32 v1, 3, v1
	ds_write_b64 v1, v[3:4]
	s_or_b64 exec, exec, s[0:1]
	v_cmp_eq_u32_e32 vcc, 1, v35
	s_and_saveexec_b64 s[0:1], vcc
	s_cbranch_execnz .LBB121_131
	s_branch .LBB121_132
	.section	.rodata,"a",@progbits
	.p2align	6, 0x0
	.amdhsa_kernel _ZN7rocprim17ROCPRIM_400000_NS6detail17trampoline_kernelINS0_14default_configENS1_25partition_config_selectorILNS1_17partition_subalgoE5ElNS0_10empty_typeEbEEZZNS1_14partition_implILS5_5ELb0ES3_mN6hipcub16HIPCUB_304000_NS21CountingInputIteratorIllEEPS6_NSA_22TransformInputIteratorIb7NonZeroIsEPslEENS0_5tupleIJPlS6_EEENSJ_IJSD_SD_EEES6_SK_JS6_EEE10hipError_tPvRmT3_T4_T5_T6_T7_T9_mT8_P12ihipStream_tbDpT10_ENKUlT_T0_E_clISt17integral_constantIbLb0EES16_EEDaS11_S12_EUlS11_E_NS1_11comp_targetILNS1_3genE2ELNS1_11target_archE906ELNS1_3gpuE6ELNS1_3repE0EEENS1_30default_config_static_selectorELNS0_4arch9wavefront6targetE1EEEvT1_
		.amdhsa_group_segment_fixed_size 14352
		.amdhsa_private_segment_fixed_size 0
		.amdhsa_kernarg_size 120
		.amdhsa_user_sgpr_count 6
		.amdhsa_user_sgpr_private_segment_buffer 1
		.amdhsa_user_sgpr_dispatch_ptr 0
		.amdhsa_user_sgpr_queue_ptr 0
		.amdhsa_user_sgpr_kernarg_segment_ptr 1
		.amdhsa_user_sgpr_dispatch_id 0
		.amdhsa_user_sgpr_flat_scratch_init 0
		.amdhsa_user_sgpr_private_segment_size 0
		.amdhsa_uses_dynamic_stack 0
		.amdhsa_system_sgpr_private_segment_wavefront_offset 0
		.amdhsa_system_sgpr_workgroup_id_x 1
		.amdhsa_system_sgpr_workgroup_id_y 0
		.amdhsa_system_sgpr_workgroup_id_z 0
		.amdhsa_system_sgpr_workgroup_info 0
		.amdhsa_system_vgpr_workitem_id 0
		.amdhsa_next_free_vgpr 59
		.amdhsa_next_free_sgpr 98
		.amdhsa_reserve_vcc 1
		.amdhsa_reserve_flat_scratch 0
		.amdhsa_float_round_mode_32 0
		.amdhsa_float_round_mode_16_64 0
		.amdhsa_float_denorm_mode_32 3
		.amdhsa_float_denorm_mode_16_64 3
		.amdhsa_dx10_clamp 1
		.amdhsa_ieee_mode 1
		.amdhsa_fp16_overflow 0
		.amdhsa_exception_fp_ieee_invalid_op 0
		.amdhsa_exception_fp_denorm_src 0
		.amdhsa_exception_fp_ieee_div_zero 0
		.amdhsa_exception_fp_ieee_overflow 0
		.amdhsa_exception_fp_ieee_underflow 0
		.amdhsa_exception_fp_ieee_inexact 0
		.amdhsa_exception_int_div_zero 0
	.end_amdhsa_kernel
	.section	.text._ZN7rocprim17ROCPRIM_400000_NS6detail17trampoline_kernelINS0_14default_configENS1_25partition_config_selectorILNS1_17partition_subalgoE5ElNS0_10empty_typeEbEEZZNS1_14partition_implILS5_5ELb0ES3_mN6hipcub16HIPCUB_304000_NS21CountingInputIteratorIllEEPS6_NSA_22TransformInputIteratorIb7NonZeroIsEPslEENS0_5tupleIJPlS6_EEENSJ_IJSD_SD_EEES6_SK_JS6_EEE10hipError_tPvRmT3_T4_T5_T6_T7_T9_mT8_P12ihipStream_tbDpT10_ENKUlT_T0_E_clISt17integral_constantIbLb0EES16_EEDaS11_S12_EUlS11_E_NS1_11comp_targetILNS1_3genE2ELNS1_11target_archE906ELNS1_3gpuE6ELNS1_3repE0EEENS1_30default_config_static_selectorELNS0_4arch9wavefront6targetE1EEEvT1_,"axG",@progbits,_ZN7rocprim17ROCPRIM_400000_NS6detail17trampoline_kernelINS0_14default_configENS1_25partition_config_selectorILNS1_17partition_subalgoE5ElNS0_10empty_typeEbEEZZNS1_14partition_implILS5_5ELb0ES3_mN6hipcub16HIPCUB_304000_NS21CountingInputIteratorIllEEPS6_NSA_22TransformInputIteratorIb7NonZeroIsEPslEENS0_5tupleIJPlS6_EEENSJ_IJSD_SD_EEES6_SK_JS6_EEE10hipError_tPvRmT3_T4_T5_T6_T7_T9_mT8_P12ihipStream_tbDpT10_ENKUlT_T0_E_clISt17integral_constantIbLb0EES16_EEDaS11_S12_EUlS11_E_NS1_11comp_targetILNS1_3genE2ELNS1_11target_archE906ELNS1_3gpuE6ELNS1_3repE0EEENS1_30default_config_static_selectorELNS0_4arch9wavefront6targetE1EEEvT1_,comdat
.Lfunc_end121:
	.size	_ZN7rocprim17ROCPRIM_400000_NS6detail17trampoline_kernelINS0_14default_configENS1_25partition_config_selectorILNS1_17partition_subalgoE5ElNS0_10empty_typeEbEEZZNS1_14partition_implILS5_5ELb0ES3_mN6hipcub16HIPCUB_304000_NS21CountingInputIteratorIllEEPS6_NSA_22TransformInputIteratorIb7NonZeroIsEPslEENS0_5tupleIJPlS6_EEENSJ_IJSD_SD_EEES6_SK_JS6_EEE10hipError_tPvRmT3_T4_T5_T6_T7_T9_mT8_P12ihipStream_tbDpT10_ENKUlT_T0_E_clISt17integral_constantIbLb0EES16_EEDaS11_S12_EUlS11_E_NS1_11comp_targetILNS1_3genE2ELNS1_11target_archE906ELNS1_3gpuE6ELNS1_3repE0EEENS1_30default_config_static_selectorELNS0_4arch9wavefront6targetE1EEEvT1_, .Lfunc_end121-_ZN7rocprim17ROCPRIM_400000_NS6detail17trampoline_kernelINS0_14default_configENS1_25partition_config_selectorILNS1_17partition_subalgoE5ElNS0_10empty_typeEbEEZZNS1_14partition_implILS5_5ELb0ES3_mN6hipcub16HIPCUB_304000_NS21CountingInputIteratorIllEEPS6_NSA_22TransformInputIteratorIb7NonZeroIsEPslEENS0_5tupleIJPlS6_EEENSJ_IJSD_SD_EEES6_SK_JS6_EEE10hipError_tPvRmT3_T4_T5_T6_T7_T9_mT8_P12ihipStream_tbDpT10_ENKUlT_T0_E_clISt17integral_constantIbLb0EES16_EEDaS11_S12_EUlS11_E_NS1_11comp_targetILNS1_3genE2ELNS1_11target_archE906ELNS1_3gpuE6ELNS1_3repE0EEENS1_30default_config_static_selectorELNS0_4arch9wavefront6targetE1EEEvT1_
                                        ; -- End function
	.set _ZN7rocprim17ROCPRIM_400000_NS6detail17trampoline_kernelINS0_14default_configENS1_25partition_config_selectorILNS1_17partition_subalgoE5ElNS0_10empty_typeEbEEZZNS1_14partition_implILS5_5ELb0ES3_mN6hipcub16HIPCUB_304000_NS21CountingInputIteratorIllEEPS6_NSA_22TransformInputIteratorIb7NonZeroIsEPslEENS0_5tupleIJPlS6_EEENSJ_IJSD_SD_EEES6_SK_JS6_EEE10hipError_tPvRmT3_T4_T5_T6_T7_T9_mT8_P12ihipStream_tbDpT10_ENKUlT_T0_E_clISt17integral_constantIbLb0EES16_EEDaS11_S12_EUlS11_E_NS1_11comp_targetILNS1_3genE2ELNS1_11target_archE906ELNS1_3gpuE6ELNS1_3repE0EEENS1_30default_config_static_selectorELNS0_4arch9wavefront6targetE1EEEvT1_.num_vgpr, 59
	.set _ZN7rocprim17ROCPRIM_400000_NS6detail17trampoline_kernelINS0_14default_configENS1_25partition_config_selectorILNS1_17partition_subalgoE5ElNS0_10empty_typeEbEEZZNS1_14partition_implILS5_5ELb0ES3_mN6hipcub16HIPCUB_304000_NS21CountingInputIteratorIllEEPS6_NSA_22TransformInputIteratorIb7NonZeroIsEPslEENS0_5tupleIJPlS6_EEENSJ_IJSD_SD_EEES6_SK_JS6_EEE10hipError_tPvRmT3_T4_T5_T6_T7_T9_mT8_P12ihipStream_tbDpT10_ENKUlT_T0_E_clISt17integral_constantIbLb0EES16_EEDaS11_S12_EUlS11_E_NS1_11comp_targetILNS1_3genE2ELNS1_11target_archE906ELNS1_3gpuE6ELNS1_3repE0EEENS1_30default_config_static_selectorELNS0_4arch9wavefront6targetE1EEEvT1_.num_agpr, 0
	.set _ZN7rocprim17ROCPRIM_400000_NS6detail17trampoline_kernelINS0_14default_configENS1_25partition_config_selectorILNS1_17partition_subalgoE5ElNS0_10empty_typeEbEEZZNS1_14partition_implILS5_5ELb0ES3_mN6hipcub16HIPCUB_304000_NS21CountingInputIteratorIllEEPS6_NSA_22TransformInputIteratorIb7NonZeroIsEPslEENS0_5tupleIJPlS6_EEENSJ_IJSD_SD_EEES6_SK_JS6_EEE10hipError_tPvRmT3_T4_T5_T6_T7_T9_mT8_P12ihipStream_tbDpT10_ENKUlT_T0_E_clISt17integral_constantIbLb0EES16_EEDaS11_S12_EUlS11_E_NS1_11comp_targetILNS1_3genE2ELNS1_11target_archE906ELNS1_3gpuE6ELNS1_3repE0EEENS1_30default_config_static_selectorELNS0_4arch9wavefront6targetE1EEEvT1_.numbered_sgpr, 26
	.set _ZN7rocprim17ROCPRIM_400000_NS6detail17trampoline_kernelINS0_14default_configENS1_25partition_config_selectorILNS1_17partition_subalgoE5ElNS0_10empty_typeEbEEZZNS1_14partition_implILS5_5ELb0ES3_mN6hipcub16HIPCUB_304000_NS21CountingInputIteratorIllEEPS6_NSA_22TransformInputIteratorIb7NonZeroIsEPslEENS0_5tupleIJPlS6_EEENSJ_IJSD_SD_EEES6_SK_JS6_EEE10hipError_tPvRmT3_T4_T5_T6_T7_T9_mT8_P12ihipStream_tbDpT10_ENKUlT_T0_E_clISt17integral_constantIbLb0EES16_EEDaS11_S12_EUlS11_E_NS1_11comp_targetILNS1_3genE2ELNS1_11target_archE906ELNS1_3gpuE6ELNS1_3repE0EEENS1_30default_config_static_selectorELNS0_4arch9wavefront6targetE1EEEvT1_.num_named_barrier, 0
	.set _ZN7rocprim17ROCPRIM_400000_NS6detail17trampoline_kernelINS0_14default_configENS1_25partition_config_selectorILNS1_17partition_subalgoE5ElNS0_10empty_typeEbEEZZNS1_14partition_implILS5_5ELb0ES3_mN6hipcub16HIPCUB_304000_NS21CountingInputIteratorIllEEPS6_NSA_22TransformInputIteratorIb7NonZeroIsEPslEENS0_5tupleIJPlS6_EEENSJ_IJSD_SD_EEES6_SK_JS6_EEE10hipError_tPvRmT3_T4_T5_T6_T7_T9_mT8_P12ihipStream_tbDpT10_ENKUlT_T0_E_clISt17integral_constantIbLb0EES16_EEDaS11_S12_EUlS11_E_NS1_11comp_targetILNS1_3genE2ELNS1_11target_archE906ELNS1_3gpuE6ELNS1_3repE0EEENS1_30default_config_static_selectorELNS0_4arch9wavefront6targetE1EEEvT1_.private_seg_size, 0
	.set _ZN7rocprim17ROCPRIM_400000_NS6detail17trampoline_kernelINS0_14default_configENS1_25partition_config_selectorILNS1_17partition_subalgoE5ElNS0_10empty_typeEbEEZZNS1_14partition_implILS5_5ELb0ES3_mN6hipcub16HIPCUB_304000_NS21CountingInputIteratorIllEEPS6_NSA_22TransformInputIteratorIb7NonZeroIsEPslEENS0_5tupleIJPlS6_EEENSJ_IJSD_SD_EEES6_SK_JS6_EEE10hipError_tPvRmT3_T4_T5_T6_T7_T9_mT8_P12ihipStream_tbDpT10_ENKUlT_T0_E_clISt17integral_constantIbLb0EES16_EEDaS11_S12_EUlS11_E_NS1_11comp_targetILNS1_3genE2ELNS1_11target_archE906ELNS1_3gpuE6ELNS1_3repE0EEENS1_30default_config_static_selectorELNS0_4arch9wavefront6targetE1EEEvT1_.uses_vcc, 1
	.set _ZN7rocprim17ROCPRIM_400000_NS6detail17trampoline_kernelINS0_14default_configENS1_25partition_config_selectorILNS1_17partition_subalgoE5ElNS0_10empty_typeEbEEZZNS1_14partition_implILS5_5ELb0ES3_mN6hipcub16HIPCUB_304000_NS21CountingInputIteratorIllEEPS6_NSA_22TransformInputIteratorIb7NonZeroIsEPslEENS0_5tupleIJPlS6_EEENSJ_IJSD_SD_EEES6_SK_JS6_EEE10hipError_tPvRmT3_T4_T5_T6_T7_T9_mT8_P12ihipStream_tbDpT10_ENKUlT_T0_E_clISt17integral_constantIbLb0EES16_EEDaS11_S12_EUlS11_E_NS1_11comp_targetILNS1_3genE2ELNS1_11target_archE906ELNS1_3gpuE6ELNS1_3repE0EEENS1_30default_config_static_selectorELNS0_4arch9wavefront6targetE1EEEvT1_.uses_flat_scratch, 0
	.set _ZN7rocprim17ROCPRIM_400000_NS6detail17trampoline_kernelINS0_14default_configENS1_25partition_config_selectorILNS1_17partition_subalgoE5ElNS0_10empty_typeEbEEZZNS1_14partition_implILS5_5ELb0ES3_mN6hipcub16HIPCUB_304000_NS21CountingInputIteratorIllEEPS6_NSA_22TransformInputIteratorIb7NonZeroIsEPslEENS0_5tupleIJPlS6_EEENSJ_IJSD_SD_EEES6_SK_JS6_EEE10hipError_tPvRmT3_T4_T5_T6_T7_T9_mT8_P12ihipStream_tbDpT10_ENKUlT_T0_E_clISt17integral_constantIbLb0EES16_EEDaS11_S12_EUlS11_E_NS1_11comp_targetILNS1_3genE2ELNS1_11target_archE906ELNS1_3gpuE6ELNS1_3repE0EEENS1_30default_config_static_selectorELNS0_4arch9wavefront6targetE1EEEvT1_.has_dyn_sized_stack, 0
	.set _ZN7rocprim17ROCPRIM_400000_NS6detail17trampoline_kernelINS0_14default_configENS1_25partition_config_selectorILNS1_17partition_subalgoE5ElNS0_10empty_typeEbEEZZNS1_14partition_implILS5_5ELb0ES3_mN6hipcub16HIPCUB_304000_NS21CountingInputIteratorIllEEPS6_NSA_22TransformInputIteratorIb7NonZeroIsEPslEENS0_5tupleIJPlS6_EEENSJ_IJSD_SD_EEES6_SK_JS6_EEE10hipError_tPvRmT3_T4_T5_T6_T7_T9_mT8_P12ihipStream_tbDpT10_ENKUlT_T0_E_clISt17integral_constantIbLb0EES16_EEDaS11_S12_EUlS11_E_NS1_11comp_targetILNS1_3genE2ELNS1_11target_archE906ELNS1_3gpuE6ELNS1_3repE0EEENS1_30default_config_static_selectorELNS0_4arch9wavefront6targetE1EEEvT1_.has_recursion, 0
	.set _ZN7rocprim17ROCPRIM_400000_NS6detail17trampoline_kernelINS0_14default_configENS1_25partition_config_selectorILNS1_17partition_subalgoE5ElNS0_10empty_typeEbEEZZNS1_14partition_implILS5_5ELb0ES3_mN6hipcub16HIPCUB_304000_NS21CountingInputIteratorIllEEPS6_NSA_22TransformInputIteratorIb7NonZeroIsEPslEENS0_5tupleIJPlS6_EEENSJ_IJSD_SD_EEES6_SK_JS6_EEE10hipError_tPvRmT3_T4_T5_T6_T7_T9_mT8_P12ihipStream_tbDpT10_ENKUlT_T0_E_clISt17integral_constantIbLb0EES16_EEDaS11_S12_EUlS11_E_NS1_11comp_targetILNS1_3genE2ELNS1_11target_archE906ELNS1_3gpuE6ELNS1_3repE0EEENS1_30default_config_static_selectorELNS0_4arch9wavefront6targetE1EEEvT1_.has_indirect_call, 0
	.section	.AMDGPU.csdata,"",@progbits
; Kernel info:
; codeLenInByte = 5896
; TotalNumSgprs: 30
; NumVgprs: 59
; ScratchSize: 0
; MemoryBound: 0
; FloatMode: 240
; IeeeMode: 1
; LDSByteSize: 14352 bytes/workgroup (compile time only)
; SGPRBlocks: 12
; VGPRBlocks: 14
; NumSGPRsForWavesPerEU: 102
; NumVGPRsForWavesPerEU: 59
; Occupancy: 4
; WaveLimiterHint : 1
; COMPUTE_PGM_RSRC2:SCRATCH_EN: 0
; COMPUTE_PGM_RSRC2:USER_SGPR: 6
; COMPUTE_PGM_RSRC2:TRAP_HANDLER: 0
; COMPUTE_PGM_RSRC2:TGID_X_EN: 1
; COMPUTE_PGM_RSRC2:TGID_Y_EN: 0
; COMPUTE_PGM_RSRC2:TGID_Z_EN: 0
; COMPUTE_PGM_RSRC2:TIDIG_COMP_CNT: 0
	.section	.text._ZN7rocprim17ROCPRIM_400000_NS6detail17trampoline_kernelINS0_14default_configENS1_25partition_config_selectorILNS1_17partition_subalgoE5ElNS0_10empty_typeEbEEZZNS1_14partition_implILS5_5ELb0ES3_mN6hipcub16HIPCUB_304000_NS21CountingInputIteratorIllEEPS6_NSA_22TransformInputIteratorIb7NonZeroIsEPslEENS0_5tupleIJPlS6_EEENSJ_IJSD_SD_EEES6_SK_JS6_EEE10hipError_tPvRmT3_T4_T5_T6_T7_T9_mT8_P12ihipStream_tbDpT10_ENKUlT_T0_E_clISt17integral_constantIbLb0EES16_EEDaS11_S12_EUlS11_E_NS1_11comp_targetILNS1_3genE10ELNS1_11target_archE1200ELNS1_3gpuE4ELNS1_3repE0EEENS1_30default_config_static_selectorELNS0_4arch9wavefront6targetE1EEEvT1_,"axG",@progbits,_ZN7rocprim17ROCPRIM_400000_NS6detail17trampoline_kernelINS0_14default_configENS1_25partition_config_selectorILNS1_17partition_subalgoE5ElNS0_10empty_typeEbEEZZNS1_14partition_implILS5_5ELb0ES3_mN6hipcub16HIPCUB_304000_NS21CountingInputIteratorIllEEPS6_NSA_22TransformInputIteratorIb7NonZeroIsEPslEENS0_5tupleIJPlS6_EEENSJ_IJSD_SD_EEES6_SK_JS6_EEE10hipError_tPvRmT3_T4_T5_T6_T7_T9_mT8_P12ihipStream_tbDpT10_ENKUlT_T0_E_clISt17integral_constantIbLb0EES16_EEDaS11_S12_EUlS11_E_NS1_11comp_targetILNS1_3genE10ELNS1_11target_archE1200ELNS1_3gpuE4ELNS1_3repE0EEENS1_30default_config_static_selectorELNS0_4arch9wavefront6targetE1EEEvT1_,comdat
	.protected	_ZN7rocprim17ROCPRIM_400000_NS6detail17trampoline_kernelINS0_14default_configENS1_25partition_config_selectorILNS1_17partition_subalgoE5ElNS0_10empty_typeEbEEZZNS1_14partition_implILS5_5ELb0ES3_mN6hipcub16HIPCUB_304000_NS21CountingInputIteratorIllEEPS6_NSA_22TransformInputIteratorIb7NonZeroIsEPslEENS0_5tupleIJPlS6_EEENSJ_IJSD_SD_EEES6_SK_JS6_EEE10hipError_tPvRmT3_T4_T5_T6_T7_T9_mT8_P12ihipStream_tbDpT10_ENKUlT_T0_E_clISt17integral_constantIbLb0EES16_EEDaS11_S12_EUlS11_E_NS1_11comp_targetILNS1_3genE10ELNS1_11target_archE1200ELNS1_3gpuE4ELNS1_3repE0EEENS1_30default_config_static_selectorELNS0_4arch9wavefront6targetE1EEEvT1_ ; -- Begin function _ZN7rocprim17ROCPRIM_400000_NS6detail17trampoline_kernelINS0_14default_configENS1_25partition_config_selectorILNS1_17partition_subalgoE5ElNS0_10empty_typeEbEEZZNS1_14partition_implILS5_5ELb0ES3_mN6hipcub16HIPCUB_304000_NS21CountingInputIteratorIllEEPS6_NSA_22TransformInputIteratorIb7NonZeroIsEPslEENS0_5tupleIJPlS6_EEENSJ_IJSD_SD_EEES6_SK_JS6_EEE10hipError_tPvRmT3_T4_T5_T6_T7_T9_mT8_P12ihipStream_tbDpT10_ENKUlT_T0_E_clISt17integral_constantIbLb0EES16_EEDaS11_S12_EUlS11_E_NS1_11comp_targetILNS1_3genE10ELNS1_11target_archE1200ELNS1_3gpuE4ELNS1_3repE0EEENS1_30default_config_static_selectorELNS0_4arch9wavefront6targetE1EEEvT1_
	.globl	_ZN7rocprim17ROCPRIM_400000_NS6detail17trampoline_kernelINS0_14default_configENS1_25partition_config_selectorILNS1_17partition_subalgoE5ElNS0_10empty_typeEbEEZZNS1_14partition_implILS5_5ELb0ES3_mN6hipcub16HIPCUB_304000_NS21CountingInputIteratorIllEEPS6_NSA_22TransformInputIteratorIb7NonZeroIsEPslEENS0_5tupleIJPlS6_EEENSJ_IJSD_SD_EEES6_SK_JS6_EEE10hipError_tPvRmT3_T4_T5_T6_T7_T9_mT8_P12ihipStream_tbDpT10_ENKUlT_T0_E_clISt17integral_constantIbLb0EES16_EEDaS11_S12_EUlS11_E_NS1_11comp_targetILNS1_3genE10ELNS1_11target_archE1200ELNS1_3gpuE4ELNS1_3repE0EEENS1_30default_config_static_selectorELNS0_4arch9wavefront6targetE1EEEvT1_
	.p2align	8
	.type	_ZN7rocprim17ROCPRIM_400000_NS6detail17trampoline_kernelINS0_14default_configENS1_25partition_config_selectorILNS1_17partition_subalgoE5ElNS0_10empty_typeEbEEZZNS1_14partition_implILS5_5ELb0ES3_mN6hipcub16HIPCUB_304000_NS21CountingInputIteratorIllEEPS6_NSA_22TransformInputIteratorIb7NonZeroIsEPslEENS0_5tupleIJPlS6_EEENSJ_IJSD_SD_EEES6_SK_JS6_EEE10hipError_tPvRmT3_T4_T5_T6_T7_T9_mT8_P12ihipStream_tbDpT10_ENKUlT_T0_E_clISt17integral_constantIbLb0EES16_EEDaS11_S12_EUlS11_E_NS1_11comp_targetILNS1_3genE10ELNS1_11target_archE1200ELNS1_3gpuE4ELNS1_3repE0EEENS1_30default_config_static_selectorELNS0_4arch9wavefront6targetE1EEEvT1_,@function
_ZN7rocprim17ROCPRIM_400000_NS6detail17trampoline_kernelINS0_14default_configENS1_25partition_config_selectorILNS1_17partition_subalgoE5ElNS0_10empty_typeEbEEZZNS1_14partition_implILS5_5ELb0ES3_mN6hipcub16HIPCUB_304000_NS21CountingInputIteratorIllEEPS6_NSA_22TransformInputIteratorIb7NonZeroIsEPslEENS0_5tupleIJPlS6_EEENSJ_IJSD_SD_EEES6_SK_JS6_EEE10hipError_tPvRmT3_T4_T5_T6_T7_T9_mT8_P12ihipStream_tbDpT10_ENKUlT_T0_E_clISt17integral_constantIbLb0EES16_EEDaS11_S12_EUlS11_E_NS1_11comp_targetILNS1_3genE10ELNS1_11target_archE1200ELNS1_3gpuE4ELNS1_3repE0EEENS1_30default_config_static_selectorELNS0_4arch9wavefront6targetE1EEEvT1_: ; @_ZN7rocprim17ROCPRIM_400000_NS6detail17trampoline_kernelINS0_14default_configENS1_25partition_config_selectorILNS1_17partition_subalgoE5ElNS0_10empty_typeEbEEZZNS1_14partition_implILS5_5ELb0ES3_mN6hipcub16HIPCUB_304000_NS21CountingInputIteratorIllEEPS6_NSA_22TransformInputIteratorIb7NonZeroIsEPslEENS0_5tupleIJPlS6_EEENSJ_IJSD_SD_EEES6_SK_JS6_EEE10hipError_tPvRmT3_T4_T5_T6_T7_T9_mT8_P12ihipStream_tbDpT10_ENKUlT_T0_E_clISt17integral_constantIbLb0EES16_EEDaS11_S12_EUlS11_E_NS1_11comp_targetILNS1_3genE10ELNS1_11target_archE1200ELNS1_3gpuE4ELNS1_3repE0EEENS1_30default_config_static_selectorELNS0_4arch9wavefront6targetE1EEEvT1_
; %bb.0:
	.section	.rodata,"a",@progbits
	.p2align	6, 0x0
	.amdhsa_kernel _ZN7rocprim17ROCPRIM_400000_NS6detail17trampoline_kernelINS0_14default_configENS1_25partition_config_selectorILNS1_17partition_subalgoE5ElNS0_10empty_typeEbEEZZNS1_14partition_implILS5_5ELb0ES3_mN6hipcub16HIPCUB_304000_NS21CountingInputIteratorIllEEPS6_NSA_22TransformInputIteratorIb7NonZeroIsEPslEENS0_5tupleIJPlS6_EEENSJ_IJSD_SD_EEES6_SK_JS6_EEE10hipError_tPvRmT3_T4_T5_T6_T7_T9_mT8_P12ihipStream_tbDpT10_ENKUlT_T0_E_clISt17integral_constantIbLb0EES16_EEDaS11_S12_EUlS11_E_NS1_11comp_targetILNS1_3genE10ELNS1_11target_archE1200ELNS1_3gpuE4ELNS1_3repE0EEENS1_30default_config_static_selectorELNS0_4arch9wavefront6targetE1EEEvT1_
		.amdhsa_group_segment_fixed_size 0
		.amdhsa_private_segment_fixed_size 0
		.amdhsa_kernarg_size 120
		.amdhsa_user_sgpr_count 6
		.amdhsa_user_sgpr_private_segment_buffer 1
		.amdhsa_user_sgpr_dispatch_ptr 0
		.amdhsa_user_sgpr_queue_ptr 0
		.amdhsa_user_sgpr_kernarg_segment_ptr 1
		.amdhsa_user_sgpr_dispatch_id 0
		.amdhsa_user_sgpr_flat_scratch_init 0
		.amdhsa_user_sgpr_private_segment_size 0
		.amdhsa_uses_dynamic_stack 0
		.amdhsa_system_sgpr_private_segment_wavefront_offset 0
		.amdhsa_system_sgpr_workgroup_id_x 1
		.amdhsa_system_sgpr_workgroup_id_y 0
		.amdhsa_system_sgpr_workgroup_id_z 0
		.amdhsa_system_sgpr_workgroup_info 0
		.amdhsa_system_vgpr_workitem_id 0
		.amdhsa_next_free_vgpr 1
		.amdhsa_next_free_sgpr 0
		.amdhsa_reserve_vcc 0
		.amdhsa_reserve_flat_scratch 0
		.amdhsa_float_round_mode_32 0
		.amdhsa_float_round_mode_16_64 0
		.amdhsa_float_denorm_mode_32 3
		.amdhsa_float_denorm_mode_16_64 3
		.amdhsa_dx10_clamp 1
		.amdhsa_ieee_mode 1
		.amdhsa_fp16_overflow 0
		.amdhsa_exception_fp_ieee_invalid_op 0
		.amdhsa_exception_fp_denorm_src 0
		.amdhsa_exception_fp_ieee_div_zero 0
		.amdhsa_exception_fp_ieee_overflow 0
		.amdhsa_exception_fp_ieee_underflow 0
		.amdhsa_exception_fp_ieee_inexact 0
		.amdhsa_exception_int_div_zero 0
	.end_amdhsa_kernel
	.section	.text._ZN7rocprim17ROCPRIM_400000_NS6detail17trampoline_kernelINS0_14default_configENS1_25partition_config_selectorILNS1_17partition_subalgoE5ElNS0_10empty_typeEbEEZZNS1_14partition_implILS5_5ELb0ES3_mN6hipcub16HIPCUB_304000_NS21CountingInputIteratorIllEEPS6_NSA_22TransformInputIteratorIb7NonZeroIsEPslEENS0_5tupleIJPlS6_EEENSJ_IJSD_SD_EEES6_SK_JS6_EEE10hipError_tPvRmT3_T4_T5_T6_T7_T9_mT8_P12ihipStream_tbDpT10_ENKUlT_T0_E_clISt17integral_constantIbLb0EES16_EEDaS11_S12_EUlS11_E_NS1_11comp_targetILNS1_3genE10ELNS1_11target_archE1200ELNS1_3gpuE4ELNS1_3repE0EEENS1_30default_config_static_selectorELNS0_4arch9wavefront6targetE1EEEvT1_,"axG",@progbits,_ZN7rocprim17ROCPRIM_400000_NS6detail17trampoline_kernelINS0_14default_configENS1_25partition_config_selectorILNS1_17partition_subalgoE5ElNS0_10empty_typeEbEEZZNS1_14partition_implILS5_5ELb0ES3_mN6hipcub16HIPCUB_304000_NS21CountingInputIteratorIllEEPS6_NSA_22TransformInputIteratorIb7NonZeroIsEPslEENS0_5tupleIJPlS6_EEENSJ_IJSD_SD_EEES6_SK_JS6_EEE10hipError_tPvRmT3_T4_T5_T6_T7_T9_mT8_P12ihipStream_tbDpT10_ENKUlT_T0_E_clISt17integral_constantIbLb0EES16_EEDaS11_S12_EUlS11_E_NS1_11comp_targetILNS1_3genE10ELNS1_11target_archE1200ELNS1_3gpuE4ELNS1_3repE0EEENS1_30default_config_static_selectorELNS0_4arch9wavefront6targetE1EEEvT1_,comdat
.Lfunc_end122:
	.size	_ZN7rocprim17ROCPRIM_400000_NS6detail17trampoline_kernelINS0_14default_configENS1_25partition_config_selectorILNS1_17partition_subalgoE5ElNS0_10empty_typeEbEEZZNS1_14partition_implILS5_5ELb0ES3_mN6hipcub16HIPCUB_304000_NS21CountingInputIteratorIllEEPS6_NSA_22TransformInputIteratorIb7NonZeroIsEPslEENS0_5tupleIJPlS6_EEENSJ_IJSD_SD_EEES6_SK_JS6_EEE10hipError_tPvRmT3_T4_T5_T6_T7_T9_mT8_P12ihipStream_tbDpT10_ENKUlT_T0_E_clISt17integral_constantIbLb0EES16_EEDaS11_S12_EUlS11_E_NS1_11comp_targetILNS1_3genE10ELNS1_11target_archE1200ELNS1_3gpuE4ELNS1_3repE0EEENS1_30default_config_static_selectorELNS0_4arch9wavefront6targetE1EEEvT1_, .Lfunc_end122-_ZN7rocprim17ROCPRIM_400000_NS6detail17trampoline_kernelINS0_14default_configENS1_25partition_config_selectorILNS1_17partition_subalgoE5ElNS0_10empty_typeEbEEZZNS1_14partition_implILS5_5ELb0ES3_mN6hipcub16HIPCUB_304000_NS21CountingInputIteratorIllEEPS6_NSA_22TransformInputIteratorIb7NonZeroIsEPslEENS0_5tupleIJPlS6_EEENSJ_IJSD_SD_EEES6_SK_JS6_EEE10hipError_tPvRmT3_T4_T5_T6_T7_T9_mT8_P12ihipStream_tbDpT10_ENKUlT_T0_E_clISt17integral_constantIbLb0EES16_EEDaS11_S12_EUlS11_E_NS1_11comp_targetILNS1_3genE10ELNS1_11target_archE1200ELNS1_3gpuE4ELNS1_3repE0EEENS1_30default_config_static_selectorELNS0_4arch9wavefront6targetE1EEEvT1_
                                        ; -- End function
	.set _ZN7rocprim17ROCPRIM_400000_NS6detail17trampoline_kernelINS0_14default_configENS1_25partition_config_selectorILNS1_17partition_subalgoE5ElNS0_10empty_typeEbEEZZNS1_14partition_implILS5_5ELb0ES3_mN6hipcub16HIPCUB_304000_NS21CountingInputIteratorIllEEPS6_NSA_22TransformInputIteratorIb7NonZeroIsEPslEENS0_5tupleIJPlS6_EEENSJ_IJSD_SD_EEES6_SK_JS6_EEE10hipError_tPvRmT3_T4_T5_T6_T7_T9_mT8_P12ihipStream_tbDpT10_ENKUlT_T0_E_clISt17integral_constantIbLb0EES16_EEDaS11_S12_EUlS11_E_NS1_11comp_targetILNS1_3genE10ELNS1_11target_archE1200ELNS1_3gpuE4ELNS1_3repE0EEENS1_30default_config_static_selectorELNS0_4arch9wavefront6targetE1EEEvT1_.num_vgpr, 0
	.set _ZN7rocprim17ROCPRIM_400000_NS6detail17trampoline_kernelINS0_14default_configENS1_25partition_config_selectorILNS1_17partition_subalgoE5ElNS0_10empty_typeEbEEZZNS1_14partition_implILS5_5ELb0ES3_mN6hipcub16HIPCUB_304000_NS21CountingInputIteratorIllEEPS6_NSA_22TransformInputIteratorIb7NonZeroIsEPslEENS0_5tupleIJPlS6_EEENSJ_IJSD_SD_EEES6_SK_JS6_EEE10hipError_tPvRmT3_T4_T5_T6_T7_T9_mT8_P12ihipStream_tbDpT10_ENKUlT_T0_E_clISt17integral_constantIbLb0EES16_EEDaS11_S12_EUlS11_E_NS1_11comp_targetILNS1_3genE10ELNS1_11target_archE1200ELNS1_3gpuE4ELNS1_3repE0EEENS1_30default_config_static_selectorELNS0_4arch9wavefront6targetE1EEEvT1_.num_agpr, 0
	.set _ZN7rocprim17ROCPRIM_400000_NS6detail17trampoline_kernelINS0_14default_configENS1_25partition_config_selectorILNS1_17partition_subalgoE5ElNS0_10empty_typeEbEEZZNS1_14partition_implILS5_5ELb0ES3_mN6hipcub16HIPCUB_304000_NS21CountingInputIteratorIllEEPS6_NSA_22TransformInputIteratorIb7NonZeroIsEPslEENS0_5tupleIJPlS6_EEENSJ_IJSD_SD_EEES6_SK_JS6_EEE10hipError_tPvRmT3_T4_T5_T6_T7_T9_mT8_P12ihipStream_tbDpT10_ENKUlT_T0_E_clISt17integral_constantIbLb0EES16_EEDaS11_S12_EUlS11_E_NS1_11comp_targetILNS1_3genE10ELNS1_11target_archE1200ELNS1_3gpuE4ELNS1_3repE0EEENS1_30default_config_static_selectorELNS0_4arch9wavefront6targetE1EEEvT1_.numbered_sgpr, 0
	.set _ZN7rocprim17ROCPRIM_400000_NS6detail17trampoline_kernelINS0_14default_configENS1_25partition_config_selectorILNS1_17partition_subalgoE5ElNS0_10empty_typeEbEEZZNS1_14partition_implILS5_5ELb0ES3_mN6hipcub16HIPCUB_304000_NS21CountingInputIteratorIllEEPS6_NSA_22TransformInputIteratorIb7NonZeroIsEPslEENS0_5tupleIJPlS6_EEENSJ_IJSD_SD_EEES6_SK_JS6_EEE10hipError_tPvRmT3_T4_T5_T6_T7_T9_mT8_P12ihipStream_tbDpT10_ENKUlT_T0_E_clISt17integral_constantIbLb0EES16_EEDaS11_S12_EUlS11_E_NS1_11comp_targetILNS1_3genE10ELNS1_11target_archE1200ELNS1_3gpuE4ELNS1_3repE0EEENS1_30default_config_static_selectorELNS0_4arch9wavefront6targetE1EEEvT1_.num_named_barrier, 0
	.set _ZN7rocprim17ROCPRIM_400000_NS6detail17trampoline_kernelINS0_14default_configENS1_25partition_config_selectorILNS1_17partition_subalgoE5ElNS0_10empty_typeEbEEZZNS1_14partition_implILS5_5ELb0ES3_mN6hipcub16HIPCUB_304000_NS21CountingInputIteratorIllEEPS6_NSA_22TransformInputIteratorIb7NonZeroIsEPslEENS0_5tupleIJPlS6_EEENSJ_IJSD_SD_EEES6_SK_JS6_EEE10hipError_tPvRmT3_T4_T5_T6_T7_T9_mT8_P12ihipStream_tbDpT10_ENKUlT_T0_E_clISt17integral_constantIbLb0EES16_EEDaS11_S12_EUlS11_E_NS1_11comp_targetILNS1_3genE10ELNS1_11target_archE1200ELNS1_3gpuE4ELNS1_3repE0EEENS1_30default_config_static_selectorELNS0_4arch9wavefront6targetE1EEEvT1_.private_seg_size, 0
	.set _ZN7rocprim17ROCPRIM_400000_NS6detail17trampoline_kernelINS0_14default_configENS1_25partition_config_selectorILNS1_17partition_subalgoE5ElNS0_10empty_typeEbEEZZNS1_14partition_implILS5_5ELb0ES3_mN6hipcub16HIPCUB_304000_NS21CountingInputIteratorIllEEPS6_NSA_22TransformInputIteratorIb7NonZeroIsEPslEENS0_5tupleIJPlS6_EEENSJ_IJSD_SD_EEES6_SK_JS6_EEE10hipError_tPvRmT3_T4_T5_T6_T7_T9_mT8_P12ihipStream_tbDpT10_ENKUlT_T0_E_clISt17integral_constantIbLb0EES16_EEDaS11_S12_EUlS11_E_NS1_11comp_targetILNS1_3genE10ELNS1_11target_archE1200ELNS1_3gpuE4ELNS1_3repE0EEENS1_30default_config_static_selectorELNS0_4arch9wavefront6targetE1EEEvT1_.uses_vcc, 0
	.set _ZN7rocprim17ROCPRIM_400000_NS6detail17trampoline_kernelINS0_14default_configENS1_25partition_config_selectorILNS1_17partition_subalgoE5ElNS0_10empty_typeEbEEZZNS1_14partition_implILS5_5ELb0ES3_mN6hipcub16HIPCUB_304000_NS21CountingInputIteratorIllEEPS6_NSA_22TransformInputIteratorIb7NonZeroIsEPslEENS0_5tupleIJPlS6_EEENSJ_IJSD_SD_EEES6_SK_JS6_EEE10hipError_tPvRmT3_T4_T5_T6_T7_T9_mT8_P12ihipStream_tbDpT10_ENKUlT_T0_E_clISt17integral_constantIbLb0EES16_EEDaS11_S12_EUlS11_E_NS1_11comp_targetILNS1_3genE10ELNS1_11target_archE1200ELNS1_3gpuE4ELNS1_3repE0EEENS1_30default_config_static_selectorELNS0_4arch9wavefront6targetE1EEEvT1_.uses_flat_scratch, 0
	.set _ZN7rocprim17ROCPRIM_400000_NS6detail17trampoline_kernelINS0_14default_configENS1_25partition_config_selectorILNS1_17partition_subalgoE5ElNS0_10empty_typeEbEEZZNS1_14partition_implILS5_5ELb0ES3_mN6hipcub16HIPCUB_304000_NS21CountingInputIteratorIllEEPS6_NSA_22TransformInputIteratorIb7NonZeroIsEPslEENS0_5tupleIJPlS6_EEENSJ_IJSD_SD_EEES6_SK_JS6_EEE10hipError_tPvRmT3_T4_T5_T6_T7_T9_mT8_P12ihipStream_tbDpT10_ENKUlT_T0_E_clISt17integral_constantIbLb0EES16_EEDaS11_S12_EUlS11_E_NS1_11comp_targetILNS1_3genE10ELNS1_11target_archE1200ELNS1_3gpuE4ELNS1_3repE0EEENS1_30default_config_static_selectorELNS0_4arch9wavefront6targetE1EEEvT1_.has_dyn_sized_stack, 0
	.set _ZN7rocprim17ROCPRIM_400000_NS6detail17trampoline_kernelINS0_14default_configENS1_25partition_config_selectorILNS1_17partition_subalgoE5ElNS0_10empty_typeEbEEZZNS1_14partition_implILS5_5ELb0ES3_mN6hipcub16HIPCUB_304000_NS21CountingInputIteratorIllEEPS6_NSA_22TransformInputIteratorIb7NonZeroIsEPslEENS0_5tupleIJPlS6_EEENSJ_IJSD_SD_EEES6_SK_JS6_EEE10hipError_tPvRmT3_T4_T5_T6_T7_T9_mT8_P12ihipStream_tbDpT10_ENKUlT_T0_E_clISt17integral_constantIbLb0EES16_EEDaS11_S12_EUlS11_E_NS1_11comp_targetILNS1_3genE10ELNS1_11target_archE1200ELNS1_3gpuE4ELNS1_3repE0EEENS1_30default_config_static_selectorELNS0_4arch9wavefront6targetE1EEEvT1_.has_recursion, 0
	.set _ZN7rocprim17ROCPRIM_400000_NS6detail17trampoline_kernelINS0_14default_configENS1_25partition_config_selectorILNS1_17partition_subalgoE5ElNS0_10empty_typeEbEEZZNS1_14partition_implILS5_5ELb0ES3_mN6hipcub16HIPCUB_304000_NS21CountingInputIteratorIllEEPS6_NSA_22TransformInputIteratorIb7NonZeroIsEPslEENS0_5tupleIJPlS6_EEENSJ_IJSD_SD_EEES6_SK_JS6_EEE10hipError_tPvRmT3_T4_T5_T6_T7_T9_mT8_P12ihipStream_tbDpT10_ENKUlT_T0_E_clISt17integral_constantIbLb0EES16_EEDaS11_S12_EUlS11_E_NS1_11comp_targetILNS1_3genE10ELNS1_11target_archE1200ELNS1_3gpuE4ELNS1_3repE0EEENS1_30default_config_static_selectorELNS0_4arch9wavefront6targetE1EEEvT1_.has_indirect_call, 0
	.section	.AMDGPU.csdata,"",@progbits
; Kernel info:
; codeLenInByte = 0
; TotalNumSgprs: 4
; NumVgprs: 0
; ScratchSize: 0
; MemoryBound: 0
; FloatMode: 240
; IeeeMode: 1
; LDSByteSize: 0 bytes/workgroup (compile time only)
; SGPRBlocks: 0
; VGPRBlocks: 0
; NumSGPRsForWavesPerEU: 4
; NumVGPRsForWavesPerEU: 1
; Occupancy: 10
; WaveLimiterHint : 0
; COMPUTE_PGM_RSRC2:SCRATCH_EN: 0
; COMPUTE_PGM_RSRC2:USER_SGPR: 6
; COMPUTE_PGM_RSRC2:TRAP_HANDLER: 0
; COMPUTE_PGM_RSRC2:TGID_X_EN: 1
; COMPUTE_PGM_RSRC2:TGID_Y_EN: 0
; COMPUTE_PGM_RSRC2:TGID_Z_EN: 0
; COMPUTE_PGM_RSRC2:TIDIG_COMP_CNT: 0
	.section	.text._ZN7rocprim17ROCPRIM_400000_NS6detail17trampoline_kernelINS0_14default_configENS1_25partition_config_selectorILNS1_17partition_subalgoE5ElNS0_10empty_typeEbEEZZNS1_14partition_implILS5_5ELb0ES3_mN6hipcub16HIPCUB_304000_NS21CountingInputIteratorIllEEPS6_NSA_22TransformInputIteratorIb7NonZeroIsEPslEENS0_5tupleIJPlS6_EEENSJ_IJSD_SD_EEES6_SK_JS6_EEE10hipError_tPvRmT3_T4_T5_T6_T7_T9_mT8_P12ihipStream_tbDpT10_ENKUlT_T0_E_clISt17integral_constantIbLb0EES16_EEDaS11_S12_EUlS11_E_NS1_11comp_targetILNS1_3genE9ELNS1_11target_archE1100ELNS1_3gpuE3ELNS1_3repE0EEENS1_30default_config_static_selectorELNS0_4arch9wavefront6targetE1EEEvT1_,"axG",@progbits,_ZN7rocprim17ROCPRIM_400000_NS6detail17trampoline_kernelINS0_14default_configENS1_25partition_config_selectorILNS1_17partition_subalgoE5ElNS0_10empty_typeEbEEZZNS1_14partition_implILS5_5ELb0ES3_mN6hipcub16HIPCUB_304000_NS21CountingInputIteratorIllEEPS6_NSA_22TransformInputIteratorIb7NonZeroIsEPslEENS0_5tupleIJPlS6_EEENSJ_IJSD_SD_EEES6_SK_JS6_EEE10hipError_tPvRmT3_T4_T5_T6_T7_T9_mT8_P12ihipStream_tbDpT10_ENKUlT_T0_E_clISt17integral_constantIbLb0EES16_EEDaS11_S12_EUlS11_E_NS1_11comp_targetILNS1_3genE9ELNS1_11target_archE1100ELNS1_3gpuE3ELNS1_3repE0EEENS1_30default_config_static_selectorELNS0_4arch9wavefront6targetE1EEEvT1_,comdat
	.protected	_ZN7rocprim17ROCPRIM_400000_NS6detail17trampoline_kernelINS0_14default_configENS1_25partition_config_selectorILNS1_17partition_subalgoE5ElNS0_10empty_typeEbEEZZNS1_14partition_implILS5_5ELb0ES3_mN6hipcub16HIPCUB_304000_NS21CountingInputIteratorIllEEPS6_NSA_22TransformInputIteratorIb7NonZeroIsEPslEENS0_5tupleIJPlS6_EEENSJ_IJSD_SD_EEES6_SK_JS6_EEE10hipError_tPvRmT3_T4_T5_T6_T7_T9_mT8_P12ihipStream_tbDpT10_ENKUlT_T0_E_clISt17integral_constantIbLb0EES16_EEDaS11_S12_EUlS11_E_NS1_11comp_targetILNS1_3genE9ELNS1_11target_archE1100ELNS1_3gpuE3ELNS1_3repE0EEENS1_30default_config_static_selectorELNS0_4arch9wavefront6targetE1EEEvT1_ ; -- Begin function _ZN7rocprim17ROCPRIM_400000_NS6detail17trampoline_kernelINS0_14default_configENS1_25partition_config_selectorILNS1_17partition_subalgoE5ElNS0_10empty_typeEbEEZZNS1_14partition_implILS5_5ELb0ES3_mN6hipcub16HIPCUB_304000_NS21CountingInputIteratorIllEEPS6_NSA_22TransformInputIteratorIb7NonZeroIsEPslEENS0_5tupleIJPlS6_EEENSJ_IJSD_SD_EEES6_SK_JS6_EEE10hipError_tPvRmT3_T4_T5_T6_T7_T9_mT8_P12ihipStream_tbDpT10_ENKUlT_T0_E_clISt17integral_constantIbLb0EES16_EEDaS11_S12_EUlS11_E_NS1_11comp_targetILNS1_3genE9ELNS1_11target_archE1100ELNS1_3gpuE3ELNS1_3repE0EEENS1_30default_config_static_selectorELNS0_4arch9wavefront6targetE1EEEvT1_
	.globl	_ZN7rocprim17ROCPRIM_400000_NS6detail17trampoline_kernelINS0_14default_configENS1_25partition_config_selectorILNS1_17partition_subalgoE5ElNS0_10empty_typeEbEEZZNS1_14partition_implILS5_5ELb0ES3_mN6hipcub16HIPCUB_304000_NS21CountingInputIteratorIllEEPS6_NSA_22TransformInputIteratorIb7NonZeroIsEPslEENS0_5tupleIJPlS6_EEENSJ_IJSD_SD_EEES6_SK_JS6_EEE10hipError_tPvRmT3_T4_T5_T6_T7_T9_mT8_P12ihipStream_tbDpT10_ENKUlT_T0_E_clISt17integral_constantIbLb0EES16_EEDaS11_S12_EUlS11_E_NS1_11comp_targetILNS1_3genE9ELNS1_11target_archE1100ELNS1_3gpuE3ELNS1_3repE0EEENS1_30default_config_static_selectorELNS0_4arch9wavefront6targetE1EEEvT1_
	.p2align	8
	.type	_ZN7rocprim17ROCPRIM_400000_NS6detail17trampoline_kernelINS0_14default_configENS1_25partition_config_selectorILNS1_17partition_subalgoE5ElNS0_10empty_typeEbEEZZNS1_14partition_implILS5_5ELb0ES3_mN6hipcub16HIPCUB_304000_NS21CountingInputIteratorIllEEPS6_NSA_22TransformInputIteratorIb7NonZeroIsEPslEENS0_5tupleIJPlS6_EEENSJ_IJSD_SD_EEES6_SK_JS6_EEE10hipError_tPvRmT3_T4_T5_T6_T7_T9_mT8_P12ihipStream_tbDpT10_ENKUlT_T0_E_clISt17integral_constantIbLb0EES16_EEDaS11_S12_EUlS11_E_NS1_11comp_targetILNS1_3genE9ELNS1_11target_archE1100ELNS1_3gpuE3ELNS1_3repE0EEENS1_30default_config_static_selectorELNS0_4arch9wavefront6targetE1EEEvT1_,@function
_ZN7rocprim17ROCPRIM_400000_NS6detail17trampoline_kernelINS0_14default_configENS1_25partition_config_selectorILNS1_17partition_subalgoE5ElNS0_10empty_typeEbEEZZNS1_14partition_implILS5_5ELb0ES3_mN6hipcub16HIPCUB_304000_NS21CountingInputIteratorIllEEPS6_NSA_22TransformInputIteratorIb7NonZeroIsEPslEENS0_5tupleIJPlS6_EEENSJ_IJSD_SD_EEES6_SK_JS6_EEE10hipError_tPvRmT3_T4_T5_T6_T7_T9_mT8_P12ihipStream_tbDpT10_ENKUlT_T0_E_clISt17integral_constantIbLb0EES16_EEDaS11_S12_EUlS11_E_NS1_11comp_targetILNS1_3genE9ELNS1_11target_archE1100ELNS1_3gpuE3ELNS1_3repE0EEENS1_30default_config_static_selectorELNS0_4arch9wavefront6targetE1EEEvT1_: ; @_ZN7rocprim17ROCPRIM_400000_NS6detail17trampoline_kernelINS0_14default_configENS1_25partition_config_selectorILNS1_17partition_subalgoE5ElNS0_10empty_typeEbEEZZNS1_14partition_implILS5_5ELb0ES3_mN6hipcub16HIPCUB_304000_NS21CountingInputIteratorIllEEPS6_NSA_22TransformInputIteratorIb7NonZeroIsEPslEENS0_5tupleIJPlS6_EEENSJ_IJSD_SD_EEES6_SK_JS6_EEE10hipError_tPvRmT3_T4_T5_T6_T7_T9_mT8_P12ihipStream_tbDpT10_ENKUlT_T0_E_clISt17integral_constantIbLb0EES16_EEDaS11_S12_EUlS11_E_NS1_11comp_targetILNS1_3genE9ELNS1_11target_archE1100ELNS1_3gpuE3ELNS1_3repE0EEENS1_30default_config_static_selectorELNS0_4arch9wavefront6targetE1EEEvT1_
; %bb.0:
	.section	.rodata,"a",@progbits
	.p2align	6, 0x0
	.amdhsa_kernel _ZN7rocprim17ROCPRIM_400000_NS6detail17trampoline_kernelINS0_14default_configENS1_25partition_config_selectorILNS1_17partition_subalgoE5ElNS0_10empty_typeEbEEZZNS1_14partition_implILS5_5ELb0ES3_mN6hipcub16HIPCUB_304000_NS21CountingInputIteratorIllEEPS6_NSA_22TransformInputIteratorIb7NonZeroIsEPslEENS0_5tupleIJPlS6_EEENSJ_IJSD_SD_EEES6_SK_JS6_EEE10hipError_tPvRmT3_T4_T5_T6_T7_T9_mT8_P12ihipStream_tbDpT10_ENKUlT_T0_E_clISt17integral_constantIbLb0EES16_EEDaS11_S12_EUlS11_E_NS1_11comp_targetILNS1_3genE9ELNS1_11target_archE1100ELNS1_3gpuE3ELNS1_3repE0EEENS1_30default_config_static_selectorELNS0_4arch9wavefront6targetE1EEEvT1_
		.amdhsa_group_segment_fixed_size 0
		.amdhsa_private_segment_fixed_size 0
		.amdhsa_kernarg_size 120
		.amdhsa_user_sgpr_count 6
		.amdhsa_user_sgpr_private_segment_buffer 1
		.amdhsa_user_sgpr_dispatch_ptr 0
		.amdhsa_user_sgpr_queue_ptr 0
		.amdhsa_user_sgpr_kernarg_segment_ptr 1
		.amdhsa_user_sgpr_dispatch_id 0
		.amdhsa_user_sgpr_flat_scratch_init 0
		.amdhsa_user_sgpr_private_segment_size 0
		.amdhsa_uses_dynamic_stack 0
		.amdhsa_system_sgpr_private_segment_wavefront_offset 0
		.amdhsa_system_sgpr_workgroup_id_x 1
		.amdhsa_system_sgpr_workgroup_id_y 0
		.amdhsa_system_sgpr_workgroup_id_z 0
		.amdhsa_system_sgpr_workgroup_info 0
		.amdhsa_system_vgpr_workitem_id 0
		.amdhsa_next_free_vgpr 1
		.amdhsa_next_free_sgpr 0
		.amdhsa_reserve_vcc 0
		.amdhsa_reserve_flat_scratch 0
		.amdhsa_float_round_mode_32 0
		.amdhsa_float_round_mode_16_64 0
		.amdhsa_float_denorm_mode_32 3
		.amdhsa_float_denorm_mode_16_64 3
		.amdhsa_dx10_clamp 1
		.amdhsa_ieee_mode 1
		.amdhsa_fp16_overflow 0
		.amdhsa_exception_fp_ieee_invalid_op 0
		.amdhsa_exception_fp_denorm_src 0
		.amdhsa_exception_fp_ieee_div_zero 0
		.amdhsa_exception_fp_ieee_overflow 0
		.amdhsa_exception_fp_ieee_underflow 0
		.amdhsa_exception_fp_ieee_inexact 0
		.amdhsa_exception_int_div_zero 0
	.end_amdhsa_kernel
	.section	.text._ZN7rocprim17ROCPRIM_400000_NS6detail17trampoline_kernelINS0_14default_configENS1_25partition_config_selectorILNS1_17partition_subalgoE5ElNS0_10empty_typeEbEEZZNS1_14partition_implILS5_5ELb0ES3_mN6hipcub16HIPCUB_304000_NS21CountingInputIteratorIllEEPS6_NSA_22TransformInputIteratorIb7NonZeroIsEPslEENS0_5tupleIJPlS6_EEENSJ_IJSD_SD_EEES6_SK_JS6_EEE10hipError_tPvRmT3_T4_T5_T6_T7_T9_mT8_P12ihipStream_tbDpT10_ENKUlT_T0_E_clISt17integral_constantIbLb0EES16_EEDaS11_S12_EUlS11_E_NS1_11comp_targetILNS1_3genE9ELNS1_11target_archE1100ELNS1_3gpuE3ELNS1_3repE0EEENS1_30default_config_static_selectorELNS0_4arch9wavefront6targetE1EEEvT1_,"axG",@progbits,_ZN7rocprim17ROCPRIM_400000_NS6detail17trampoline_kernelINS0_14default_configENS1_25partition_config_selectorILNS1_17partition_subalgoE5ElNS0_10empty_typeEbEEZZNS1_14partition_implILS5_5ELb0ES3_mN6hipcub16HIPCUB_304000_NS21CountingInputIteratorIllEEPS6_NSA_22TransformInputIteratorIb7NonZeroIsEPslEENS0_5tupleIJPlS6_EEENSJ_IJSD_SD_EEES6_SK_JS6_EEE10hipError_tPvRmT3_T4_T5_T6_T7_T9_mT8_P12ihipStream_tbDpT10_ENKUlT_T0_E_clISt17integral_constantIbLb0EES16_EEDaS11_S12_EUlS11_E_NS1_11comp_targetILNS1_3genE9ELNS1_11target_archE1100ELNS1_3gpuE3ELNS1_3repE0EEENS1_30default_config_static_selectorELNS0_4arch9wavefront6targetE1EEEvT1_,comdat
.Lfunc_end123:
	.size	_ZN7rocprim17ROCPRIM_400000_NS6detail17trampoline_kernelINS0_14default_configENS1_25partition_config_selectorILNS1_17partition_subalgoE5ElNS0_10empty_typeEbEEZZNS1_14partition_implILS5_5ELb0ES3_mN6hipcub16HIPCUB_304000_NS21CountingInputIteratorIllEEPS6_NSA_22TransformInputIteratorIb7NonZeroIsEPslEENS0_5tupleIJPlS6_EEENSJ_IJSD_SD_EEES6_SK_JS6_EEE10hipError_tPvRmT3_T4_T5_T6_T7_T9_mT8_P12ihipStream_tbDpT10_ENKUlT_T0_E_clISt17integral_constantIbLb0EES16_EEDaS11_S12_EUlS11_E_NS1_11comp_targetILNS1_3genE9ELNS1_11target_archE1100ELNS1_3gpuE3ELNS1_3repE0EEENS1_30default_config_static_selectorELNS0_4arch9wavefront6targetE1EEEvT1_, .Lfunc_end123-_ZN7rocprim17ROCPRIM_400000_NS6detail17trampoline_kernelINS0_14default_configENS1_25partition_config_selectorILNS1_17partition_subalgoE5ElNS0_10empty_typeEbEEZZNS1_14partition_implILS5_5ELb0ES3_mN6hipcub16HIPCUB_304000_NS21CountingInputIteratorIllEEPS6_NSA_22TransformInputIteratorIb7NonZeroIsEPslEENS0_5tupleIJPlS6_EEENSJ_IJSD_SD_EEES6_SK_JS6_EEE10hipError_tPvRmT3_T4_T5_T6_T7_T9_mT8_P12ihipStream_tbDpT10_ENKUlT_T0_E_clISt17integral_constantIbLb0EES16_EEDaS11_S12_EUlS11_E_NS1_11comp_targetILNS1_3genE9ELNS1_11target_archE1100ELNS1_3gpuE3ELNS1_3repE0EEENS1_30default_config_static_selectorELNS0_4arch9wavefront6targetE1EEEvT1_
                                        ; -- End function
	.set _ZN7rocprim17ROCPRIM_400000_NS6detail17trampoline_kernelINS0_14default_configENS1_25partition_config_selectorILNS1_17partition_subalgoE5ElNS0_10empty_typeEbEEZZNS1_14partition_implILS5_5ELb0ES3_mN6hipcub16HIPCUB_304000_NS21CountingInputIteratorIllEEPS6_NSA_22TransformInputIteratorIb7NonZeroIsEPslEENS0_5tupleIJPlS6_EEENSJ_IJSD_SD_EEES6_SK_JS6_EEE10hipError_tPvRmT3_T4_T5_T6_T7_T9_mT8_P12ihipStream_tbDpT10_ENKUlT_T0_E_clISt17integral_constantIbLb0EES16_EEDaS11_S12_EUlS11_E_NS1_11comp_targetILNS1_3genE9ELNS1_11target_archE1100ELNS1_3gpuE3ELNS1_3repE0EEENS1_30default_config_static_selectorELNS0_4arch9wavefront6targetE1EEEvT1_.num_vgpr, 0
	.set _ZN7rocprim17ROCPRIM_400000_NS6detail17trampoline_kernelINS0_14default_configENS1_25partition_config_selectorILNS1_17partition_subalgoE5ElNS0_10empty_typeEbEEZZNS1_14partition_implILS5_5ELb0ES3_mN6hipcub16HIPCUB_304000_NS21CountingInputIteratorIllEEPS6_NSA_22TransformInputIteratorIb7NonZeroIsEPslEENS0_5tupleIJPlS6_EEENSJ_IJSD_SD_EEES6_SK_JS6_EEE10hipError_tPvRmT3_T4_T5_T6_T7_T9_mT8_P12ihipStream_tbDpT10_ENKUlT_T0_E_clISt17integral_constantIbLb0EES16_EEDaS11_S12_EUlS11_E_NS1_11comp_targetILNS1_3genE9ELNS1_11target_archE1100ELNS1_3gpuE3ELNS1_3repE0EEENS1_30default_config_static_selectorELNS0_4arch9wavefront6targetE1EEEvT1_.num_agpr, 0
	.set _ZN7rocprim17ROCPRIM_400000_NS6detail17trampoline_kernelINS0_14default_configENS1_25partition_config_selectorILNS1_17partition_subalgoE5ElNS0_10empty_typeEbEEZZNS1_14partition_implILS5_5ELb0ES3_mN6hipcub16HIPCUB_304000_NS21CountingInputIteratorIllEEPS6_NSA_22TransformInputIteratorIb7NonZeroIsEPslEENS0_5tupleIJPlS6_EEENSJ_IJSD_SD_EEES6_SK_JS6_EEE10hipError_tPvRmT3_T4_T5_T6_T7_T9_mT8_P12ihipStream_tbDpT10_ENKUlT_T0_E_clISt17integral_constantIbLb0EES16_EEDaS11_S12_EUlS11_E_NS1_11comp_targetILNS1_3genE9ELNS1_11target_archE1100ELNS1_3gpuE3ELNS1_3repE0EEENS1_30default_config_static_selectorELNS0_4arch9wavefront6targetE1EEEvT1_.numbered_sgpr, 0
	.set _ZN7rocprim17ROCPRIM_400000_NS6detail17trampoline_kernelINS0_14default_configENS1_25partition_config_selectorILNS1_17partition_subalgoE5ElNS0_10empty_typeEbEEZZNS1_14partition_implILS5_5ELb0ES3_mN6hipcub16HIPCUB_304000_NS21CountingInputIteratorIllEEPS6_NSA_22TransformInputIteratorIb7NonZeroIsEPslEENS0_5tupleIJPlS6_EEENSJ_IJSD_SD_EEES6_SK_JS6_EEE10hipError_tPvRmT3_T4_T5_T6_T7_T9_mT8_P12ihipStream_tbDpT10_ENKUlT_T0_E_clISt17integral_constantIbLb0EES16_EEDaS11_S12_EUlS11_E_NS1_11comp_targetILNS1_3genE9ELNS1_11target_archE1100ELNS1_3gpuE3ELNS1_3repE0EEENS1_30default_config_static_selectorELNS0_4arch9wavefront6targetE1EEEvT1_.num_named_barrier, 0
	.set _ZN7rocprim17ROCPRIM_400000_NS6detail17trampoline_kernelINS0_14default_configENS1_25partition_config_selectorILNS1_17partition_subalgoE5ElNS0_10empty_typeEbEEZZNS1_14partition_implILS5_5ELb0ES3_mN6hipcub16HIPCUB_304000_NS21CountingInputIteratorIllEEPS6_NSA_22TransformInputIteratorIb7NonZeroIsEPslEENS0_5tupleIJPlS6_EEENSJ_IJSD_SD_EEES6_SK_JS6_EEE10hipError_tPvRmT3_T4_T5_T6_T7_T9_mT8_P12ihipStream_tbDpT10_ENKUlT_T0_E_clISt17integral_constantIbLb0EES16_EEDaS11_S12_EUlS11_E_NS1_11comp_targetILNS1_3genE9ELNS1_11target_archE1100ELNS1_3gpuE3ELNS1_3repE0EEENS1_30default_config_static_selectorELNS0_4arch9wavefront6targetE1EEEvT1_.private_seg_size, 0
	.set _ZN7rocprim17ROCPRIM_400000_NS6detail17trampoline_kernelINS0_14default_configENS1_25partition_config_selectorILNS1_17partition_subalgoE5ElNS0_10empty_typeEbEEZZNS1_14partition_implILS5_5ELb0ES3_mN6hipcub16HIPCUB_304000_NS21CountingInputIteratorIllEEPS6_NSA_22TransformInputIteratorIb7NonZeroIsEPslEENS0_5tupleIJPlS6_EEENSJ_IJSD_SD_EEES6_SK_JS6_EEE10hipError_tPvRmT3_T4_T5_T6_T7_T9_mT8_P12ihipStream_tbDpT10_ENKUlT_T0_E_clISt17integral_constantIbLb0EES16_EEDaS11_S12_EUlS11_E_NS1_11comp_targetILNS1_3genE9ELNS1_11target_archE1100ELNS1_3gpuE3ELNS1_3repE0EEENS1_30default_config_static_selectorELNS0_4arch9wavefront6targetE1EEEvT1_.uses_vcc, 0
	.set _ZN7rocprim17ROCPRIM_400000_NS6detail17trampoline_kernelINS0_14default_configENS1_25partition_config_selectorILNS1_17partition_subalgoE5ElNS0_10empty_typeEbEEZZNS1_14partition_implILS5_5ELb0ES3_mN6hipcub16HIPCUB_304000_NS21CountingInputIteratorIllEEPS6_NSA_22TransformInputIteratorIb7NonZeroIsEPslEENS0_5tupleIJPlS6_EEENSJ_IJSD_SD_EEES6_SK_JS6_EEE10hipError_tPvRmT3_T4_T5_T6_T7_T9_mT8_P12ihipStream_tbDpT10_ENKUlT_T0_E_clISt17integral_constantIbLb0EES16_EEDaS11_S12_EUlS11_E_NS1_11comp_targetILNS1_3genE9ELNS1_11target_archE1100ELNS1_3gpuE3ELNS1_3repE0EEENS1_30default_config_static_selectorELNS0_4arch9wavefront6targetE1EEEvT1_.uses_flat_scratch, 0
	.set _ZN7rocprim17ROCPRIM_400000_NS6detail17trampoline_kernelINS0_14default_configENS1_25partition_config_selectorILNS1_17partition_subalgoE5ElNS0_10empty_typeEbEEZZNS1_14partition_implILS5_5ELb0ES3_mN6hipcub16HIPCUB_304000_NS21CountingInputIteratorIllEEPS6_NSA_22TransformInputIteratorIb7NonZeroIsEPslEENS0_5tupleIJPlS6_EEENSJ_IJSD_SD_EEES6_SK_JS6_EEE10hipError_tPvRmT3_T4_T5_T6_T7_T9_mT8_P12ihipStream_tbDpT10_ENKUlT_T0_E_clISt17integral_constantIbLb0EES16_EEDaS11_S12_EUlS11_E_NS1_11comp_targetILNS1_3genE9ELNS1_11target_archE1100ELNS1_3gpuE3ELNS1_3repE0EEENS1_30default_config_static_selectorELNS0_4arch9wavefront6targetE1EEEvT1_.has_dyn_sized_stack, 0
	.set _ZN7rocprim17ROCPRIM_400000_NS6detail17trampoline_kernelINS0_14default_configENS1_25partition_config_selectorILNS1_17partition_subalgoE5ElNS0_10empty_typeEbEEZZNS1_14partition_implILS5_5ELb0ES3_mN6hipcub16HIPCUB_304000_NS21CountingInputIteratorIllEEPS6_NSA_22TransformInputIteratorIb7NonZeroIsEPslEENS0_5tupleIJPlS6_EEENSJ_IJSD_SD_EEES6_SK_JS6_EEE10hipError_tPvRmT3_T4_T5_T6_T7_T9_mT8_P12ihipStream_tbDpT10_ENKUlT_T0_E_clISt17integral_constantIbLb0EES16_EEDaS11_S12_EUlS11_E_NS1_11comp_targetILNS1_3genE9ELNS1_11target_archE1100ELNS1_3gpuE3ELNS1_3repE0EEENS1_30default_config_static_selectorELNS0_4arch9wavefront6targetE1EEEvT1_.has_recursion, 0
	.set _ZN7rocprim17ROCPRIM_400000_NS6detail17trampoline_kernelINS0_14default_configENS1_25partition_config_selectorILNS1_17partition_subalgoE5ElNS0_10empty_typeEbEEZZNS1_14partition_implILS5_5ELb0ES3_mN6hipcub16HIPCUB_304000_NS21CountingInputIteratorIllEEPS6_NSA_22TransformInputIteratorIb7NonZeroIsEPslEENS0_5tupleIJPlS6_EEENSJ_IJSD_SD_EEES6_SK_JS6_EEE10hipError_tPvRmT3_T4_T5_T6_T7_T9_mT8_P12ihipStream_tbDpT10_ENKUlT_T0_E_clISt17integral_constantIbLb0EES16_EEDaS11_S12_EUlS11_E_NS1_11comp_targetILNS1_3genE9ELNS1_11target_archE1100ELNS1_3gpuE3ELNS1_3repE0EEENS1_30default_config_static_selectorELNS0_4arch9wavefront6targetE1EEEvT1_.has_indirect_call, 0
	.section	.AMDGPU.csdata,"",@progbits
; Kernel info:
; codeLenInByte = 0
; TotalNumSgprs: 4
; NumVgprs: 0
; ScratchSize: 0
; MemoryBound: 0
; FloatMode: 240
; IeeeMode: 1
; LDSByteSize: 0 bytes/workgroup (compile time only)
; SGPRBlocks: 0
; VGPRBlocks: 0
; NumSGPRsForWavesPerEU: 4
; NumVGPRsForWavesPerEU: 1
; Occupancy: 10
; WaveLimiterHint : 0
; COMPUTE_PGM_RSRC2:SCRATCH_EN: 0
; COMPUTE_PGM_RSRC2:USER_SGPR: 6
; COMPUTE_PGM_RSRC2:TRAP_HANDLER: 0
; COMPUTE_PGM_RSRC2:TGID_X_EN: 1
; COMPUTE_PGM_RSRC2:TGID_Y_EN: 0
; COMPUTE_PGM_RSRC2:TGID_Z_EN: 0
; COMPUTE_PGM_RSRC2:TIDIG_COMP_CNT: 0
	.section	.text._ZN7rocprim17ROCPRIM_400000_NS6detail17trampoline_kernelINS0_14default_configENS1_25partition_config_selectorILNS1_17partition_subalgoE5ElNS0_10empty_typeEbEEZZNS1_14partition_implILS5_5ELb0ES3_mN6hipcub16HIPCUB_304000_NS21CountingInputIteratorIllEEPS6_NSA_22TransformInputIteratorIb7NonZeroIsEPslEENS0_5tupleIJPlS6_EEENSJ_IJSD_SD_EEES6_SK_JS6_EEE10hipError_tPvRmT3_T4_T5_T6_T7_T9_mT8_P12ihipStream_tbDpT10_ENKUlT_T0_E_clISt17integral_constantIbLb0EES16_EEDaS11_S12_EUlS11_E_NS1_11comp_targetILNS1_3genE8ELNS1_11target_archE1030ELNS1_3gpuE2ELNS1_3repE0EEENS1_30default_config_static_selectorELNS0_4arch9wavefront6targetE1EEEvT1_,"axG",@progbits,_ZN7rocprim17ROCPRIM_400000_NS6detail17trampoline_kernelINS0_14default_configENS1_25partition_config_selectorILNS1_17partition_subalgoE5ElNS0_10empty_typeEbEEZZNS1_14partition_implILS5_5ELb0ES3_mN6hipcub16HIPCUB_304000_NS21CountingInputIteratorIllEEPS6_NSA_22TransformInputIteratorIb7NonZeroIsEPslEENS0_5tupleIJPlS6_EEENSJ_IJSD_SD_EEES6_SK_JS6_EEE10hipError_tPvRmT3_T4_T5_T6_T7_T9_mT8_P12ihipStream_tbDpT10_ENKUlT_T0_E_clISt17integral_constantIbLb0EES16_EEDaS11_S12_EUlS11_E_NS1_11comp_targetILNS1_3genE8ELNS1_11target_archE1030ELNS1_3gpuE2ELNS1_3repE0EEENS1_30default_config_static_selectorELNS0_4arch9wavefront6targetE1EEEvT1_,comdat
	.protected	_ZN7rocprim17ROCPRIM_400000_NS6detail17trampoline_kernelINS0_14default_configENS1_25partition_config_selectorILNS1_17partition_subalgoE5ElNS0_10empty_typeEbEEZZNS1_14partition_implILS5_5ELb0ES3_mN6hipcub16HIPCUB_304000_NS21CountingInputIteratorIllEEPS6_NSA_22TransformInputIteratorIb7NonZeroIsEPslEENS0_5tupleIJPlS6_EEENSJ_IJSD_SD_EEES6_SK_JS6_EEE10hipError_tPvRmT3_T4_T5_T6_T7_T9_mT8_P12ihipStream_tbDpT10_ENKUlT_T0_E_clISt17integral_constantIbLb0EES16_EEDaS11_S12_EUlS11_E_NS1_11comp_targetILNS1_3genE8ELNS1_11target_archE1030ELNS1_3gpuE2ELNS1_3repE0EEENS1_30default_config_static_selectorELNS0_4arch9wavefront6targetE1EEEvT1_ ; -- Begin function _ZN7rocprim17ROCPRIM_400000_NS6detail17trampoline_kernelINS0_14default_configENS1_25partition_config_selectorILNS1_17partition_subalgoE5ElNS0_10empty_typeEbEEZZNS1_14partition_implILS5_5ELb0ES3_mN6hipcub16HIPCUB_304000_NS21CountingInputIteratorIllEEPS6_NSA_22TransformInputIteratorIb7NonZeroIsEPslEENS0_5tupleIJPlS6_EEENSJ_IJSD_SD_EEES6_SK_JS6_EEE10hipError_tPvRmT3_T4_T5_T6_T7_T9_mT8_P12ihipStream_tbDpT10_ENKUlT_T0_E_clISt17integral_constantIbLb0EES16_EEDaS11_S12_EUlS11_E_NS1_11comp_targetILNS1_3genE8ELNS1_11target_archE1030ELNS1_3gpuE2ELNS1_3repE0EEENS1_30default_config_static_selectorELNS0_4arch9wavefront6targetE1EEEvT1_
	.globl	_ZN7rocprim17ROCPRIM_400000_NS6detail17trampoline_kernelINS0_14default_configENS1_25partition_config_selectorILNS1_17partition_subalgoE5ElNS0_10empty_typeEbEEZZNS1_14partition_implILS5_5ELb0ES3_mN6hipcub16HIPCUB_304000_NS21CountingInputIteratorIllEEPS6_NSA_22TransformInputIteratorIb7NonZeroIsEPslEENS0_5tupleIJPlS6_EEENSJ_IJSD_SD_EEES6_SK_JS6_EEE10hipError_tPvRmT3_T4_T5_T6_T7_T9_mT8_P12ihipStream_tbDpT10_ENKUlT_T0_E_clISt17integral_constantIbLb0EES16_EEDaS11_S12_EUlS11_E_NS1_11comp_targetILNS1_3genE8ELNS1_11target_archE1030ELNS1_3gpuE2ELNS1_3repE0EEENS1_30default_config_static_selectorELNS0_4arch9wavefront6targetE1EEEvT1_
	.p2align	8
	.type	_ZN7rocprim17ROCPRIM_400000_NS6detail17trampoline_kernelINS0_14default_configENS1_25partition_config_selectorILNS1_17partition_subalgoE5ElNS0_10empty_typeEbEEZZNS1_14partition_implILS5_5ELb0ES3_mN6hipcub16HIPCUB_304000_NS21CountingInputIteratorIllEEPS6_NSA_22TransformInputIteratorIb7NonZeroIsEPslEENS0_5tupleIJPlS6_EEENSJ_IJSD_SD_EEES6_SK_JS6_EEE10hipError_tPvRmT3_T4_T5_T6_T7_T9_mT8_P12ihipStream_tbDpT10_ENKUlT_T0_E_clISt17integral_constantIbLb0EES16_EEDaS11_S12_EUlS11_E_NS1_11comp_targetILNS1_3genE8ELNS1_11target_archE1030ELNS1_3gpuE2ELNS1_3repE0EEENS1_30default_config_static_selectorELNS0_4arch9wavefront6targetE1EEEvT1_,@function
_ZN7rocprim17ROCPRIM_400000_NS6detail17trampoline_kernelINS0_14default_configENS1_25partition_config_selectorILNS1_17partition_subalgoE5ElNS0_10empty_typeEbEEZZNS1_14partition_implILS5_5ELb0ES3_mN6hipcub16HIPCUB_304000_NS21CountingInputIteratorIllEEPS6_NSA_22TransformInputIteratorIb7NonZeroIsEPslEENS0_5tupleIJPlS6_EEENSJ_IJSD_SD_EEES6_SK_JS6_EEE10hipError_tPvRmT3_T4_T5_T6_T7_T9_mT8_P12ihipStream_tbDpT10_ENKUlT_T0_E_clISt17integral_constantIbLb0EES16_EEDaS11_S12_EUlS11_E_NS1_11comp_targetILNS1_3genE8ELNS1_11target_archE1030ELNS1_3gpuE2ELNS1_3repE0EEENS1_30default_config_static_selectorELNS0_4arch9wavefront6targetE1EEEvT1_: ; @_ZN7rocprim17ROCPRIM_400000_NS6detail17trampoline_kernelINS0_14default_configENS1_25partition_config_selectorILNS1_17partition_subalgoE5ElNS0_10empty_typeEbEEZZNS1_14partition_implILS5_5ELb0ES3_mN6hipcub16HIPCUB_304000_NS21CountingInputIteratorIllEEPS6_NSA_22TransformInputIteratorIb7NonZeroIsEPslEENS0_5tupleIJPlS6_EEENSJ_IJSD_SD_EEES6_SK_JS6_EEE10hipError_tPvRmT3_T4_T5_T6_T7_T9_mT8_P12ihipStream_tbDpT10_ENKUlT_T0_E_clISt17integral_constantIbLb0EES16_EEDaS11_S12_EUlS11_E_NS1_11comp_targetILNS1_3genE8ELNS1_11target_archE1030ELNS1_3gpuE2ELNS1_3repE0EEENS1_30default_config_static_selectorELNS0_4arch9wavefront6targetE1EEEvT1_
; %bb.0:
	.section	.rodata,"a",@progbits
	.p2align	6, 0x0
	.amdhsa_kernel _ZN7rocprim17ROCPRIM_400000_NS6detail17trampoline_kernelINS0_14default_configENS1_25partition_config_selectorILNS1_17partition_subalgoE5ElNS0_10empty_typeEbEEZZNS1_14partition_implILS5_5ELb0ES3_mN6hipcub16HIPCUB_304000_NS21CountingInputIteratorIllEEPS6_NSA_22TransformInputIteratorIb7NonZeroIsEPslEENS0_5tupleIJPlS6_EEENSJ_IJSD_SD_EEES6_SK_JS6_EEE10hipError_tPvRmT3_T4_T5_T6_T7_T9_mT8_P12ihipStream_tbDpT10_ENKUlT_T0_E_clISt17integral_constantIbLb0EES16_EEDaS11_S12_EUlS11_E_NS1_11comp_targetILNS1_3genE8ELNS1_11target_archE1030ELNS1_3gpuE2ELNS1_3repE0EEENS1_30default_config_static_selectorELNS0_4arch9wavefront6targetE1EEEvT1_
		.amdhsa_group_segment_fixed_size 0
		.amdhsa_private_segment_fixed_size 0
		.amdhsa_kernarg_size 120
		.amdhsa_user_sgpr_count 6
		.amdhsa_user_sgpr_private_segment_buffer 1
		.amdhsa_user_sgpr_dispatch_ptr 0
		.amdhsa_user_sgpr_queue_ptr 0
		.amdhsa_user_sgpr_kernarg_segment_ptr 1
		.amdhsa_user_sgpr_dispatch_id 0
		.amdhsa_user_sgpr_flat_scratch_init 0
		.amdhsa_user_sgpr_private_segment_size 0
		.amdhsa_uses_dynamic_stack 0
		.amdhsa_system_sgpr_private_segment_wavefront_offset 0
		.amdhsa_system_sgpr_workgroup_id_x 1
		.amdhsa_system_sgpr_workgroup_id_y 0
		.amdhsa_system_sgpr_workgroup_id_z 0
		.amdhsa_system_sgpr_workgroup_info 0
		.amdhsa_system_vgpr_workitem_id 0
		.amdhsa_next_free_vgpr 1
		.amdhsa_next_free_sgpr 0
		.amdhsa_reserve_vcc 0
		.amdhsa_reserve_flat_scratch 0
		.amdhsa_float_round_mode_32 0
		.amdhsa_float_round_mode_16_64 0
		.amdhsa_float_denorm_mode_32 3
		.amdhsa_float_denorm_mode_16_64 3
		.amdhsa_dx10_clamp 1
		.amdhsa_ieee_mode 1
		.amdhsa_fp16_overflow 0
		.amdhsa_exception_fp_ieee_invalid_op 0
		.amdhsa_exception_fp_denorm_src 0
		.amdhsa_exception_fp_ieee_div_zero 0
		.amdhsa_exception_fp_ieee_overflow 0
		.amdhsa_exception_fp_ieee_underflow 0
		.amdhsa_exception_fp_ieee_inexact 0
		.amdhsa_exception_int_div_zero 0
	.end_amdhsa_kernel
	.section	.text._ZN7rocprim17ROCPRIM_400000_NS6detail17trampoline_kernelINS0_14default_configENS1_25partition_config_selectorILNS1_17partition_subalgoE5ElNS0_10empty_typeEbEEZZNS1_14partition_implILS5_5ELb0ES3_mN6hipcub16HIPCUB_304000_NS21CountingInputIteratorIllEEPS6_NSA_22TransformInputIteratorIb7NonZeroIsEPslEENS0_5tupleIJPlS6_EEENSJ_IJSD_SD_EEES6_SK_JS6_EEE10hipError_tPvRmT3_T4_T5_T6_T7_T9_mT8_P12ihipStream_tbDpT10_ENKUlT_T0_E_clISt17integral_constantIbLb0EES16_EEDaS11_S12_EUlS11_E_NS1_11comp_targetILNS1_3genE8ELNS1_11target_archE1030ELNS1_3gpuE2ELNS1_3repE0EEENS1_30default_config_static_selectorELNS0_4arch9wavefront6targetE1EEEvT1_,"axG",@progbits,_ZN7rocprim17ROCPRIM_400000_NS6detail17trampoline_kernelINS0_14default_configENS1_25partition_config_selectorILNS1_17partition_subalgoE5ElNS0_10empty_typeEbEEZZNS1_14partition_implILS5_5ELb0ES3_mN6hipcub16HIPCUB_304000_NS21CountingInputIteratorIllEEPS6_NSA_22TransformInputIteratorIb7NonZeroIsEPslEENS0_5tupleIJPlS6_EEENSJ_IJSD_SD_EEES6_SK_JS6_EEE10hipError_tPvRmT3_T4_T5_T6_T7_T9_mT8_P12ihipStream_tbDpT10_ENKUlT_T0_E_clISt17integral_constantIbLb0EES16_EEDaS11_S12_EUlS11_E_NS1_11comp_targetILNS1_3genE8ELNS1_11target_archE1030ELNS1_3gpuE2ELNS1_3repE0EEENS1_30default_config_static_selectorELNS0_4arch9wavefront6targetE1EEEvT1_,comdat
.Lfunc_end124:
	.size	_ZN7rocprim17ROCPRIM_400000_NS6detail17trampoline_kernelINS0_14default_configENS1_25partition_config_selectorILNS1_17partition_subalgoE5ElNS0_10empty_typeEbEEZZNS1_14partition_implILS5_5ELb0ES3_mN6hipcub16HIPCUB_304000_NS21CountingInputIteratorIllEEPS6_NSA_22TransformInputIteratorIb7NonZeroIsEPslEENS0_5tupleIJPlS6_EEENSJ_IJSD_SD_EEES6_SK_JS6_EEE10hipError_tPvRmT3_T4_T5_T6_T7_T9_mT8_P12ihipStream_tbDpT10_ENKUlT_T0_E_clISt17integral_constantIbLb0EES16_EEDaS11_S12_EUlS11_E_NS1_11comp_targetILNS1_3genE8ELNS1_11target_archE1030ELNS1_3gpuE2ELNS1_3repE0EEENS1_30default_config_static_selectorELNS0_4arch9wavefront6targetE1EEEvT1_, .Lfunc_end124-_ZN7rocprim17ROCPRIM_400000_NS6detail17trampoline_kernelINS0_14default_configENS1_25partition_config_selectorILNS1_17partition_subalgoE5ElNS0_10empty_typeEbEEZZNS1_14partition_implILS5_5ELb0ES3_mN6hipcub16HIPCUB_304000_NS21CountingInputIteratorIllEEPS6_NSA_22TransformInputIteratorIb7NonZeroIsEPslEENS0_5tupleIJPlS6_EEENSJ_IJSD_SD_EEES6_SK_JS6_EEE10hipError_tPvRmT3_T4_T5_T6_T7_T9_mT8_P12ihipStream_tbDpT10_ENKUlT_T0_E_clISt17integral_constantIbLb0EES16_EEDaS11_S12_EUlS11_E_NS1_11comp_targetILNS1_3genE8ELNS1_11target_archE1030ELNS1_3gpuE2ELNS1_3repE0EEENS1_30default_config_static_selectorELNS0_4arch9wavefront6targetE1EEEvT1_
                                        ; -- End function
	.set _ZN7rocprim17ROCPRIM_400000_NS6detail17trampoline_kernelINS0_14default_configENS1_25partition_config_selectorILNS1_17partition_subalgoE5ElNS0_10empty_typeEbEEZZNS1_14partition_implILS5_5ELb0ES3_mN6hipcub16HIPCUB_304000_NS21CountingInputIteratorIllEEPS6_NSA_22TransformInputIteratorIb7NonZeroIsEPslEENS0_5tupleIJPlS6_EEENSJ_IJSD_SD_EEES6_SK_JS6_EEE10hipError_tPvRmT3_T4_T5_T6_T7_T9_mT8_P12ihipStream_tbDpT10_ENKUlT_T0_E_clISt17integral_constantIbLb0EES16_EEDaS11_S12_EUlS11_E_NS1_11comp_targetILNS1_3genE8ELNS1_11target_archE1030ELNS1_3gpuE2ELNS1_3repE0EEENS1_30default_config_static_selectorELNS0_4arch9wavefront6targetE1EEEvT1_.num_vgpr, 0
	.set _ZN7rocprim17ROCPRIM_400000_NS6detail17trampoline_kernelINS0_14default_configENS1_25partition_config_selectorILNS1_17partition_subalgoE5ElNS0_10empty_typeEbEEZZNS1_14partition_implILS5_5ELb0ES3_mN6hipcub16HIPCUB_304000_NS21CountingInputIteratorIllEEPS6_NSA_22TransformInputIteratorIb7NonZeroIsEPslEENS0_5tupleIJPlS6_EEENSJ_IJSD_SD_EEES6_SK_JS6_EEE10hipError_tPvRmT3_T4_T5_T6_T7_T9_mT8_P12ihipStream_tbDpT10_ENKUlT_T0_E_clISt17integral_constantIbLb0EES16_EEDaS11_S12_EUlS11_E_NS1_11comp_targetILNS1_3genE8ELNS1_11target_archE1030ELNS1_3gpuE2ELNS1_3repE0EEENS1_30default_config_static_selectorELNS0_4arch9wavefront6targetE1EEEvT1_.num_agpr, 0
	.set _ZN7rocprim17ROCPRIM_400000_NS6detail17trampoline_kernelINS0_14default_configENS1_25partition_config_selectorILNS1_17partition_subalgoE5ElNS0_10empty_typeEbEEZZNS1_14partition_implILS5_5ELb0ES3_mN6hipcub16HIPCUB_304000_NS21CountingInputIteratorIllEEPS6_NSA_22TransformInputIteratorIb7NonZeroIsEPslEENS0_5tupleIJPlS6_EEENSJ_IJSD_SD_EEES6_SK_JS6_EEE10hipError_tPvRmT3_T4_T5_T6_T7_T9_mT8_P12ihipStream_tbDpT10_ENKUlT_T0_E_clISt17integral_constantIbLb0EES16_EEDaS11_S12_EUlS11_E_NS1_11comp_targetILNS1_3genE8ELNS1_11target_archE1030ELNS1_3gpuE2ELNS1_3repE0EEENS1_30default_config_static_selectorELNS0_4arch9wavefront6targetE1EEEvT1_.numbered_sgpr, 0
	.set _ZN7rocprim17ROCPRIM_400000_NS6detail17trampoline_kernelINS0_14default_configENS1_25partition_config_selectorILNS1_17partition_subalgoE5ElNS0_10empty_typeEbEEZZNS1_14partition_implILS5_5ELb0ES3_mN6hipcub16HIPCUB_304000_NS21CountingInputIteratorIllEEPS6_NSA_22TransformInputIteratorIb7NonZeroIsEPslEENS0_5tupleIJPlS6_EEENSJ_IJSD_SD_EEES6_SK_JS6_EEE10hipError_tPvRmT3_T4_T5_T6_T7_T9_mT8_P12ihipStream_tbDpT10_ENKUlT_T0_E_clISt17integral_constantIbLb0EES16_EEDaS11_S12_EUlS11_E_NS1_11comp_targetILNS1_3genE8ELNS1_11target_archE1030ELNS1_3gpuE2ELNS1_3repE0EEENS1_30default_config_static_selectorELNS0_4arch9wavefront6targetE1EEEvT1_.num_named_barrier, 0
	.set _ZN7rocprim17ROCPRIM_400000_NS6detail17trampoline_kernelINS0_14default_configENS1_25partition_config_selectorILNS1_17partition_subalgoE5ElNS0_10empty_typeEbEEZZNS1_14partition_implILS5_5ELb0ES3_mN6hipcub16HIPCUB_304000_NS21CountingInputIteratorIllEEPS6_NSA_22TransformInputIteratorIb7NonZeroIsEPslEENS0_5tupleIJPlS6_EEENSJ_IJSD_SD_EEES6_SK_JS6_EEE10hipError_tPvRmT3_T4_T5_T6_T7_T9_mT8_P12ihipStream_tbDpT10_ENKUlT_T0_E_clISt17integral_constantIbLb0EES16_EEDaS11_S12_EUlS11_E_NS1_11comp_targetILNS1_3genE8ELNS1_11target_archE1030ELNS1_3gpuE2ELNS1_3repE0EEENS1_30default_config_static_selectorELNS0_4arch9wavefront6targetE1EEEvT1_.private_seg_size, 0
	.set _ZN7rocprim17ROCPRIM_400000_NS6detail17trampoline_kernelINS0_14default_configENS1_25partition_config_selectorILNS1_17partition_subalgoE5ElNS0_10empty_typeEbEEZZNS1_14partition_implILS5_5ELb0ES3_mN6hipcub16HIPCUB_304000_NS21CountingInputIteratorIllEEPS6_NSA_22TransformInputIteratorIb7NonZeroIsEPslEENS0_5tupleIJPlS6_EEENSJ_IJSD_SD_EEES6_SK_JS6_EEE10hipError_tPvRmT3_T4_T5_T6_T7_T9_mT8_P12ihipStream_tbDpT10_ENKUlT_T0_E_clISt17integral_constantIbLb0EES16_EEDaS11_S12_EUlS11_E_NS1_11comp_targetILNS1_3genE8ELNS1_11target_archE1030ELNS1_3gpuE2ELNS1_3repE0EEENS1_30default_config_static_selectorELNS0_4arch9wavefront6targetE1EEEvT1_.uses_vcc, 0
	.set _ZN7rocprim17ROCPRIM_400000_NS6detail17trampoline_kernelINS0_14default_configENS1_25partition_config_selectorILNS1_17partition_subalgoE5ElNS0_10empty_typeEbEEZZNS1_14partition_implILS5_5ELb0ES3_mN6hipcub16HIPCUB_304000_NS21CountingInputIteratorIllEEPS6_NSA_22TransformInputIteratorIb7NonZeroIsEPslEENS0_5tupleIJPlS6_EEENSJ_IJSD_SD_EEES6_SK_JS6_EEE10hipError_tPvRmT3_T4_T5_T6_T7_T9_mT8_P12ihipStream_tbDpT10_ENKUlT_T0_E_clISt17integral_constantIbLb0EES16_EEDaS11_S12_EUlS11_E_NS1_11comp_targetILNS1_3genE8ELNS1_11target_archE1030ELNS1_3gpuE2ELNS1_3repE0EEENS1_30default_config_static_selectorELNS0_4arch9wavefront6targetE1EEEvT1_.uses_flat_scratch, 0
	.set _ZN7rocprim17ROCPRIM_400000_NS6detail17trampoline_kernelINS0_14default_configENS1_25partition_config_selectorILNS1_17partition_subalgoE5ElNS0_10empty_typeEbEEZZNS1_14partition_implILS5_5ELb0ES3_mN6hipcub16HIPCUB_304000_NS21CountingInputIteratorIllEEPS6_NSA_22TransformInputIteratorIb7NonZeroIsEPslEENS0_5tupleIJPlS6_EEENSJ_IJSD_SD_EEES6_SK_JS6_EEE10hipError_tPvRmT3_T4_T5_T6_T7_T9_mT8_P12ihipStream_tbDpT10_ENKUlT_T0_E_clISt17integral_constantIbLb0EES16_EEDaS11_S12_EUlS11_E_NS1_11comp_targetILNS1_3genE8ELNS1_11target_archE1030ELNS1_3gpuE2ELNS1_3repE0EEENS1_30default_config_static_selectorELNS0_4arch9wavefront6targetE1EEEvT1_.has_dyn_sized_stack, 0
	.set _ZN7rocprim17ROCPRIM_400000_NS6detail17trampoline_kernelINS0_14default_configENS1_25partition_config_selectorILNS1_17partition_subalgoE5ElNS0_10empty_typeEbEEZZNS1_14partition_implILS5_5ELb0ES3_mN6hipcub16HIPCUB_304000_NS21CountingInputIteratorIllEEPS6_NSA_22TransformInputIteratorIb7NonZeroIsEPslEENS0_5tupleIJPlS6_EEENSJ_IJSD_SD_EEES6_SK_JS6_EEE10hipError_tPvRmT3_T4_T5_T6_T7_T9_mT8_P12ihipStream_tbDpT10_ENKUlT_T0_E_clISt17integral_constantIbLb0EES16_EEDaS11_S12_EUlS11_E_NS1_11comp_targetILNS1_3genE8ELNS1_11target_archE1030ELNS1_3gpuE2ELNS1_3repE0EEENS1_30default_config_static_selectorELNS0_4arch9wavefront6targetE1EEEvT1_.has_recursion, 0
	.set _ZN7rocprim17ROCPRIM_400000_NS6detail17trampoline_kernelINS0_14default_configENS1_25partition_config_selectorILNS1_17partition_subalgoE5ElNS0_10empty_typeEbEEZZNS1_14partition_implILS5_5ELb0ES3_mN6hipcub16HIPCUB_304000_NS21CountingInputIteratorIllEEPS6_NSA_22TransformInputIteratorIb7NonZeroIsEPslEENS0_5tupleIJPlS6_EEENSJ_IJSD_SD_EEES6_SK_JS6_EEE10hipError_tPvRmT3_T4_T5_T6_T7_T9_mT8_P12ihipStream_tbDpT10_ENKUlT_T0_E_clISt17integral_constantIbLb0EES16_EEDaS11_S12_EUlS11_E_NS1_11comp_targetILNS1_3genE8ELNS1_11target_archE1030ELNS1_3gpuE2ELNS1_3repE0EEENS1_30default_config_static_selectorELNS0_4arch9wavefront6targetE1EEEvT1_.has_indirect_call, 0
	.section	.AMDGPU.csdata,"",@progbits
; Kernel info:
; codeLenInByte = 0
; TotalNumSgprs: 4
; NumVgprs: 0
; ScratchSize: 0
; MemoryBound: 0
; FloatMode: 240
; IeeeMode: 1
; LDSByteSize: 0 bytes/workgroup (compile time only)
; SGPRBlocks: 0
; VGPRBlocks: 0
; NumSGPRsForWavesPerEU: 4
; NumVGPRsForWavesPerEU: 1
; Occupancy: 10
; WaveLimiterHint : 0
; COMPUTE_PGM_RSRC2:SCRATCH_EN: 0
; COMPUTE_PGM_RSRC2:USER_SGPR: 6
; COMPUTE_PGM_RSRC2:TRAP_HANDLER: 0
; COMPUTE_PGM_RSRC2:TGID_X_EN: 1
; COMPUTE_PGM_RSRC2:TGID_Y_EN: 0
; COMPUTE_PGM_RSRC2:TGID_Z_EN: 0
; COMPUTE_PGM_RSRC2:TIDIG_COMP_CNT: 0
	.section	.text._ZN7rocprim17ROCPRIM_400000_NS6detail17trampoline_kernelINS0_14default_configENS1_25partition_config_selectorILNS1_17partition_subalgoE5ElNS0_10empty_typeEbEEZZNS1_14partition_implILS5_5ELb0ES3_mN6hipcub16HIPCUB_304000_NS21CountingInputIteratorIllEEPS6_NSA_22TransformInputIteratorIb7NonZeroIsEPslEENS0_5tupleIJPlS6_EEENSJ_IJSD_SD_EEES6_SK_JS6_EEE10hipError_tPvRmT3_T4_T5_T6_T7_T9_mT8_P12ihipStream_tbDpT10_ENKUlT_T0_E_clISt17integral_constantIbLb1EES16_EEDaS11_S12_EUlS11_E_NS1_11comp_targetILNS1_3genE0ELNS1_11target_archE4294967295ELNS1_3gpuE0ELNS1_3repE0EEENS1_30default_config_static_selectorELNS0_4arch9wavefront6targetE1EEEvT1_,"axG",@progbits,_ZN7rocprim17ROCPRIM_400000_NS6detail17trampoline_kernelINS0_14default_configENS1_25partition_config_selectorILNS1_17partition_subalgoE5ElNS0_10empty_typeEbEEZZNS1_14partition_implILS5_5ELb0ES3_mN6hipcub16HIPCUB_304000_NS21CountingInputIteratorIllEEPS6_NSA_22TransformInputIteratorIb7NonZeroIsEPslEENS0_5tupleIJPlS6_EEENSJ_IJSD_SD_EEES6_SK_JS6_EEE10hipError_tPvRmT3_T4_T5_T6_T7_T9_mT8_P12ihipStream_tbDpT10_ENKUlT_T0_E_clISt17integral_constantIbLb1EES16_EEDaS11_S12_EUlS11_E_NS1_11comp_targetILNS1_3genE0ELNS1_11target_archE4294967295ELNS1_3gpuE0ELNS1_3repE0EEENS1_30default_config_static_selectorELNS0_4arch9wavefront6targetE1EEEvT1_,comdat
	.protected	_ZN7rocprim17ROCPRIM_400000_NS6detail17trampoline_kernelINS0_14default_configENS1_25partition_config_selectorILNS1_17partition_subalgoE5ElNS0_10empty_typeEbEEZZNS1_14partition_implILS5_5ELb0ES3_mN6hipcub16HIPCUB_304000_NS21CountingInputIteratorIllEEPS6_NSA_22TransformInputIteratorIb7NonZeroIsEPslEENS0_5tupleIJPlS6_EEENSJ_IJSD_SD_EEES6_SK_JS6_EEE10hipError_tPvRmT3_T4_T5_T6_T7_T9_mT8_P12ihipStream_tbDpT10_ENKUlT_T0_E_clISt17integral_constantIbLb1EES16_EEDaS11_S12_EUlS11_E_NS1_11comp_targetILNS1_3genE0ELNS1_11target_archE4294967295ELNS1_3gpuE0ELNS1_3repE0EEENS1_30default_config_static_selectorELNS0_4arch9wavefront6targetE1EEEvT1_ ; -- Begin function _ZN7rocprim17ROCPRIM_400000_NS6detail17trampoline_kernelINS0_14default_configENS1_25partition_config_selectorILNS1_17partition_subalgoE5ElNS0_10empty_typeEbEEZZNS1_14partition_implILS5_5ELb0ES3_mN6hipcub16HIPCUB_304000_NS21CountingInputIteratorIllEEPS6_NSA_22TransformInputIteratorIb7NonZeroIsEPslEENS0_5tupleIJPlS6_EEENSJ_IJSD_SD_EEES6_SK_JS6_EEE10hipError_tPvRmT3_T4_T5_T6_T7_T9_mT8_P12ihipStream_tbDpT10_ENKUlT_T0_E_clISt17integral_constantIbLb1EES16_EEDaS11_S12_EUlS11_E_NS1_11comp_targetILNS1_3genE0ELNS1_11target_archE4294967295ELNS1_3gpuE0ELNS1_3repE0EEENS1_30default_config_static_selectorELNS0_4arch9wavefront6targetE1EEEvT1_
	.globl	_ZN7rocprim17ROCPRIM_400000_NS6detail17trampoline_kernelINS0_14default_configENS1_25partition_config_selectorILNS1_17partition_subalgoE5ElNS0_10empty_typeEbEEZZNS1_14partition_implILS5_5ELb0ES3_mN6hipcub16HIPCUB_304000_NS21CountingInputIteratorIllEEPS6_NSA_22TransformInputIteratorIb7NonZeroIsEPslEENS0_5tupleIJPlS6_EEENSJ_IJSD_SD_EEES6_SK_JS6_EEE10hipError_tPvRmT3_T4_T5_T6_T7_T9_mT8_P12ihipStream_tbDpT10_ENKUlT_T0_E_clISt17integral_constantIbLb1EES16_EEDaS11_S12_EUlS11_E_NS1_11comp_targetILNS1_3genE0ELNS1_11target_archE4294967295ELNS1_3gpuE0ELNS1_3repE0EEENS1_30default_config_static_selectorELNS0_4arch9wavefront6targetE1EEEvT1_
	.p2align	8
	.type	_ZN7rocprim17ROCPRIM_400000_NS6detail17trampoline_kernelINS0_14default_configENS1_25partition_config_selectorILNS1_17partition_subalgoE5ElNS0_10empty_typeEbEEZZNS1_14partition_implILS5_5ELb0ES3_mN6hipcub16HIPCUB_304000_NS21CountingInputIteratorIllEEPS6_NSA_22TransformInputIteratorIb7NonZeroIsEPslEENS0_5tupleIJPlS6_EEENSJ_IJSD_SD_EEES6_SK_JS6_EEE10hipError_tPvRmT3_T4_T5_T6_T7_T9_mT8_P12ihipStream_tbDpT10_ENKUlT_T0_E_clISt17integral_constantIbLb1EES16_EEDaS11_S12_EUlS11_E_NS1_11comp_targetILNS1_3genE0ELNS1_11target_archE4294967295ELNS1_3gpuE0ELNS1_3repE0EEENS1_30default_config_static_selectorELNS0_4arch9wavefront6targetE1EEEvT1_,@function
_ZN7rocprim17ROCPRIM_400000_NS6detail17trampoline_kernelINS0_14default_configENS1_25partition_config_selectorILNS1_17partition_subalgoE5ElNS0_10empty_typeEbEEZZNS1_14partition_implILS5_5ELb0ES3_mN6hipcub16HIPCUB_304000_NS21CountingInputIteratorIllEEPS6_NSA_22TransformInputIteratorIb7NonZeroIsEPslEENS0_5tupleIJPlS6_EEENSJ_IJSD_SD_EEES6_SK_JS6_EEE10hipError_tPvRmT3_T4_T5_T6_T7_T9_mT8_P12ihipStream_tbDpT10_ENKUlT_T0_E_clISt17integral_constantIbLb1EES16_EEDaS11_S12_EUlS11_E_NS1_11comp_targetILNS1_3genE0ELNS1_11target_archE4294967295ELNS1_3gpuE0ELNS1_3repE0EEENS1_30default_config_static_selectorELNS0_4arch9wavefront6targetE1EEEvT1_: ; @_ZN7rocprim17ROCPRIM_400000_NS6detail17trampoline_kernelINS0_14default_configENS1_25partition_config_selectorILNS1_17partition_subalgoE5ElNS0_10empty_typeEbEEZZNS1_14partition_implILS5_5ELb0ES3_mN6hipcub16HIPCUB_304000_NS21CountingInputIteratorIllEEPS6_NSA_22TransformInputIteratorIb7NonZeroIsEPslEENS0_5tupleIJPlS6_EEENSJ_IJSD_SD_EEES6_SK_JS6_EEE10hipError_tPvRmT3_T4_T5_T6_T7_T9_mT8_P12ihipStream_tbDpT10_ENKUlT_T0_E_clISt17integral_constantIbLb1EES16_EEDaS11_S12_EUlS11_E_NS1_11comp_targetILNS1_3genE0ELNS1_11target_archE4294967295ELNS1_3gpuE0ELNS1_3repE0EEENS1_30default_config_static_selectorELNS0_4arch9wavefront6targetE1EEEvT1_
; %bb.0:
	.section	.rodata,"a",@progbits
	.p2align	6, 0x0
	.amdhsa_kernel _ZN7rocprim17ROCPRIM_400000_NS6detail17trampoline_kernelINS0_14default_configENS1_25partition_config_selectorILNS1_17partition_subalgoE5ElNS0_10empty_typeEbEEZZNS1_14partition_implILS5_5ELb0ES3_mN6hipcub16HIPCUB_304000_NS21CountingInputIteratorIllEEPS6_NSA_22TransformInputIteratorIb7NonZeroIsEPslEENS0_5tupleIJPlS6_EEENSJ_IJSD_SD_EEES6_SK_JS6_EEE10hipError_tPvRmT3_T4_T5_T6_T7_T9_mT8_P12ihipStream_tbDpT10_ENKUlT_T0_E_clISt17integral_constantIbLb1EES16_EEDaS11_S12_EUlS11_E_NS1_11comp_targetILNS1_3genE0ELNS1_11target_archE4294967295ELNS1_3gpuE0ELNS1_3repE0EEENS1_30default_config_static_selectorELNS0_4arch9wavefront6targetE1EEEvT1_
		.amdhsa_group_segment_fixed_size 0
		.amdhsa_private_segment_fixed_size 0
		.amdhsa_kernarg_size 136
		.amdhsa_user_sgpr_count 6
		.amdhsa_user_sgpr_private_segment_buffer 1
		.amdhsa_user_sgpr_dispatch_ptr 0
		.amdhsa_user_sgpr_queue_ptr 0
		.amdhsa_user_sgpr_kernarg_segment_ptr 1
		.amdhsa_user_sgpr_dispatch_id 0
		.amdhsa_user_sgpr_flat_scratch_init 0
		.amdhsa_user_sgpr_private_segment_size 0
		.amdhsa_uses_dynamic_stack 0
		.amdhsa_system_sgpr_private_segment_wavefront_offset 0
		.amdhsa_system_sgpr_workgroup_id_x 1
		.amdhsa_system_sgpr_workgroup_id_y 0
		.amdhsa_system_sgpr_workgroup_id_z 0
		.amdhsa_system_sgpr_workgroup_info 0
		.amdhsa_system_vgpr_workitem_id 0
		.amdhsa_next_free_vgpr 1
		.amdhsa_next_free_sgpr 0
		.amdhsa_reserve_vcc 0
		.amdhsa_reserve_flat_scratch 0
		.amdhsa_float_round_mode_32 0
		.amdhsa_float_round_mode_16_64 0
		.amdhsa_float_denorm_mode_32 3
		.amdhsa_float_denorm_mode_16_64 3
		.amdhsa_dx10_clamp 1
		.amdhsa_ieee_mode 1
		.amdhsa_fp16_overflow 0
		.amdhsa_exception_fp_ieee_invalid_op 0
		.amdhsa_exception_fp_denorm_src 0
		.amdhsa_exception_fp_ieee_div_zero 0
		.amdhsa_exception_fp_ieee_overflow 0
		.amdhsa_exception_fp_ieee_underflow 0
		.amdhsa_exception_fp_ieee_inexact 0
		.amdhsa_exception_int_div_zero 0
	.end_amdhsa_kernel
	.section	.text._ZN7rocprim17ROCPRIM_400000_NS6detail17trampoline_kernelINS0_14default_configENS1_25partition_config_selectorILNS1_17partition_subalgoE5ElNS0_10empty_typeEbEEZZNS1_14partition_implILS5_5ELb0ES3_mN6hipcub16HIPCUB_304000_NS21CountingInputIteratorIllEEPS6_NSA_22TransformInputIteratorIb7NonZeroIsEPslEENS0_5tupleIJPlS6_EEENSJ_IJSD_SD_EEES6_SK_JS6_EEE10hipError_tPvRmT3_T4_T5_T6_T7_T9_mT8_P12ihipStream_tbDpT10_ENKUlT_T0_E_clISt17integral_constantIbLb1EES16_EEDaS11_S12_EUlS11_E_NS1_11comp_targetILNS1_3genE0ELNS1_11target_archE4294967295ELNS1_3gpuE0ELNS1_3repE0EEENS1_30default_config_static_selectorELNS0_4arch9wavefront6targetE1EEEvT1_,"axG",@progbits,_ZN7rocprim17ROCPRIM_400000_NS6detail17trampoline_kernelINS0_14default_configENS1_25partition_config_selectorILNS1_17partition_subalgoE5ElNS0_10empty_typeEbEEZZNS1_14partition_implILS5_5ELb0ES3_mN6hipcub16HIPCUB_304000_NS21CountingInputIteratorIllEEPS6_NSA_22TransformInputIteratorIb7NonZeroIsEPslEENS0_5tupleIJPlS6_EEENSJ_IJSD_SD_EEES6_SK_JS6_EEE10hipError_tPvRmT3_T4_T5_T6_T7_T9_mT8_P12ihipStream_tbDpT10_ENKUlT_T0_E_clISt17integral_constantIbLb1EES16_EEDaS11_S12_EUlS11_E_NS1_11comp_targetILNS1_3genE0ELNS1_11target_archE4294967295ELNS1_3gpuE0ELNS1_3repE0EEENS1_30default_config_static_selectorELNS0_4arch9wavefront6targetE1EEEvT1_,comdat
.Lfunc_end125:
	.size	_ZN7rocprim17ROCPRIM_400000_NS6detail17trampoline_kernelINS0_14default_configENS1_25partition_config_selectorILNS1_17partition_subalgoE5ElNS0_10empty_typeEbEEZZNS1_14partition_implILS5_5ELb0ES3_mN6hipcub16HIPCUB_304000_NS21CountingInputIteratorIllEEPS6_NSA_22TransformInputIteratorIb7NonZeroIsEPslEENS0_5tupleIJPlS6_EEENSJ_IJSD_SD_EEES6_SK_JS6_EEE10hipError_tPvRmT3_T4_T5_T6_T7_T9_mT8_P12ihipStream_tbDpT10_ENKUlT_T0_E_clISt17integral_constantIbLb1EES16_EEDaS11_S12_EUlS11_E_NS1_11comp_targetILNS1_3genE0ELNS1_11target_archE4294967295ELNS1_3gpuE0ELNS1_3repE0EEENS1_30default_config_static_selectorELNS0_4arch9wavefront6targetE1EEEvT1_, .Lfunc_end125-_ZN7rocprim17ROCPRIM_400000_NS6detail17trampoline_kernelINS0_14default_configENS1_25partition_config_selectorILNS1_17partition_subalgoE5ElNS0_10empty_typeEbEEZZNS1_14partition_implILS5_5ELb0ES3_mN6hipcub16HIPCUB_304000_NS21CountingInputIteratorIllEEPS6_NSA_22TransformInputIteratorIb7NonZeroIsEPslEENS0_5tupleIJPlS6_EEENSJ_IJSD_SD_EEES6_SK_JS6_EEE10hipError_tPvRmT3_T4_T5_T6_T7_T9_mT8_P12ihipStream_tbDpT10_ENKUlT_T0_E_clISt17integral_constantIbLb1EES16_EEDaS11_S12_EUlS11_E_NS1_11comp_targetILNS1_3genE0ELNS1_11target_archE4294967295ELNS1_3gpuE0ELNS1_3repE0EEENS1_30default_config_static_selectorELNS0_4arch9wavefront6targetE1EEEvT1_
                                        ; -- End function
	.set _ZN7rocprim17ROCPRIM_400000_NS6detail17trampoline_kernelINS0_14default_configENS1_25partition_config_selectorILNS1_17partition_subalgoE5ElNS0_10empty_typeEbEEZZNS1_14partition_implILS5_5ELb0ES3_mN6hipcub16HIPCUB_304000_NS21CountingInputIteratorIllEEPS6_NSA_22TransformInputIteratorIb7NonZeroIsEPslEENS0_5tupleIJPlS6_EEENSJ_IJSD_SD_EEES6_SK_JS6_EEE10hipError_tPvRmT3_T4_T5_T6_T7_T9_mT8_P12ihipStream_tbDpT10_ENKUlT_T0_E_clISt17integral_constantIbLb1EES16_EEDaS11_S12_EUlS11_E_NS1_11comp_targetILNS1_3genE0ELNS1_11target_archE4294967295ELNS1_3gpuE0ELNS1_3repE0EEENS1_30default_config_static_selectorELNS0_4arch9wavefront6targetE1EEEvT1_.num_vgpr, 0
	.set _ZN7rocprim17ROCPRIM_400000_NS6detail17trampoline_kernelINS0_14default_configENS1_25partition_config_selectorILNS1_17partition_subalgoE5ElNS0_10empty_typeEbEEZZNS1_14partition_implILS5_5ELb0ES3_mN6hipcub16HIPCUB_304000_NS21CountingInputIteratorIllEEPS6_NSA_22TransformInputIteratorIb7NonZeroIsEPslEENS0_5tupleIJPlS6_EEENSJ_IJSD_SD_EEES6_SK_JS6_EEE10hipError_tPvRmT3_T4_T5_T6_T7_T9_mT8_P12ihipStream_tbDpT10_ENKUlT_T0_E_clISt17integral_constantIbLb1EES16_EEDaS11_S12_EUlS11_E_NS1_11comp_targetILNS1_3genE0ELNS1_11target_archE4294967295ELNS1_3gpuE0ELNS1_3repE0EEENS1_30default_config_static_selectorELNS0_4arch9wavefront6targetE1EEEvT1_.num_agpr, 0
	.set _ZN7rocprim17ROCPRIM_400000_NS6detail17trampoline_kernelINS0_14default_configENS1_25partition_config_selectorILNS1_17partition_subalgoE5ElNS0_10empty_typeEbEEZZNS1_14partition_implILS5_5ELb0ES3_mN6hipcub16HIPCUB_304000_NS21CountingInputIteratorIllEEPS6_NSA_22TransformInputIteratorIb7NonZeroIsEPslEENS0_5tupleIJPlS6_EEENSJ_IJSD_SD_EEES6_SK_JS6_EEE10hipError_tPvRmT3_T4_T5_T6_T7_T9_mT8_P12ihipStream_tbDpT10_ENKUlT_T0_E_clISt17integral_constantIbLb1EES16_EEDaS11_S12_EUlS11_E_NS1_11comp_targetILNS1_3genE0ELNS1_11target_archE4294967295ELNS1_3gpuE0ELNS1_3repE0EEENS1_30default_config_static_selectorELNS0_4arch9wavefront6targetE1EEEvT1_.numbered_sgpr, 0
	.set _ZN7rocprim17ROCPRIM_400000_NS6detail17trampoline_kernelINS0_14default_configENS1_25partition_config_selectorILNS1_17partition_subalgoE5ElNS0_10empty_typeEbEEZZNS1_14partition_implILS5_5ELb0ES3_mN6hipcub16HIPCUB_304000_NS21CountingInputIteratorIllEEPS6_NSA_22TransformInputIteratorIb7NonZeroIsEPslEENS0_5tupleIJPlS6_EEENSJ_IJSD_SD_EEES6_SK_JS6_EEE10hipError_tPvRmT3_T4_T5_T6_T7_T9_mT8_P12ihipStream_tbDpT10_ENKUlT_T0_E_clISt17integral_constantIbLb1EES16_EEDaS11_S12_EUlS11_E_NS1_11comp_targetILNS1_3genE0ELNS1_11target_archE4294967295ELNS1_3gpuE0ELNS1_3repE0EEENS1_30default_config_static_selectorELNS0_4arch9wavefront6targetE1EEEvT1_.num_named_barrier, 0
	.set _ZN7rocprim17ROCPRIM_400000_NS6detail17trampoline_kernelINS0_14default_configENS1_25partition_config_selectorILNS1_17partition_subalgoE5ElNS0_10empty_typeEbEEZZNS1_14partition_implILS5_5ELb0ES3_mN6hipcub16HIPCUB_304000_NS21CountingInputIteratorIllEEPS6_NSA_22TransformInputIteratorIb7NonZeroIsEPslEENS0_5tupleIJPlS6_EEENSJ_IJSD_SD_EEES6_SK_JS6_EEE10hipError_tPvRmT3_T4_T5_T6_T7_T9_mT8_P12ihipStream_tbDpT10_ENKUlT_T0_E_clISt17integral_constantIbLb1EES16_EEDaS11_S12_EUlS11_E_NS1_11comp_targetILNS1_3genE0ELNS1_11target_archE4294967295ELNS1_3gpuE0ELNS1_3repE0EEENS1_30default_config_static_selectorELNS0_4arch9wavefront6targetE1EEEvT1_.private_seg_size, 0
	.set _ZN7rocprim17ROCPRIM_400000_NS6detail17trampoline_kernelINS0_14default_configENS1_25partition_config_selectorILNS1_17partition_subalgoE5ElNS0_10empty_typeEbEEZZNS1_14partition_implILS5_5ELb0ES3_mN6hipcub16HIPCUB_304000_NS21CountingInputIteratorIllEEPS6_NSA_22TransformInputIteratorIb7NonZeroIsEPslEENS0_5tupleIJPlS6_EEENSJ_IJSD_SD_EEES6_SK_JS6_EEE10hipError_tPvRmT3_T4_T5_T6_T7_T9_mT8_P12ihipStream_tbDpT10_ENKUlT_T0_E_clISt17integral_constantIbLb1EES16_EEDaS11_S12_EUlS11_E_NS1_11comp_targetILNS1_3genE0ELNS1_11target_archE4294967295ELNS1_3gpuE0ELNS1_3repE0EEENS1_30default_config_static_selectorELNS0_4arch9wavefront6targetE1EEEvT1_.uses_vcc, 0
	.set _ZN7rocprim17ROCPRIM_400000_NS6detail17trampoline_kernelINS0_14default_configENS1_25partition_config_selectorILNS1_17partition_subalgoE5ElNS0_10empty_typeEbEEZZNS1_14partition_implILS5_5ELb0ES3_mN6hipcub16HIPCUB_304000_NS21CountingInputIteratorIllEEPS6_NSA_22TransformInputIteratorIb7NonZeroIsEPslEENS0_5tupleIJPlS6_EEENSJ_IJSD_SD_EEES6_SK_JS6_EEE10hipError_tPvRmT3_T4_T5_T6_T7_T9_mT8_P12ihipStream_tbDpT10_ENKUlT_T0_E_clISt17integral_constantIbLb1EES16_EEDaS11_S12_EUlS11_E_NS1_11comp_targetILNS1_3genE0ELNS1_11target_archE4294967295ELNS1_3gpuE0ELNS1_3repE0EEENS1_30default_config_static_selectorELNS0_4arch9wavefront6targetE1EEEvT1_.uses_flat_scratch, 0
	.set _ZN7rocprim17ROCPRIM_400000_NS6detail17trampoline_kernelINS0_14default_configENS1_25partition_config_selectorILNS1_17partition_subalgoE5ElNS0_10empty_typeEbEEZZNS1_14partition_implILS5_5ELb0ES3_mN6hipcub16HIPCUB_304000_NS21CountingInputIteratorIllEEPS6_NSA_22TransformInputIteratorIb7NonZeroIsEPslEENS0_5tupleIJPlS6_EEENSJ_IJSD_SD_EEES6_SK_JS6_EEE10hipError_tPvRmT3_T4_T5_T6_T7_T9_mT8_P12ihipStream_tbDpT10_ENKUlT_T0_E_clISt17integral_constantIbLb1EES16_EEDaS11_S12_EUlS11_E_NS1_11comp_targetILNS1_3genE0ELNS1_11target_archE4294967295ELNS1_3gpuE0ELNS1_3repE0EEENS1_30default_config_static_selectorELNS0_4arch9wavefront6targetE1EEEvT1_.has_dyn_sized_stack, 0
	.set _ZN7rocprim17ROCPRIM_400000_NS6detail17trampoline_kernelINS0_14default_configENS1_25partition_config_selectorILNS1_17partition_subalgoE5ElNS0_10empty_typeEbEEZZNS1_14partition_implILS5_5ELb0ES3_mN6hipcub16HIPCUB_304000_NS21CountingInputIteratorIllEEPS6_NSA_22TransformInputIteratorIb7NonZeroIsEPslEENS0_5tupleIJPlS6_EEENSJ_IJSD_SD_EEES6_SK_JS6_EEE10hipError_tPvRmT3_T4_T5_T6_T7_T9_mT8_P12ihipStream_tbDpT10_ENKUlT_T0_E_clISt17integral_constantIbLb1EES16_EEDaS11_S12_EUlS11_E_NS1_11comp_targetILNS1_3genE0ELNS1_11target_archE4294967295ELNS1_3gpuE0ELNS1_3repE0EEENS1_30default_config_static_selectorELNS0_4arch9wavefront6targetE1EEEvT1_.has_recursion, 0
	.set _ZN7rocprim17ROCPRIM_400000_NS6detail17trampoline_kernelINS0_14default_configENS1_25partition_config_selectorILNS1_17partition_subalgoE5ElNS0_10empty_typeEbEEZZNS1_14partition_implILS5_5ELb0ES3_mN6hipcub16HIPCUB_304000_NS21CountingInputIteratorIllEEPS6_NSA_22TransformInputIteratorIb7NonZeroIsEPslEENS0_5tupleIJPlS6_EEENSJ_IJSD_SD_EEES6_SK_JS6_EEE10hipError_tPvRmT3_T4_T5_T6_T7_T9_mT8_P12ihipStream_tbDpT10_ENKUlT_T0_E_clISt17integral_constantIbLb1EES16_EEDaS11_S12_EUlS11_E_NS1_11comp_targetILNS1_3genE0ELNS1_11target_archE4294967295ELNS1_3gpuE0ELNS1_3repE0EEENS1_30default_config_static_selectorELNS0_4arch9wavefront6targetE1EEEvT1_.has_indirect_call, 0
	.section	.AMDGPU.csdata,"",@progbits
; Kernel info:
; codeLenInByte = 0
; TotalNumSgprs: 4
; NumVgprs: 0
; ScratchSize: 0
; MemoryBound: 0
; FloatMode: 240
; IeeeMode: 1
; LDSByteSize: 0 bytes/workgroup (compile time only)
; SGPRBlocks: 0
; VGPRBlocks: 0
; NumSGPRsForWavesPerEU: 4
; NumVGPRsForWavesPerEU: 1
; Occupancy: 10
; WaveLimiterHint : 0
; COMPUTE_PGM_RSRC2:SCRATCH_EN: 0
; COMPUTE_PGM_RSRC2:USER_SGPR: 6
; COMPUTE_PGM_RSRC2:TRAP_HANDLER: 0
; COMPUTE_PGM_RSRC2:TGID_X_EN: 1
; COMPUTE_PGM_RSRC2:TGID_Y_EN: 0
; COMPUTE_PGM_RSRC2:TGID_Z_EN: 0
; COMPUTE_PGM_RSRC2:TIDIG_COMP_CNT: 0
	.section	.text._ZN7rocprim17ROCPRIM_400000_NS6detail17trampoline_kernelINS0_14default_configENS1_25partition_config_selectorILNS1_17partition_subalgoE5ElNS0_10empty_typeEbEEZZNS1_14partition_implILS5_5ELb0ES3_mN6hipcub16HIPCUB_304000_NS21CountingInputIteratorIllEEPS6_NSA_22TransformInputIteratorIb7NonZeroIsEPslEENS0_5tupleIJPlS6_EEENSJ_IJSD_SD_EEES6_SK_JS6_EEE10hipError_tPvRmT3_T4_T5_T6_T7_T9_mT8_P12ihipStream_tbDpT10_ENKUlT_T0_E_clISt17integral_constantIbLb1EES16_EEDaS11_S12_EUlS11_E_NS1_11comp_targetILNS1_3genE5ELNS1_11target_archE942ELNS1_3gpuE9ELNS1_3repE0EEENS1_30default_config_static_selectorELNS0_4arch9wavefront6targetE1EEEvT1_,"axG",@progbits,_ZN7rocprim17ROCPRIM_400000_NS6detail17trampoline_kernelINS0_14default_configENS1_25partition_config_selectorILNS1_17partition_subalgoE5ElNS0_10empty_typeEbEEZZNS1_14partition_implILS5_5ELb0ES3_mN6hipcub16HIPCUB_304000_NS21CountingInputIteratorIllEEPS6_NSA_22TransformInputIteratorIb7NonZeroIsEPslEENS0_5tupleIJPlS6_EEENSJ_IJSD_SD_EEES6_SK_JS6_EEE10hipError_tPvRmT3_T4_T5_T6_T7_T9_mT8_P12ihipStream_tbDpT10_ENKUlT_T0_E_clISt17integral_constantIbLb1EES16_EEDaS11_S12_EUlS11_E_NS1_11comp_targetILNS1_3genE5ELNS1_11target_archE942ELNS1_3gpuE9ELNS1_3repE0EEENS1_30default_config_static_selectorELNS0_4arch9wavefront6targetE1EEEvT1_,comdat
	.protected	_ZN7rocprim17ROCPRIM_400000_NS6detail17trampoline_kernelINS0_14default_configENS1_25partition_config_selectorILNS1_17partition_subalgoE5ElNS0_10empty_typeEbEEZZNS1_14partition_implILS5_5ELb0ES3_mN6hipcub16HIPCUB_304000_NS21CountingInputIteratorIllEEPS6_NSA_22TransformInputIteratorIb7NonZeroIsEPslEENS0_5tupleIJPlS6_EEENSJ_IJSD_SD_EEES6_SK_JS6_EEE10hipError_tPvRmT3_T4_T5_T6_T7_T9_mT8_P12ihipStream_tbDpT10_ENKUlT_T0_E_clISt17integral_constantIbLb1EES16_EEDaS11_S12_EUlS11_E_NS1_11comp_targetILNS1_3genE5ELNS1_11target_archE942ELNS1_3gpuE9ELNS1_3repE0EEENS1_30default_config_static_selectorELNS0_4arch9wavefront6targetE1EEEvT1_ ; -- Begin function _ZN7rocprim17ROCPRIM_400000_NS6detail17trampoline_kernelINS0_14default_configENS1_25partition_config_selectorILNS1_17partition_subalgoE5ElNS0_10empty_typeEbEEZZNS1_14partition_implILS5_5ELb0ES3_mN6hipcub16HIPCUB_304000_NS21CountingInputIteratorIllEEPS6_NSA_22TransformInputIteratorIb7NonZeroIsEPslEENS0_5tupleIJPlS6_EEENSJ_IJSD_SD_EEES6_SK_JS6_EEE10hipError_tPvRmT3_T4_T5_T6_T7_T9_mT8_P12ihipStream_tbDpT10_ENKUlT_T0_E_clISt17integral_constantIbLb1EES16_EEDaS11_S12_EUlS11_E_NS1_11comp_targetILNS1_3genE5ELNS1_11target_archE942ELNS1_3gpuE9ELNS1_3repE0EEENS1_30default_config_static_selectorELNS0_4arch9wavefront6targetE1EEEvT1_
	.globl	_ZN7rocprim17ROCPRIM_400000_NS6detail17trampoline_kernelINS0_14default_configENS1_25partition_config_selectorILNS1_17partition_subalgoE5ElNS0_10empty_typeEbEEZZNS1_14partition_implILS5_5ELb0ES3_mN6hipcub16HIPCUB_304000_NS21CountingInputIteratorIllEEPS6_NSA_22TransformInputIteratorIb7NonZeroIsEPslEENS0_5tupleIJPlS6_EEENSJ_IJSD_SD_EEES6_SK_JS6_EEE10hipError_tPvRmT3_T4_T5_T6_T7_T9_mT8_P12ihipStream_tbDpT10_ENKUlT_T0_E_clISt17integral_constantIbLb1EES16_EEDaS11_S12_EUlS11_E_NS1_11comp_targetILNS1_3genE5ELNS1_11target_archE942ELNS1_3gpuE9ELNS1_3repE0EEENS1_30default_config_static_selectorELNS0_4arch9wavefront6targetE1EEEvT1_
	.p2align	8
	.type	_ZN7rocprim17ROCPRIM_400000_NS6detail17trampoline_kernelINS0_14default_configENS1_25partition_config_selectorILNS1_17partition_subalgoE5ElNS0_10empty_typeEbEEZZNS1_14partition_implILS5_5ELb0ES3_mN6hipcub16HIPCUB_304000_NS21CountingInputIteratorIllEEPS6_NSA_22TransformInputIteratorIb7NonZeroIsEPslEENS0_5tupleIJPlS6_EEENSJ_IJSD_SD_EEES6_SK_JS6_EEE10hipError_tPvRmT3_T4_T5_T6_T7_T9_mT8_P12ihipStream_tbDpT10_ENKUlT_T0_E_clISt17integral_constantIbLb1EES16_EEDaS11_S12_EUlS11_E_NS1_11comp_targetILNS1_3genE5ELNS1_11target_archE942ELNS1_3gpuE9ELNS1_3repE0EEENS1_30default_config_static_selectorELNS0_4arch9wavefront6targetE1EEEvT1_,@function
_ZN7rocprim17ROCPRIM_400000_NS6detail17trampoline_kernelINS0_14default_configENS1_25partition_config_selectorILNS1_17partition_subalgoE5ElNS0_10empty_typeEbEEZZNS1_14partition_implILS5_5ELb0ES3_mN6hipcub16HIPCUB_304000_NS21CountingInputIteratorIllEEPS6_NSA_22TransformInputIteratorIb7NonZeroIsEPslEENS0_5tupleIJPlS6_EEENSJ_IJSD_SD_EEES6_SK_JS6_EEE10hipError_tPvRmT3_T4_T5_T6_T7_T9_mT8_P12ihipStream_tbDpT10_ENKUlT_T0_E_clISt17integral_constantIbLb1EES16_EEDaS11_S12_EUlS11_E_NS1_11comp_targetILNS1_3genE5ELNS1_11target_archE942ELNS1_3gpuE9ELNS1_3repE0EEENS1_30default_config_static_selectorELNS0_4arch9wavefront6targetE1EEEvT1_: ; @_ZN7rocprim17ROCPRIM_400000_NS6detail17trampoline_kernelINS0_14default_configENS1_25partition_config_selectorILNS1_17partition_subalgoE5ElNS0_10empty_typeEbEEZZNS1_14partition_implILS5_5ELb0ES3_mN6hipcub16HIPCUB_304000_NS21CountingInputIteratorIllEEPS6_NSA_22TransformInputIteratorIb7NonZeroIsEPslEENS0_5tupleIJPlS6_EEENSJ_IJSD_SD_EEES6_SK_JS6_EEE10hipError_tPvRmT3_T4_T5_T6_T7_T9_mT8_P12ihipStream_tbDpT10_ENKUlT_T0_E_clISt17integral_constantIbLb1EES16_EEDaS11_S12_EUlS11_E_NS1_11comp_targetILNS1_3genE5ELNS1_11target_archE942ELNS1_3gpuE9ELNS1_3repE0EEENS1_30default_config_static_selectorELNS0_4arch9wavefront6targetE1EEEvT1_
; %bb.0:
	.section	.rodata,"a",@progbits
	.p2align	6, 0x0
	.amdhsa_kernel _ZN7rocprim17ROCPRIM_400000_NS6detail17trampoline_kernelINS0_14default_configENS1_25partition_config_selectorILNS1_17partition_subalgoE5ElNS0_10empty_typeEbEEZZNS1_14partition_implILS5_5ELb0ES3_mN6hipcub16HIPCUB_304000_NS21CountingInputIteratorIllEEPS6_NSA_22TransformInputIteratorIb7NonZeroIsEPslEENS0_5tupleIJPlS6_EEENSJ_IJSD_SD_EEES6_SK_JS6_EEE10hipError_tPvRmT3_T4_T5_T6_T7_T9_mT8_P12ihipStream_tbDpT10_ENKUlT_T0_E_clISt17integral_constantIbLb1EES16_EEDaS11_S12_EUlS11_E_NS1_11comp_targetILNS1_3genE5ELNS1_11target_archE942ELNS1_3gpuE9ELNS1_3repE0EEENS1_30default_config_static_selectorELNS0_4arch9wavefront6targetE1EEEvT1_
		.amdhsa_group_segment_fixed_size 0
		.amdhsa_private_segment_fixed_size 0
		.amdhsa_kernarg_size 136
		.amdhsa_user_sgpr_count 6
		.amdhsa_user_sgpr_private_segment_buffer 1
		.amdhsa_user_sgpr_dispatch_ptr 0
		.amdhsa_user_sgpr_queue_ptr 0
		.amdhsa_user_sgpr_kernarg_segment_ptr 1
		.amdhsa_user_sgpr_dispatch_id 0
		.amdhsa_user_sgpr_flat_scratch_init 0
		.amdhsa_user_sgpr_private_segment_size 0
		.amdhsa_uses_dynamic_stack 0
		.amdhsa_system_sgpr_private_segment_wavefront_offset 0
		.amdhsa_system_sgpr_workgroup_id_x 1
		.amdhsa_system_sgpr_workgroup_id_y 0
		.amdhsa_system_sgpr_workgroup_id_z 0
		.amdhsa_system_sgpr_workgroup_info 0
		.amdhsa_system_vgpr_workitem_id 0
		.amdhsa_next_free_vgpr 1
		.amdhsa_next_free_sgpr 0
		.amdhsa_reserve_vcc 0
		.amdhsa_reserve_flat_scratch 0
		.amdhsa_float_round_mode_32 0
		.amdhsa_float_round_mode_16_64 0
		.amdhsa_float_denorm_mode_32 3
		.amdhsa_float_denorm_mode_16_64 3
		.amdhsa_dx10_clamp 1
		.amdhsa_ieee_mode 1
		.amdhsa_fp16_overflow 0
		.amdhsa_exception_fp_ieee_invalid_op 0
		.amdhsa_exception_fp_denorm_src 0
		.amdhsa_exception_fp_ieee_div_zero 0
		.amdhsa_exception_fp_ieee_overflow 0
		.amdhsa_exception_fp_ieee_underflow 0
		.amdhsa_exception_fp_ieee_inexact 0
		.amdhsa_exception_int_div_zero 0
	.end_amdhsa_kernel
	.section	.text._ZN7rocprim17ROCPRIM_400000_NS6detail17trampoline_kernelINS0_14default_configENS1_25partition_config_selectorILNS1_17partition_subalgoE5ElNS0_10empty_typeEbEEZZNS1_14partition_implILS5_5ELb0ES3_mN6hipcub16HIPCUB_304000_NS21CountingInputIteratorIllEEPS6_NSA_22TransformInputIteratorIb7NonZeroIsEPslEENS0_5tupleIJPlS6_EEENSJ_IJSD_SD_EEES6_SK_JS6_EEE10hipError_tPvRmT3_T4_T5_T6_T7_T9_mT8_P12ihipStream_tbDpT10_ENKUlT_T0_E_clISt17integral_constantIbLb1EES16_EEDaS11_S12_EUlS11_E_NS1_11comp_targetILNS1_3genE5ELNS1_11target_archE942ELNS1_3gpuE9ELNS1_3repE0EEENS1_30default_config_static_selectorELNS0_4arch9wavefront6targetE1EEEvT1_,"axG",@progbits,_ZN7rocprim17ROCPRIM_400000_NS6detail17trampoline_kernelINS0_14default_configENS1_25partition_config_selectorILNS1_17partition_subalgoE5ElNS0_10empty_typeEbEEZZNS1_14partition_implILS5_5ELb0ES3_mN6hipcub16HIPCUB_304000_NS21CountingInputIteratorIllEEPS6_NSA_22TransformInputIteratorIb7NonZeroIsEPslEENS0_5tupleIJPlS6_EEENSJ_IJSD_SD_EEES6_SK_JS6_EEE10hipError_tPvRmT3_T4_T5_T6_T7_T9_mT8_P12ihipStream_tbDpT10_ENKUlT_T0_E_clISt17integral_constantIbLb1EES16_EEDaS11_S12_EUlS11_E_NS1_11comp_targetILNS1_3genE5ELNS1_11target_archE942ELNS1_3gpuE9ELNS1_3repE0EEENS1_30default_config_static_selectorELNS0_4arch9wavefront6targetE1EEEvT1_,comdat
.Lfunc_end126:
	.size	_ZN7rocprim17ROCPRIM_400000_NS6detail17trampoline_kernelINS0_14default_configENS1_25partition_config_selectorILNS1_17partition_subalgoE5ElNS0_10empty_typeEbEEZZNS1_14partition_implILS5_5ELb0ES3_mN6hipcub16HIPCUB_304000_NS21CountingInputIteratorIllEEPS6_NSA_22TransformInputIteratorIb7NonZeroIsEPslEENS0_5tupleIJPlS6_EEENSJ_IJSD_SD_EEES6_SK_JS6_EEE10hipError_tPvRmT3_T4_T5_T6_T7_T9_mT8_P12ihipStream_tbDpT10_ENKUlT_T0_E_clISt17integral_constantIbLb1EES16_EEDaS11_S12_EUlS11_E_NS1_11comp_targetILNS1_3genE5ELNS1_11target_archE942ELNS1_3gpuE9ELNS1_3repE0EEENS1_30default_config_static_selectorELNS0_4arch9wavefront6targetE1EEEvT1_, .Lfunc_end126-_ZN7rocprim17ROCPRIM_400000_NS6detail17trampoline_kernelINS0_14default_configENS1_25partition_config_selectorILNS1_17partition_subalgoE5ElNS0_10empty_typeEbEEZZNS1_14partition_implILS5_5ELb0ES3_mN6hipcub16HIPCUB_304000_NS21CountingInputIteratorIllEEPS6_NSA_22TransformInputIteratorIb7NonZeroIsEPslEENS0_5tupleIJPlS6_EEENSJ_IJSD_SD_EEES6_SK_JS6_EEE10hipError_tPvRmT3_T4_T5_T6_T7_T9_mT8_P12ihipStream_tbDpT10_ENKUlT_T0_E_clISt17integral_constantIbLb1EES16_EEDaS11_S12_EUlS11_E_NS1_11comp_targetILNS1_3genE5ELNS1_11target_archE942ELNS1_3gpuE9ELNS1_3repE0EEENS1_30default_config_static_selectorELNS0_4arch9wavefront6targetE1EEEvT1_
                                        ; -- End function
	.set _ZN7rocprim17ROCPRIM_400000_NS6detail17trampoline_kernelINS0_14default_configENS1_25partition_config_selectorILNS1_17partition_subalgoE5ElNS0_10empty_typeEbEEZZNS1_14partition_implILS5_5ELb0ES3_mN6hipcub16HIPCUB_304000_NS21CountingInputIteratorIllEEPS6_NSA_22TransformInputIteratorIb7NonZeroIsEPslEENS0_5tupleIJPlS6_EEENSJ_IJSD_SD_EEES6_SK_JS6_EEE10hipError_tPvRmT3_T4_T5_T6_T7_T9_mT8_P12ihipStream_tbDpT10_ENKUlT_T0_E_clISt17integral_constantIbLb1EES16_EEDaS11_S12_EUlS11_E_NS1_11comp_targetILNS1_3genE5ELNS1_11target_archE942ELNS1_3gpuE9ELNS1_3repE0EEENS1_30default_config_static_selectorELNS0_4arch9wavefront6targetE1EEEvT1_.num_vgpr, 0
	.set _ZN7rocprim17ROCPRIM_400000_NS6detail17trampoline_kernelINS0_14default_configENS1_25partition_config_selectorILNS1_17partition_subalgoE5ElNS0_10empty_typeEbEEZZNS1_14partition_implILS5_5ELb0ES3_mN6hipcub16HIPCUB_304000_NS21CountingInputIteratorIllEEPS6_NSA_22TransformInputIteratorIb7NonZeroIsEPslEENS0_5tupleIJPlS6_EEENSJ_IJSD_SD_EEES6_SK_JS6_EEE10hipError_tPvRmT3_T4_T5_T6_T7_T9_mT8_P12ihipStream_tbDpT10_ENKUlT_T0_E_clISt17integral_constantIbLb1EES16_EEDaS11_S12_EUlS11_E_NS1_11comp_targetILNS1_3genE5ELNS1_11target_archE942ELNS1_3gpuE9ELNS1_3repE0EEENS1_30default_config_static_selectorELNS0_4arch9wavefront6targetE1EEEvT1_.num_agpr, 0
	.set _ZN7rocprim17ROCPRIM_400000_NS6detail17trampoline_kernelINS0_14default_configENS1_25partition_config_selectorILNS1_17partition_subalgoE5ElNS0_10empty_typeEbEEZZNS1_14partition_implILS5_5ELb0ES3_mN6hipcub16HIPCUB_304000_NS21CountingInputIteratorIllEEPS6_NSA_22TransformInputIteratorIb7NonZeroIsEPslEENS0_5tupleIJPlS6_EEENSJ_IJSD_SD_EEES6_SK_JS6_EEE10hipError_tPvRmT3_T4_T5_T6_T7_T9_mT8_P12ihipStream_tbDpT10_ENKUlT_T0_E_clISt17integral_constantIbLb1EES16_EEDaS11_S12_EUlS11_E_NS1_11comp_targetILNS1_3genE5ELNS1_11target_archE942ELNS1_3gpuE9ELNS1_3repE0EEENS1_30default_config_static_selectorELNS0_4arch9wavefront6targetE1EEEvT1_.numbered_sgpr, 0
	.set _ZN7rocprim17ROCPRIM_400000_NS6detail17trampoline_kernelINS0_14default_configENS1_25partition_config_selectorILNS1_17partition_subalgoE5ElNS0_10empty_typeEbEEZZNS1_14partition_implILS5_5ELb0ES3_mN6hipcub16HIPCUB_304000_NS21CountingInputIteratorIllEEPS6_NSA_22TransformInputIteratorIb7NonZeroIsEPslEENS0_5tupleIJPlS6_EEENSJ_IJSD_SD_EEES6_SK_JS6_EEE10hipError_tPvRmT3_T4_T5_T6_T7_T9_mT8_P12ihipStream_tbDpT10_ENKUlT_T0_E_clISt17integral_constantIbLb1EES16_EEDaS11_S12_EUlS11_E_NS1_11comp_targetILNS1_3genE5ELNS1_11target_archE942ELNS1_3gpuE9ELNS1_3repE0EEENS1_30default_config_static_selectorELNS0_4arch9wavefront6targetE1EEEvT1_.num_named_barrier, 0
	.set _ZN7rocprim17ROCPRIM_400000_NS6detail17trampoline_kernelINS0_14default_configENS1_25partition_config_selectorILNS1_17partition_subalgoE5ElNS0_10empty_typeEbEEZZNS1_14partition_implILS5_5ELb0ES3_mN6hipcub16HIPCUB_304000_NS21CountingInputIteratorIllEEPS6_NSA_22TransformInputIteratorIb7NonZeroIsEPslEENS0_5tupleIJPlS6_EEENSJ_IJSD_SD_EEES6_SK_JS6_EEE10hipError_tPvRmT3_T4_T5_T6_T7_T9_mT8_P12ihipStream_tbDpT10_ENKUlT_T0_E_clISt17integral_constantIbLb1EES16_EEDaS11_S12_EUlS11_E_NS1_11comp_targetILNS1_3genE5ELNS1_11target_archE942ELNS1_3gpuE9ELNS1_3repE0EEENS1_30default_config_static_selectorELNS0_4arch9wavefront6targetE1EEEvT1_.private_seg_size, 0
	.set _ZN7rocprim17ROCPRIM_400000_NS6detail17trampoline_kernelINS0_14default_configENS1_25partition_config_selectorILNS1_17partition_subalgoE5ElNS0_10empty_typeEbEEZZNS1_14partition_implILS5_5ELb0ES3_mN6hipcub16HIPCUB_304000_NS21CountingInputIteratorIllEEPS6_NSA_22TransformInputIteratorIb7NonZeroIsEPslEENS0_5tupleIJPlS6_EEENSJ_IJSD_SD_EEES6_SK_JS6_EEE10hipError_tPvRmT3_T4_T5_T6_T7_T9_mT8_P12ihipStream_tbDpT10_ENKUlT_T0_E_clISt17integral_constantIbLb1EES16_EEDaS11_S12_EUlS11_E_NS1_11comp_targetILNS1_3genE5ELNS1_11target_archE942ELNS1_3gpuE9ELNS1_3repE0EEENS1_30default_config_static_selectorELNS0_4arch9wavefront6targetE1EEEvT1_.uses_vcc, 0
	.set _ZN7rocprim17ROCPRIM_400000_NS6detail17trampoline_kernelINS0_14default_configENS1_25partition_config_selectorILNS1_17partition_subalgoE5ElNS0_10empty_typeEbEEZZNS1_14partition_implILS5_5ELb0ES3_mN6hipcub16HIPCUB_304000_NS21CountingInputIteratorIllEEPS6_NSA_22TransformInputIteratorIb7NonZeroIsEPslEENS0_5tupleIJPlS6_EEENSJ_IJSD_SD_EEES6_SK_JS6_EEE10hipError_tPvRmT3_T4_T5_T6_T7_T9_mT8_P12ihipStream_tbDpT10_ENKUlT_T0_E_clISt17integral_constantIbLb1EES16_EEDaS11_S12_EUlS11_E_NS1_11comp_targetILNS1_3genE5ELNS1_11target_archE942ELNS1_3gpuE9ELNS1_3repE0EEENS1_30default_config_static_selectorELNS0_4arch9wavefront6targetE1EEEvT1_.uses_flat_scratch, 0
	.set _ZN7rocprim17ROCPRIM_400000_NS6detail17trampoline_kernelINS0_14default_configENS1_25partition_config_selectorILNS1_17partition_subalgoE5ElNS0_10empty_typeEbEEZZNS1_14partition_implILS5_5ELb0ES3_mN6hipcub16HIPCUB_304000_NS21CountingInputIteratorIllEEPS6_NSA_22TransformInputIteratorIb7NonZeroIsEPslEENS0_5tupleIJPlS6_EEENSJ_IJSD_SD_EEES6_SK_JS6_EEE10hipError_tPvRmT3_T4_T5_T6_T7_T9_mT8_P12ihipStream_tbDpT10_ENKUlT_T0_E_clISt17integral_constantIbLb1EES16_EEDaS11_S12_EUlS11_E_NS1_11comp_targetILNS1_3genE5ELNS1_11target_archE942ELNS1_3gpuE9ELNS1_3repE0EEENS1_30default_config_static_selectorELNS0_4arch9wavefront6targetE1EEEvT1_.has_dyn_sized_stack, 0
	.set _ZN7rocprim17ROCPRIM_400000_NS6detail17trampoline_kernelINS0_14default_configENS1_25partition_config_selectorILNS1_17partition_subalgoE5ElNS0_10empty_typeEbEEZZNS1_14partition_implILS5_5ELb0ES3_mN6hipcub16HIPCUB_304000_NS21CountingInputIteratorIllEEPS6_NSA_22TransformInputIteratorIb7NonZeroIsEPslEENS0_5tupleIJPlS6_EEENSJ_IJSD_SD_EEES6_SK_JS6_EEE10hipError_tPvRmT3_T4_T5_T6_T7_T9_mT8_P12ihipStream_tbDpT10_ENKUlT_T0_E_clISt17integral_constantIbLb1EES16_EEDaS11_S12_EUlS11_E_NS1_11comp_targetILNS1_3genE5ELNS1_11target_archE942ELNS1_3gpuE9ELNS1_3repE0EEENS1_30default_config_static_selectorELNS0_4arch9wavefront6targetE1EEEvT1_.has_recursion, 0
	.set _ZN7rocprim17ROCPRIM_400000_NS6detail17trampoline_kernelINS0_14default_configENS1_25partition_config_selectorILNS1_17partition_subalgoE5ElNS0_10empty_typeEbEEZZNS1_14partition_implILS5_5ELb0ES3_mN6hipcub16HIPCUB_304000_NS21CountingInputIteratorIllEEPS6_NSA_22TransformInputIteratorIb7NonZeroIsEPslEENS0_5tupleIJPlS6_EEENSJ_IJSD_SD_EEES6_SK_JS6_EEE10hipError_tPvRmT3_T4_T5_T6_T7_T9_mT8_P12ihipStream_tbDpT10_ENKUlT_T0_E_clISt17integral_constantIbLb1EES16_EEDaS11_S12_EUlS11_E_NS1_11comp_targetILNS1_3genE5ELNS1_11target_archE942ELNS1_3gpuE9ELNS1_3repE0EEENS1_30default_config_static_selectorELNS0_4arch9wavefront6targetE1EEEvT1_.has_indirect_call, 0
	.section	.AMDGPU.csdata,"",@progbits
; Kernel info:
; codeLenInByte = 0
; TotalNumSgprs: 4
; NumVgprs: 0
; ScratchSize: 0
; MemoryBound: 0
; FloatMode: 240
; IeeeMode: 1
; LDSByteSize: 0 bytes/workgroup (compile time only)
; SGPRBlocks: 0
; VGPRBlocks: 0
; NumSGPRsForWavesPerEU: 4
; NumVGPRsForWavesPerEU: 1
; Occupancy: 10
; WaveLimiterHint : 0
; COMPUTE_PGM_RSRC2:SCRATCH_EN: 0
; COMPUTE_PGM_RSRC2:USER_SGPR: 6
; COMPUTE_PGM_RSRC2:TRAP_HANDLER: 0
; COMPUTE_PGM_RSRC2:TGID_X_EN: 1
; COMPUTE_PGM_RSRC2:TGID_Y_EN: 0
; COMPUTE_PGM_RSRC2:TGID_Z_EN: 0
; COMPUTE_PGM_RSRC2:TIDIG_COMP_CNT: 0
	.section	.text._ZN7rocprim17ROCPRIM_400000_NS6detail17trampoline_kernelINS0_14default_configENS1_25partition_config_selectorILNS1_17partition_subalgoE5ElNS0_10empty_typeEbEEZZNS1_14partition_implILS5_5ELb0ES3_mN6hipcub16HIPCUB_304000_NS21CountingInputIteratorIllEEPS6_NSA_22TransformInputIteratorIb7NonZeroIsEPslEENS0_5tupleIJPlS6_EEENSJ_IJSD_SD_EEES6_SK_JS6_EEE10hipError_tPvRmT3_T4_T5_T6_T7_T9_mT8_P12ihipStream_tbDpT10_ENKUlT_T0_E_clISt17integral_constantIbLb1EES16_EEDaS11_S12_EUlS11_E_NS1_11comp_targetILNS1_3genE4ELNS1_11target_archE910ELNS1_3gpuE8ELNS1_3repE0EEENS1_30default_config_static_selectorELNS0_4arch9wavefront6targetE1EEEvT1_,"axG",@progbits,_ZN7rocprim17ROCPRIM_400000_NS6detail17trampoline_kernelINS0_14default_configENS1_25partition_config_selectorILNS1_17partition_subalgoE5ElNS0_10empty_typeEbEEZZNS1_14partition_implILS5_5ELb0ES3_mN6hipcub16HIPCUB_304000_NS21CountingInputIteratorIllEEPS6_NSA_22TransformInputIteratorIb7NonZeroIsEPslEENS0_5tupleIJPlS6_EEENSJ_IJSD_SD_EEES6_SK_JS6_EEE10hipError_tPvRmT3_T4_T5_T6_T7_T9_mT8_P12ihipStream_tbDpT10_ENKUlT_T0_E_clISt17integral_constantIbLb1EES16_EEDaS11_S12_EUlS11_E_NS1_11comp_targetILNS1_3genE4ELNS1_11target_archE910ELNS1_3gpuE8ELNS1_3repE0EEENS1_30default_config_static_selectorELNS0_4arch9wavefront6targetE1EEEvT1_,comdat
	.protected	_ZN7rocprim17ROCPRIM_400000_NS6detail17trampoline_kernelINS0_14default_configENS1_25partition_config_selectorILNS1_17partition_subalgoE5ElNS0_10empty_typeEbEEZZNS1_14partition_implILS5_5ELb0ES3_mN6hipcub16HIPCUB_304000_NS21CountingInputIteratorIllEEPS6_NSA_22TransformInputIteratorIb7NonZeroIsEPslEENS0_5tupleIJPlS6_EEENSJ_IJSD_SD_EEES6_SK_JS6_EEE10hipError_tPvRmT3_T4_T5_T6_T7_T9_mT8_P12ihipStream_tbDpT10_ENKUlT_T0_E_clISt17integral_constantIbLb1EES16_EEDaS11_S12_EUlS11_E_NS1_11comp_targetILNS1_3genE4ELNS1_11target_archE910ELNS1_3gpuE8ELNS1_3repE0EEENS1_30default_config_static_selectorELNS0_4arch9wavefront6targetE1EEEvT1_ ; -- Begin function _ZN7rocprim17ROCPRIM_400000_NS6detail17trampoline_kernelINS0_14default_configENS1_25partition_config_selectorILNS1_17partition_subalgoE5ElNS0_10empty_typeEbEEZZNS1_14partition_implILS5_5ELb0ES3_mN6hipcub16HIPCUB_304000_NS21CountingInputIteratorIllEEPS6_NSA_22TransformInputIteratorIb7NonZeroIsEPslEENS0_5tupleIJPlS6_EEENSJ_IJSD_SD_EEES6_SK_JS6_EEE10hipError_tPvRmT3_T4_T5_T6_T7_T9_mT8_P12ihipStream_tbDpT10_ENKUlT_T0_E_clISt17integral_constantIbLb1EES16_EEDaS11_S12_EUlS11_E_NS1_11comp_targetILNS1_3genE4ELNS1_11target_archE910ELNS1_3gpuE8ELNS1_3repE0EEENS1_30default_config_static_selectorELNS0_4arch9wavefront6targetE1EEEvT1_
	.globl	_ZN7rocprim17ROCPRIM_400000_NS6detail17trampoline_kernelINS0_14default_configENS1_25partition_config_selectorILNS1_17partition_subalgoE5ElNS0_10empty_typeEbEEZZNS1_14partition_implILS5_5ELb0ES3_mN6hipcub16HIPCUB_304000_NS21CountingInputIteratorIllEEPS6_NSA_22TransformInputIteratorIb7NonZeroIsEPslEENS0_5tupleIJPlS6_EEENSJ_IJSD_SD_EEES6_SK_JS6_EEE10hipError_tPvRmT3_T4_T5_T6_T7_T9_mT8_P12ihipStream_tbDpT10_ENKUlT_T0_E_clISt17integral_constantIbLb1EES16_EEDaS11_S12_EUlS11_E_NS1_11comp_targetILNS1_3genE4ELNS1_11target_archE910ELNS1_3gpuE8ELNS1_3repE0EEENS1_30default_config_static_selectorELNS0_4arch9wavefront6targetE1EEEvT1_
	.p2align	8
	.type	_ZN7rocprim17ROCPRIM_400000_NS6detail17trampoline_kernelINS0_14default_configENS1_25partition_config_selectorILNS1_17partition_subalgoE5ElNS0_10empty_typeEbEEZZNS1_14partition_implILS5_5ELb0ES3_mN6hipcub16HIPCUB_304000_NS21CountingInputIteratorIllEEPS6_NSA_22TransformInputIteratorIb7NonZeroIsEPslEENS0_5tupleIJPlS6_EEENSJ_IJSD_SD_EEES6_SK_JS6_EEE10hipError_tPvRmT3_T4_T5_T6_T7_T9_mT8_P12ihipStream_tbDpT10_ENKUlT_T0_E_clISt17integral_constantIbLb1EES16_EEDaS11_S12_EUlS11_E_NS1_11comp_targetILNS1_3genE4ELNS1_11target_archE910ELNS1_3gpuE8ELNS1_3repE0EEENS1_30default_config_static_selectorELNS0_4arch9wavefront6targetE1EEEvT1_,@function
_ZN7rocprim17ROCPRIM_400000_NS6detail17trampoline_kernelINS0_14default_configENS1_25partition_config_selectorILNS1_17partition_subalgoE5ElNS0_10empty_typeEbEEZZNS1_14partition_implILS5_5ELb0ES3_mN6hipcub16HIPCUB_304000_NS21CountingInputIteratorIllEEPS6_NSA_22TransformInputIteratorIb7NonZeroIsEPslEENS0_5tupleIJPlS6_EEENSJ_IJSD_SD_EEES6_SK_JS6_EEE10hipError_tPvRmT3_T4_T5_T6_T7_T9_mT8_P12ihipStream_tbDpT10_ENKUlT_T0_E_clISt17integral_constantIbLb1EES16_EEDaS11_S12_EUlS11_E_NS1_11comp_targetILNS1_3genE4ELNS1_11target_archE910ELNS1_3gpuE8ELNS1_3repE0EEENS1_30default_config_static_selectorELNS0_4arch9wavefront6targetE1EEEvT1_: ; @_ZN7rocprim17ROCPRIM_400000_NS6detail17trampoline_kernelINS0_14default_configENS1_25partition_config_selectorILNS1_17partition_subalgoE5ElNS0_10empty_typeEbEEZZNS1_14partition_implILS5_5ELb0ES3_mN6hipcub16HIPCUB_304000_NS21CountingInputIteratorIllEEPS6_NSA_22TransformInputIteratorIb7NonZeroIsEPslEENS0_5tupleIJPlS6_EEENSJ_IJSD_SD_EEES6_SK_JS6_EEE10hipError_tPvRmT3_T4_T5_T6_T7_T9_mT8_P12ihipStream_tbDpT10_ENKUlT_T0_E_clISt17integral_constantIbLb1EES16_EEDaS11_S12_EUlS11_E_NS1_11comp_targetILNS1_3genE4ELNS1_11target_archE910ELNS1_3gpuE8ELNS1_3repE0EEENS1_30default_config_static_selectorELNS0_4arch9wavefront6targetE1EEEvT1_
; %bb.0:
	.section	.rodata,"a",@progbits
	.p2align	6, 0x0
	.amdhsa_kernel _ZN7rocprim17ROCPRIM_400000_NS6detail17trampoline_kernelINS0_14default_configENS1_25partition_config_selectorILNS1_17partition_subalgoE5ElNS0_10empty_typeEbEEZZNS1_14partition_implILS5_5ELb0ES3_mN6hipcub16HIPCUB_304000_NS21CountingInputIteratorIllEEPS6_NSA_22TransformInputIteratorIb7NonZeroIsEPslEENS0_5tupleIJPlS6_EEENSJ_IJSD_SD_EEES6_SK_JS6_EEE10hipError_tPvRmT3_T4_T5_T6_T7_T9_mT8_P12ihipStream_tbDpT10_ENKUlT_T0_E_clISt17integral_constantIbLb1EES16_EEDaS11_S12_EUlS11_E_NS1_11comp_targetILNS1_3genE4ELNS1_11target_archE910ELNS1_3gpuE8ELNS1_3repE0EEENS1_30default_config_static_selectorELNS0_4arch9wavefront6targetE1EEEvT1_
		.amdhsa_group_segment_fixed_size 0
		.amdhsa_private_segment_fixed_size 0
		.amdhsa_kernarg_size 136
		.amdhsa_user_sgpr_count 6
		.amdhsa_user_sgpr_private_segment_buffer 1
		.amdhsa_user_sgpr_dispatch_ptr 0
		.amdhsa_user_sgpr_queue_ptr 0
		.amdhsa_user_sgpr_kernarg_segment_ptr 1
		.amdhsa_user_sgpr_dispatch_id 0
		.amdhsa_user_sgpr_flat_scratch_init 0
		.amdhsa_user_sgpr_private_segment_size 0
		.amdhsa_uses_dynamic_stack 0
		.amdhsa_system_sgpr_private_segment_wavefront_offset 0
		.amdhsa_system_sgpr_workgroup_id_x 1
		.amdhsa_system_sgpr_workgroup_id_y 0
		.amdhsa_system_sgpr_workgroup_id_z 0
		.amdhsa_system_sgpr_workgroup_info 0
		.amdhsa_system_vgpr_workitem_id 0
		.amdhsa_next_free_vgpr 1
		.amdhsa_next_free_sgpr 0
		.amdhsa_reserve_vcc 0
		.amdhsa_reserve_flat_scratch 0
		.amdhsa_float_round_mode_32 0
		.amdhsa_float_round_mode_16_64 0
		.amdhsa_float_denorm_mode_32 3
		.amdhsa_float_denorm_mode_16_64 3
		.amdhsa_dx10_clamp 1
		.amdhsa_ieee_mode 1
		.amdhsa_fp16_overflow 0
		.amdhsa_exception_fp_ieee_invalid_op 0
		.amdhsa_exception_fp_denorm_src 0
		.amdhsa_exception_fp_ieee_div_zero 0
		.amdhsa_exception_fp_ieee_overflow 0
		.amdhsa_exception_fp_ieee_underflow 0
		.amdhsa_exception_fp_ieee_inexact 0
		.amdhsa_exception_int_div_zero 0
	.end_amdhsa_kernel
	.section	.text._ZN7rocprim17ROCPRIM_400000_NS6detail17trampoline_kernelINS0_14default_configENS1_25partition_config_selectorILNS1_17partition_subalgoE5ElNS0_10empty_typeEbEEZZNS1_14partition_implILS5_5ELb0ES3_mN6hipcub16HIPCUB_304000_NS21CountingInputIteratorIllEEPS6_NSA_22TransformInputIteratorIb7NonZeroIsEPslEENS0_5tupleIJPlS6_EEENSJ_IJSD_SD_EEES6_SK_JS6_EEE10hipError_tPvRmT3_T4_T5_T6_T7_T9_mT8_P12ihipStream_tbDpT10_ENKUlT_T0_E_clISt17integral_constantIbLb1EES16_EEDaS11_S12_EUlS11_E_NS1_11comp_targetILNS1_3genE4ELNS1_11target_archE910ELNS1_3gpuE8ELNS1_3repE0EEENS1_30default_config_static_selectorELNS0_4arch9wavefront6targetE1EEEvT1_,"axG",@progbits,_ZN7rocprim17ROCPRIM_400000_NS6detail17trampoline_kernelINS0_14default_configENS1_25partition_config_selectorILNS1_17partition_subalgoE5ElNS0_10empty_typeEbEEZZNS1_14partition_implILS5_5ELb0ES3_mN6hipcub16HIPCUB_304000_NS21CountingInputIteratorIllEEPS6_NSA_22TransformInputIteratorIb7NonZeroIsEPslEENS0_5tupleIJPlS6_EEENSJ_IJSD_SD_EEES6_SK_JS6_EEE10hipError_tPvRmT3_T4_T5_T6_T7_T9_mT8_P12ihipStream_tbDpT10_ENKUlT_T0_E_clISt17integral_constantIbLb1EES16_EEDaS11_S12_EUlS11_E_NS1_11comp_targetILNS1_3genE4ELNS1_11target_archE910ELNS1_3gpuE8ELNS1_3repE0EEENS1_30default_config_static_selectorELNS0_4arch9wavefront6targetE1EEEvT1_,comdat
.Lfunc_end127:
	.size	_ZN7rocprim17ROCPRIM_400000_NS6detail17trampoline_kernelINS0_14default_configENS1_25partition_config_selectorILNS1_17partition_subalgoE5ElNS0_10empty_typeEbEEZZNS1_14partition_implILS5_5ELb0ES3_mN6hipcub16HIPCUB_304000_NS21CountingInputIteratorIllEEPS6_NSA_22TransformInputIteratorIb7NonZeroIsEPslEENS0_5tupleIJPlS6_EEENSJ_IJSD_SD_EEES6_SK_JS6_EEE10hipError_tPvRmT3_T4_T5_T6_T7_T9_mT8_P12ihipStream_tbDpT10_ENKUlT_T0_E_clISt17integral_constantIbLb1EES16_EEDaS11_S12_EUlS11_E_NS1_11comp_targetILNS1_3genE4ELNS1_11target_archE910ELNS1_3gpuE8ELNS1_3repE0EEENS1_30default_config_static_selectorELNS0_4arch9wavefront6targetE1EEEvT1_, .Lfunc_end127-_ZN7rocprim17ROCPRIM_400000_NS6detail17trampoline_kernelINS0_14default_configENS1_25partition_config_selectorILNS1_17partition_subalgoE5ElNS0_10empty_typeEbEEZZNS1_14partition_implILS5_5ELb0ES3_mN6hipcub16HIPCUB_304000_NS21CountingInputIteratorIllEEPS6_NSA_22TransformInputIteratorIb7NonZeroIsEPslEENS0_5tupleIJPlS6_EEENSJ_IJSD_SD_EEES6_SK_JS6_EEE10hipError_tPvRmT3_T4_T5_T6_T7_T9_mT8_P12ihipStream_tbDpT10_ENKUlT_T0_E_clISt17integral_constantIbLb1EES16_EEDaS11_S12_EUlS11_E_NS1_11comp_targetILNS1_3genE4ELNS1_11target_archE910ELNS1_3gpuE8ELNS1_3repE0EEENS1_30default_config_static_selectorELNS0_4arch9wavefront6targetE1EEEvT1_
                                        ; -- End function
	.set _ZN7rocprim17ROCPRIM_400000_NS6detail17trampoline_kernelINS0_14default_configENS1_25partition_config_selectorILNS1_17partition_subalgoE5ElNS0_10empty_typeEbEEZZNS1_14partition_implILS5_5ELb0ES3_mN6hipcub16HIPCUB_304000_NS21CountingInputIteratorIllEEPS6_NSA_22TransformInputIteratorIb7NonZeroIsEPslEENS0_5tupleIJPlS6_EEENSJ_IJSD_SD_EEES6_SK_JS6_EEE10hipError_tPvRmT3_T4_T5_T6_T7_T9_mT8_P12ihipStream_tbDpT10_ENKUlT_T0_E_clISt17integral_constantIbLb1EES16_EEDaS11_S12_EUlS11_E_NS1_11comp_targetILNS1_3genE4ELNS1_11target_archE910ELNS1_3gpuE8ELNS1_3repE0EEENS1_30default_config_static_selectorELNS0_4arch9wavefront6targetE1EEEvT1_.num_vgpr, 0
	.set _ZN7rocprim17ROCPRIM_400000_NS6detail17trampoline_kernelINS0_14default_configENS1_25partition_config_selectorILNS1_17partition_subalgoE5ElNS0_10empty_typeEbEEZZNS1_14partition_implILS5_5ELb0ES3_mN6hipcub16HIPCUB_304000_NS21CountingInputIteratorIllEEPS6_NSA_22TransformInputIteratorIb7NonZeroIsEPslEENS0_5tupleIJPlS6_EEENSJ_IJSD_SD_EEES6_SK_JS6_EEE10hipError_tPvRmT3_T4_T5_T6_T7_T9_mT8_P12ihipStream_tbDpT10_ENKUlT_T0_E_clISt17integral_constantIbLb1EES16_EEDaS11_S12_EUlS11_E_NS1_11comp_targetILNS1_3genE4ELNS1_11target_archE910ELNS1_3gpuE8ELNS1_3repE0EEENS1_30default_config_static_selectorELNS0_4arch9wavefront6targetE1EEEvT1_.num_agpr, 0
	.set _ZN7rocprim17ROCPRIM_400000_NS6detail17trampoline_kernelINS0_14default_configENS1_25partition_config_selectorILNS1_17partition_subalgoE5ElNS0_10empty_typeEbEEZZNS1_14partition_implILS5_5ELb0ES3_mN6hipcub16HIPCUB_304000_NS21CountingInputIteratorIllEEPS6_NSA_22TransformInputIteratorIb7NonZeroIsEPslEENS0_5tupleIJPlS6_EEENSJ_IJSD_SD_EEES6_SK_JS6_EEE10hipError_tPvRmT3_T4_T5_T6_T7_T9_mT8_P12ihipStream_tbDpT10_ENKUlT_T0_E_clISt17integral_constantIbLb1EES16_EEDaS11_S12_EUlS11_E_NS1_11comp_targetILNS1_3genE4ELNS1_11target_archE910ELNS1_3gpuE8ELNS1_3repE0EEENS1_30default_config_static_selectorELNS0_4arch9wavefront6targetE1EEEvT1_.numbered_sgpr, 0
	.set _ZN7rocprim17ROCPRIM_400000_NS6detail17trampoline_kernelINS0_14default_configENS1_25partition_config_selectorILNS1_17partition_subalgoE5ElNS0_10empty_typeEbEEZZNS1_14partition_implILS5_5ELb0ES3_mN6hipcub16HIPCUB_304000_NS21CountingInputIteratorIllEEPS6_NSA_22TransformInputIteratorIb7NonZeroIsEPslEENS0_5tupleIJPlS6_EEENSJ_IJSD_SD_EEES6_SK_JS6_EEE10hipError_tPvRmT3_T4_T5_T6_T7_T9_mT8_P12ihipStream_tbDpT10_ENKUlT_T0_E_clISt17integral_constantIbLb1EES16_EEDaS11_S12_EUlS11_E_NS1_11comp_targetILNS1_3genE4ELNS1_11target_archE910ELNS1_3gpuE8ELNS1_3repE0EEENS1_30default_config_static_selectorELNS0_4arch9wavefront6targetE1EEEvT1_.num_named_barrier, 0
	.set _ZN7rocprim17ROCPRIM_400000_NS6detail17trampoline_kernelINS0_14default_configENS1_25partition_config_selectorILNS1_17partition_subalgoE5ElNS0_10empty_typeEbEEZZNS1_14partition_implILS5_5ELb0ES3_mN6hipcub16HIPCUB_304000_NS21CountingInputIteratorIllEEPS6_NSA_22TransformInputIteratorIb7NonZeroIsEPslEENS0_5tupleIJPlS6_EEENSJ_IJSD_SD_EEES6_SK_JS6_EEE10hipError_tPvRmT3_T4_T5_T6_T7_T9_mT8_P12ihipStream_tbDpT10_ENKUlT_T0_E_clISt17integral_constantIbLb1EES16_EEDaS11_S12_EUlS11_E_NS1_11comp_targetILNS1_3genE4ELNS1_11target_archE910ELNS1_3gpuE8ELNS1_3repE0EEENS1_30default_config_static_selectorELNS0_4arch9wavefront6targetE1EEEvT1_.private_seg_size, 0
	.set _ZN7rocprim17ROCPRIM_400000_NS6detail17trampoline_kernelINS0_14default_configENS1_25partition_config_selectorILNS1_17partition_subalgoE5ElNS0_10empty_typeEbEEZZNS1_14partition_implILS5_5ELb0ES3_mN6hipcub16HIPCUB_304000_NS21CountingInputIteratorIllEEPS6_NSA_22TransformInputIteratorIb7NonZeroIsEPslEENS0_5tupleIJPlS6_EEENSJ_IJSD_SD_EEES6_SK_JS6_EEE10hipError_tPvRmT3_T4_T5_T6_T7_T9_mT8_P12ihipStream_tbDpT10_ENKUlT_T0_E_clISt17integral_constantIbLb1EES16_EEDaS11_S12_EUlS11_E_NS1_11comp_targetILNS1_3genE4ELNS1_11target_archE910ELNS1_3gpuE8ELNS1_3repE0EEENS1_30default_config_static_selectorELNS0_4arch9wavefront6targetE1EEEvT1_.uses_vcc, 0
	.set _ZN7rocprim17ROCPRIM_400000_NS6detail17trampoline_kernelINS0_14default_configENS1_25partition_config_selectorILNS1_17partition_subalgoE5ElNS0_10empty_typeEbEEZZNS1_14partition_implILS5_5ELb0ES3_mN6hipcub16HIPCUB_304000_NS21CountingInputIteratorIllEEPS6_NSA_22TransformInputIteratorIb7NonZeroIsEPslEENS0_5tupleIJPlS6_EEENSJ_IJSD_SD_EEES6_SK_JS6_EEE10hipError_tPvRmT3_T4_T5_T6_T7_T9_mT8_P12ihipStream_tbDpT10_ENKUlT_T0_E_clISt17integral_constantIbLb1EES16_EEDaS11_S12_EUlS11_E_NS1_11comp_targetILNS1_3genE4ELNS1_11target_archE910ELNS1_3gpuE8ELNS1_3repE0EEENS1_30default_config_static_selectorELNS0_4arch9wavefront6targetE1EEEvT1_.uses_flat_scratch, 0
	.set _ZN7rocprim17ROCPRIM_400000_NS6detail17trampoline_kernelINS0_14default_configENS1_25partition_config_selectorILNS1_17partition_subalgoE5ElNS0_10empty_typeEbEEZZNS1_14partition_implILS5_5ELb0ES3_mN6hipcub16HIPCUB_304000_NS21CountingInputIteratorIllEEPS6_NSA_22TransformInputIteratorIb7NonZeroIsEPslEENS0_5tupleIJPlS6_EEENSJ_IJSD_SD_EEES6_SK_JS6_EEE10hipError_tPvRmT3_T4_T5_T6_T7_T9_mT8_P12ihipStream_tbDpT10_ENKUlT_T0_E_clISt17integral_constantIbLb1EES16_EEDaS11_S12_EUlS11_E_NS1_11comp_targetILNS1_3genE4ELNS1_11target_archE910ELNS1_3gpuE8ELNS1_3repE0EEENS1_30default_config_static_selectorELNS0_4arch9wavefront6targetE1EEEvT1_.has_dyn_sized_stack, 0
	.set _ZN7rocprim17ROCPRIM_400000_NS6detail17trampoline_kernelINS0_14default_configENS1_25partition_config_selectorILNS1_17partition_subalgoE5ElNS0_10empty_typeEbEEZZNS1_14partition_implILS5_5ELb0ES3_mN6hipcub16HIPCUB_304000_NS21CountingInputIteratorIllEEPS6_NSA_22TransformInputIteratorIb7NonZeroIsEPslEENS0_5tupleIJPlS6_EEENSJ_IJSD_SD_EEES6_SK_JS6_EEE10hipError_tPvRmT3_T4_T5_T6_T7_T9_mT8_P12ihipStream_tbDpT10_ENKUlT_T0_E_clISt17integral_constantIbLb1EES16_EEDaS11_S12_EUlS11_E_NS1_11comp_targetILNS1_3genE4ELNS1_11target_archE910ELNS1_3gpuE8ELNS1_3repE0EEENS1_30default_config_static_selectorELNS0_4arch9wavefront6targetE1EEEvT1_.has_recursion, 0
	.set _ZN7rocprim17ROCPRIM_400000_NS6detail17trampoline_kernelINS0_14default_configENS1_25partition_config_selectorILNS1_17partition_subalgoE5ElNS0_10empty_typeEbEEZZNS1_14partition_implILS5_5ELb0ES3_mN6hipcub16HIPCUB_304000_NS21CountingInputIteratorIllEEPS6_NSA_22TransformInputIteratorIb7NonZeroIsEPslEENS0_5tupleIJPlS6_EEENSJ_IJSD_SD_EEES6_SK_JS6_EEE10hipError_tPvRmT3_T4_T5_T6_T7_T9_mT8_P12ihipStream_tbDpT10_ENKUlT_T0_E_clISt17integral_constantIbLb1EES16_EEDaS11_S12_EUlS11_E_NS1_11comp_targetILNS1_3genE4ELNS1_11target_archE910ELNS1_3gpuE8ELNS1_3repE0EEENS1_30default_config_static_selectorELNS0_4arch9wavefront6targetE1EEEvT1_.has_indirect_call, 0
	.section	.AMDGPU.csdata,"",@progbits
; Kernel info:
; codeLenInByte = 0
; TotalNumSgprs: 4
; NumVgprs: 0
; ScratchSize: 0
; MemoryBound: 0
; FloatMode: 240
; IeeeMode: 1
; LDSByteSize: 0 bytes/workgroup (compile time only)
; SGPRBlocks: 0
; VGPRBlocks: 0
; NumSGPRsForWavesPerEU: 4
; NumVGPRsForWavesPerEU: 1
; Occupancy: 10
; WaveLimiterHint : 0
; COMPUTE_PGM_RSRC2:SCRATCH_EN: 0
; COMPUTE_PGM_RSRC2:USER_SGPR: 6
; COMPUTE_PGM_RSRC2:TRAP_HANDLER: 0
; COMPUTE_PGM_RSRC2:TGID_X_EN: 1
; COMPUTE_PGM_RSRC2:TGID_Y_EN: 0
; COMPUTE_PGM_RSRC2:TGID_Z_EN: 0
; COMPUTE_PGM_RSRC2:TIDIG_COMP_CNT: 0
	.section	.text._ZN7rocprim17ROCPRIM_400000_NS6detail17trampoline_kernelINS0_14default_configENS1_25partition_config_selectorILNS1_17partition_subalgoE5ElNS0_10empty_typeEbEEZZNS1_14partition_implILS5_5ELb0ES3_mN6hipcub16HIPCUB_304000_NS21CountingInputIteratorIllEEPS6_NSA_22TransformInputIteratorIb7NonZeroIsEPslEENS0_5tupleIJPlS6_EEENSJ_IJSD_SD_EEES6_SK_JS6_EEE10hipError_tPvRmT3_T4_T5_T6_T7_T9_mT8_P12ihipStream_tbDpT10_ENKUlT_T0_E_clISt17integral_constantIbLb1EES16_EEDaS11_S12_EUlS11_E_NS1_11comp_targetILNS1_3genE3ELNS1_11target_archE908ELNS1_3gpuE7ELNS1_3repE0EEENS1_30default_config_static_selectorELNS0_4arch9wavefront6targetE1EEEvT1_,"axG",@progbits,_ZN7rocprim17ROCPRIM_400000_NS6detail17trampoline_kernelINS0_14default_configENS1_25partition_config_selectorILNS1_17partition_subalgoE5ElNS0_10empty_typeEbEEZZNS1_14partition_implILS5_5ELb0ES3_mN6hipcub16HIPCUB_304000_NS21CountingInputIteratorIllEEPS6_NSA_22TransformInputIteratorIb7NonZeroIsEPslEENS0_5tupleIJPlS6_EEENSJ_IJSD_SD_EEES6_SK_JS6_EEE10hipError_tPvRmT3_T4_T5_T6_T7_T9_mT8_P12ihipStream_tbDpT10_ENKUlT_T0_E_clISt17integral_constantIbLb1EES16_EEDaS11_S12_EUlS11_E_NS1_11comp_targetILNS1_3genE3ELNS1_11target_archE908ELNS1_3gpuE7ELNS1_3repE0EEENS1_30default_config_static_selectorELNS0_4arch9wavefront6targetE1EEEvT1_,comdat
	.protected	_ZN7rocprim17ROCPRIM_400000_NS6detail17trampoline_kernelINS0_14default_configENS1_25partition_config_selectorILNS1_17partition_subalgoE5ElNS0_10empty_typeEbEEZZNS1_14partition_implILS5_5ELb0ES3_mN6hipcub16HIPCUB_304000_NS21CountingInputIteratorIllEEPS6_NSA_22TransformInputIteratorIb7NonZeroIsEPslEENS0_5tupleIJPlS6_EEENSJ_IJSD_SD_EEES6_SK_JS6_EEE10hipError_tPvRmT3_T4_T5_T6_T7_T9_mT8_P12ihipStream_tbDpT10_ENKUlT_T0_E_clISt17integral_constantIbLb1EES16_EEDaS11_S12_EUlS11_E_NS1_11comp_targetILNS1_3genE3ELNS1_11target_archE908ELNS1_3gpuE7ELNS1_3repE0EEENS1_30default_config_static_selectorELNS0_4arch9wavefront6targetE1EEEvT1_ ; -- Begin function _ZN7rocprim17ROCPRIM_400000_NS6detail17trampoline_kernelINS0_14default_configENS1_25partition_config_selectorILNS1_17partition_subalgoE5ElNS0_10empty_typeEbEEZZNS1_14partition_implILS5_5ELb0ES3_mN6hipcub16HIPCUB_304000_NS21CountingInputIteratorIllEEPS6_NSA_22TransformInputIteratorIb7NonZeroIsEPslEENS0_5tupleIJPlS6_EEENSJ_IJSD_SD_EEES6_SK_JS6_EEE10hipError_tPvRmT3_T4_T5_T6_T7_T9_mT8_P12ihipStream_tbDpT10_ENKUlT_T0_E_clISt17integral_constantIbLb1EES16_EEDaS11_S12_EUlS11_E_NS1_11comp_targetILNS1_3genE3ELNS1_11target_archE908ELNS1_3gpuE7ELNS1_3repE0EEENS1_30default_config_static_selectorELNS0_4arch9wavefront6targetE1EEEvT1_
	.globl	_ZN7rocprim17ROCPRIM_400000_NS6detail17trampoline_kernelINS0_14default_configENS1_25partition_config_selectorILNS1_17partition_subalgoE5ElNS0_10empty_typeEbEEZZNS1_14partition_implILS5_5ELb0ES3_mN6hipcub16HIPCUB_304000_NS21CountingInputIteratorIllEEPS6_NSA_22TransformInputIteratorIb7NonZeroIsEPslEENS0_5tupleIJPlS6_EEENSJ_IJSD_SD_EEES6_SK_JS6_EEE10hipError_tPvRmT3_T4_T5_T6_T7_T9_mT8_P12ihipStream_tbDpT10_ENKUlT_T0_E_clISt17integral_constantIbLb1EES16_EEDaS11_S12_EUlS11_E_NS1_11comp_targetILNS1_3genE3ELNS1_11target_archE908ELNS1_3gpuE7ELNS1_3repE0EEENS1_30default_config_static_selectorELNS0_4arch9wavefront6targetE1EEEvT1_
	.p2align	8
	.type	_ZN7rocprim17ROCPRIM_400000_NS6detail17trampoline_kernelINS0_14default_configENS1_25partition_config_selectorILNS1_17partition_subalgoE5ElNS0_10empty_typeEbEEZZNS1_14partition_implILS5_5ELb0ES3_mN6hipcub16HIPCUB_304000_NS21CountingInputIteratorIllEEPS6_NSA_22TransformInputIteratorIb7NonZeroIsEPslEENS0_5tupleIJPlS6_EEENSJ_IJSD_SD_EEES6_SK_JS6_EEE10hipError_tPvRmT3_T4_T5_T6_T7_T9_mT8_P12ihipStream_tbDpT10_ENKUlT_T0_E_clISt17integral_constantIbLb1EES16_EEDaS11_S12_EUlS11_E_NS1_11comp_targetILNS1_3genE3ELNS1_11target_archE908ELNS1_3gpuE7ELNS1_3repE0EEENS1_30default_config_static_selectorELNS0_4arch9wavefront6targetE1EEEvT1_,@function
_ZN7rocprim17ROCPRIM_400000_NS6detail17trampoline_kernelINS0_14default_configENS1_25partition_config_selectorILNS1_17partition_subalgoE5ElNS0_10empty_typeEbEEZZNS1_14partition_implILS5_5ELb0ES3_mN6hipcub16HIPCUB_304000_NS21CountingInputIteratorIllEEPS6_NSA_22TransformInputIteratorIb7NonZeroIsEPslEENS0_5tupleIJPlS6_EEENSJ_IJSD_SD_EEES6_SK_JS6_EEE10hipError_tPvRmT3_T4_T5_T6_T7_T9_mT8_P12ihipStream_tbDpT10_ENKUlT_T0_E_clISt17integral_constantIbLb1EES16_EEDaS11_S12_EUlS11_E_NS1_11comp_targetILNS1_3genE3ELNS1_11target_archE908ELNS1_3gpuE7ELNS1_3repE0EEENS1_30default_config_static_selectorELNS0_4arch9wavefront6targetE1EEEvT1_: ; @_ZN7rocprim17ROCPRIM_400000_NS6detail17trampoline_kernelINS0_14default_configENS1_25partition_config_selectorILNS1_17partition_subalgoE5ElNS0_10empty_typeEbEEZZNS1_14partition_implILS5_5ELb0ES3_mN6hipcub16HIPCUB_304000_NS21CountingInputIteratorIllEEPS6_NSA_22TransformInputIteratorIb7NonZeroIsEPslEENS0_5tupleIJPlS6_EEENSJ_IJSD_SD_EEES6_SK_JS6_EEE10hipError_tPvRmT3_T4_T5_T6_T7_T9_mT8_P12ihipStream_tbDpT10_ENKUlT_T0_E_clISt17integral_constantIbLb1EES16_EEDaS11_S12_EUlS11_E_NS1_11comp_targetILNS1_3genE3ELNS1_11target_archE908ELNS1_3gpuE7ELNS1_3repE0EEENS1_30default_config_static_selectorELNS0_4arch9wavefront6targetE1EEEvT1_
; %bb.0:
	.section	.rodata,"a",@progbits
	.p2align	6, 0x0
	.amdhsa_kernel _ZN7rocprim17ROCPRIM_400000_NS6detail17trampoline_kernelINS0_14default_configENS1_25partition_config_selectorILNS1_17partition_subalgoE5ElNS0_10empty_typeEbEEZZNS1_14partition_implILS5_5ELb0ES3_mN6hipcub16HIPCUB_304000_NS21CountingInputIteratorIllEEPS6_NSA_22TransformInputIteratorIb7NonZeroIsEPslEENS0_5tupleIJPlS6_EEENSJ_IJSD_SD_EEES6_SK_JS6_EEE10hipError_tPvRmT3_T4_T5_T6_T7_T9_mT8_P12ihipStream_tbDpT10_ENKUlT_T0_E_clISt17integral_constantIbLb1EES16_EEDaS11_S12_EUlS11_E_NS1_11comp_targetILNS1_3genE3ELNS1_11target_archE908ELNS1_3gpuE7ELNS1_3repE0EEENS1_30default_config_static_selectorELNS0_4arch9wavefront6targetE1EEEvT1_
		.amdhsa_group_segment_fixed_size 0
		.amdhsa_private_segment_fixed_size 0
		.amdhsa_kernarg_size 136
		.amdhsa_user_sgpr_count 6
		.amdhsa_user_sgpr_private_segment_buffer 1
		.amdhsa_user_sgpr_dispatch_ptr 0
		.amdhsa_user_sgpr_queue_ptr 0
		.amdhsa_user_sgpr_kernarg_segment_ptr 1
		.amdhsa_user_sgpr_dispatch_id 0
		.amdhsa_user_sgpr_flat_scratch_init 0
		.amdhsa_user_sgpr_private_segment_size 0
		.amdhsa_uses_dynamic_stack 0
		.amdhsa_system_sgpr_private_segment_wavefront_offset 0
		.amdhsa_system_sgpr_workgroup_id_x 1
		.amdhsa_system_sgpr_workgroup_id_y 0
		.amdhsa_system_sgpr_workgroup_id_z 0
		.amdhsa_system_sgpr_workgroup_info 0
		.amdhsa_system_vgpr_workitem_id 0
		.amdhsa_next_free_vgpr 1
		.amdhsa_next_free_sgpr 0
		.amdhsa_reserve_vcc 0
		.amdhsa_reserve_flat_scratch 0
		.amdhsa_float_round_mode_32 0
		.amdhsa_float_round_mode_16_64 0
		.amdhsa_float_denorm_mode_32 3
		.amdhsa_float_denorm_mode_16_64 3
		.amdhsa_dx10_clamp 1
		.amdhsa_ieee_mode 1
		.amdhsa_fp16_overflow 0
		.amdhsa_exception_fp_ieee_invalid_op 0
		.amdhsa_exception_fp_denorm_src 0
		.amdhsa_exception_fp_ieee_div_zero 0
		.amdhsa_exception_fp_ieee_overflow 0
		.amdhsa_exception_fp_ieee_underflow 0
		.amdhsa_exception_fp_ieee_inexact 0
		.amdhsa_exception_int_div_zero 0
	.end_amdhsa_kernel
	.section	.text._ZN7rocprim17ROCPRIM_400000_NS6detail17trampoline_kernelINS0_14default_configENS1_25partition_config_selectorILNS1_17partition_subalgoE5ElNS0_10empty_typeEbEEZZNS1_14partition_implILS5_5ELb0ES3_mN6hipcub16HIPCUB_304000_NS21CountingInputIteratorIllEEPS6_NSA_22TransformInputIteratorIb7NonZeroIsEPslEENS0_5tupleIJPlS6_EEENSJ_IJSD_SD_EEES6_SK_JS6_EEE10hipError_tPvRmT3_T4_T5_T6_T7_T9_mT8_P12ihipStream_tbDpT10_ENKUlT_T0_E_clISt17integral_constantIbLb1EES16_EEDaS11_S12_EUlS11_E_NS1_11comp_targetILNS1_3genE3ELNS1_11target_archE908ELNS1_3gpuE7ELNS1_3repE0EEENS1_30default_config_static_selectorELNS0_4arch9wavefront6targetE1EEEvT1_,"axG",@progbits,_ZN7rocprim17ROCPRIM_400000_NS6detail17trampoline_kernelINS0_14default_configENS1_25partition_config_selectorILNS1_17partition_subalgoE5ElNS0_10empty_typeEbEEZZNS1_14partition_implILS5_5ELb0ES3_mN6hipcub16HIPCUB_304000_NS21CountingInputIteratorIllEEPS6_NSA_22TransformInputIteratorIb7NonZeroIsEPslEENS0_5tupleIJPlS6_EEENSJ_IJSD_SD_EEES6_SK_JS6_EEE10hipError_tPvRmT3_T4_T5_T6_T7_T9_mT8_P12ihipStream_tbDpT10_ENKUlT_T0_E_clISt17integral_constantIbLb1EES16_EEDaS11_S12_EUlS11_E_NS1_11comp_targetILNS1_3genE3ELNS1_11target_archE908ELNS1_3gpuE7ELNS1_3repE0EEENS1_30default_config_static_selectorELNS0_4arch9wavefront6targetE1EEEvT1_,comdat
.Lfunc_end128:
	.size	_ZN7rocprim17ROCPRIM_400000_NS6detail17trampoline_kernelINS0_14default_configENS1_25partition_config_selectorILNS1_17partition_subalgoE5ElNS0_10empty_typeEbEEZZNS1_14partition_implILS5_5ELb0ES3_mN6hipcub16HIPCUB_304000_NS21CountingInputIteratorIllEEPS6_NSA_22TransformInputIteratorIb7NonZeroIsEPslEENS0_5tupleIJPlS6_EEENSJ_IJSD_SD_EEES6_SK_JS6_EEE10hipError_tPvRmT3_T4_T5_T6_T7_T9_mT8_P12ihipStream_tbDpT10_ENKUlT_T0_E_clISt17integral_constantIbLb1EES16_EEDaS11_S12_EUlS11_E_NS1_11comp_targetILNS1_3genE3ELNS1_11target_archE908ELNS1_3gpuE7ELNS1_3repE0EEENS1_30default_config_static_selectorELNS0_4arch9wavefront6targetE1EEEvT1_, .Lfunc_end128-_ZN7rocprim17ROCPRIM_400000_NS6detail17trampoline_kernelINS0_14default_configENS1_25partition_config_selectorILNS1_17partition_subalgoE5ElNS0_10empty_typeEbEEZZNS1_14partition_implILS5_5ELb0ES3_mN6hipcub16HIPCUB_304000_NS21CountingInputIteratorIllEEPS6_NSA_22TransformInputIteratorIb7NonZeroIsEPslEENS0_5tupleIJPlS6_EEENSJ_IJSD_SD_EEES6_SK_JS6_EEE10hipError_tPvRmT3_T4_T5_T6_T7_T9_mT8_P12ihipStream_tbDpT10_ENKUlT_T0_E_clISt17integral_constantIbLb1EES16_EEDaS11_S12_EUlS11_E_NS1_11comp_targetILNS1_3genE3ELNS1_11target_archE908ELNS1_3gpuE7ELNS1_3repE0EEENS1_30default_config_static_selectorELNS0_4arch9wavefront6targetE1EEEvT1_
                                        ; -- End function
	.set _ZN7rocprim17ROCPRIM_400000_NS6detail17trampoline_kernelINS0_14default_configENS1_25partition_config_selectorILNS1_17partition_subalgoE5ElNS0_10empty_typeEbEEZZNS1_14partition_implILS5_5ELb0ES3_mN6hipcub16HIPCUB_304000_NS21CountingInputIteratorIllEEPS6_NSA_22TransformInputIteratorIb7NonZeroIsEPslEENS0_5tupleIJPlS6_EEENSJ_IJSD_SD_EEES6_SK_JS6_EEE10hipError_tPvRmT3_T4_T5_T6_T7_T9_mT8_P12ihipStream_tbDpT10_ENKUlT_T0_E_clISt17integral_constantIbLb1EES16_EEDaS11_S12_EUlS11_E_NS1_11comp_targetILNS1_3genE3ELNS1_11target_archE908ELNS1_3gpuE7ELNS1_3repE0EEENS1_30default_config_static_selectorELNS0_4arch9wavefront6targetE1EEEvT1_.num_vgpr, 0
	.set _ZN7rocprim17ROCPRIM_400000_NS6detail17trampoline_kernelINS0_14default_configENS1_25partition_config_selectorILNS1_17partition_subalgoE5ElNS0_10empty_typeEbEEZZNS1_14partition_implILS5_5ELb0ES3_mN6hipcub16HIPCUB_304000_NS21CountingInputIteratorIllEEPS6_NSA_22TransformInputIteratorIb7NonZeroIsEPslEENS0_5tupleIJPlS6_EEENSJ_IJSD_SD_EEES6_SK_JS6_EEE10hipError_tPvRmT3_T4_T5_T6_T7_T9_mT8_P12ihipStream_tbDpT10_ENKUlT_T0_E_clISt17integral_constantIbLb1EES16_EEDaS11_S12_EUlS11_E_NS1_11comp_targetILNS1_3genE3ELNS1_11target_archE908ELNS1_3gpuE7ELNS1_3repE0EEENS1_30default_config_static_selectorELNS0_4arch9wavefront6targetE1EEEvT1_.num_agpr, 0
	.set _ZN7rocprim17ROCPRIM_400000_NS6detail17trampoline_kernelINS0_14default_configENS1_25partition_config_selectorILNS1_17partition_subalgoE5ElNS0_10empty_typeEbEEZZNS1_14partition_implILS5_5ELb0ES3_mN6hipcub16HIPCUB_304000_NS21CountingInputIteratorIllEEPS6_NSA_22TransformInputIteratorIb7NonZeroIsEPslEENS0_5tupleIJPlS6_EEENSJ_IJSD_SD_EEES6_SK_JS6_EEE10hipError_tPvRmT3_T4_T5_T6_T7_T9_mT8_P12ihipStream_tbDpT10_ENKUlT_T0_E_clISt17integral_constantIbLb1EES16_EEDaS11_S12_EUlS11_E_NS1_11comp_targetILNS1_3genE3ELNS1_11target_archE908ELNS1_3gpuE7ELNS1_3repE0EEENS1_30default_config_static_selectorELNS0_4arch9wavefront6targetE1EEEvT1_.numbered_sgpr, 0
	.set _ZN7rocprim17ROCPRIM_400000_NS6detail17trampoline_kernelINS0_14default_configENS1_25partition_config_selectorILNS1_17partition_subalgoE5ElNS0_10empty_typeEbEEZZNS1_14partition_implILS5_5ELb0ES3_mN6hipcub16HIPCUB_304000_NS21CountingInputIteratorIllEEPS6_NSA_22TransformInputIteratorIb7NonZeroIsEPslEENS0_5tupleIJPlS6_EEENSJ_IJSD_SD_EEES6_SK_JS6_EEE10hipError_tPvRmT3_T4_T5_T6_T7_T9_mT8_P12ihipStream_tbDpT10_ENKUlT_T0_E_clISt17integral_constantIbLb1EES16_EEDaS11_S12_EUlS11_E_NS1_11comp_targetILNS1_3genE3ELNS1_11target_archE908ELNS1_3gpuE7ELNS1_3repE0EEENS1_30default_config_static_selectorELNS0_4arch9wavefront6targetE1EEEvT1_.num_named_barrier, 0
	.set _ZN7rocprim17ROCPRIM_400000_NS6detail17trampoline_kernelINS0_14default_configENS1_25partition_config_selectorILNS1_17partition_subalgoE5ElNS0_10empty_typeEbEEZZNS1_14partition_implILS5_5ELb0ES3_mN6hipcub16HIPCUB_304000_NS21CountingInputIteratorIllEEPS6_NSA_22TransformInputIteratorIb7NonZeroIsEPslEENS0_5tupleIJPlS6_EEENSJ_IJSD_SD_EEES6_SK_JS6_EEE10hipError_tPvRmT3_T4_T5_T6_T7_T9_mT8_P12ihipStream_tbDpT10_ENKUlT_T0_E_clISt17integral_constantIbLb1EES16_EEDaS11_S12_EUlS11_E_NS1_11comp_targetILNS1_3genE3ELNS1_11target_archE908ELNS1_3gpuE7ELNS1_3repE0EEENS1_30default_config_static_selectorELNS0_4arch9wavefront6targetE1EEEvT1_.private_seg_size, 0
	.set _ZN7rocprim17ROCPRIM_400000_NS6detail17trampoline_kernelINS0_14default_configENS1_25partition_config_selectorILNS1_17partition_subalgoE5ElNS0_10empty_typeEbEEZZNS1_14partition_implILS5_5ELb0ES3_mN6hipcub16HIPCUB_304000_NS21CountingInputIteratorIllEEPS6_NSA_22TransformInputIteratorIb7NonZeroIsEPslEENS0_5tupleIJPlS6_EEENSJ_IJSD_SD_EEES6_SK_JS6_EEE10hipError_tPvRmT3_T4_T5_T6_T7_T9_mT8_P12ihipStream_tbDpT10_ENKUlT_T0_E_clISt17integral_constantIbLb1EES16_EEDaS11_S12_EUlS11_E_NS1_11comp_targetILNS1_3genE3ELNS1_11target_archE908ELNS1_3gpuE7ELNS1_3repE0EEENS1_30default_config_static_selectorELNS0_4arch9wavefront6targetE1EEEvT1_.uses_vcc, 0
	.set _ZN7rocprim17ROCPRIM_400000_NS6detail17trampoline_kernelINS0_14default_configENS1_25partition_config_selectorILNS1_17partition_subalgoE5ElNS0_10empty_typeEbEEZZNS1_14partition_implILS5_5ELb0ES3_mN6hipcub16HIPCUB_304000_NS21CountingInputIteratorIllEEPS6_NSA_22TransformInputIteratorIb7NonZeroIsEPslEENS0_5tupleIJPlS6_EEENSJ_IJSD_SD_EEES6_SK_JS6_EEE10hipError_tPvRmT3_T4_T5_T6_T7_T9_mT8_P12ihipStream_tbDpT10_ENKUlT_T0_E_clISt17integral_constantIbLb1EES16_EEDaS11_S12_EUlS11_E_NS1_11comp_targetILNS1_3genE3ELNS1_11target_archE908ELNS1_3gpuE7ELNS1_3repE0EEENS1_30default_config_static_selectorELNS0_4arch9wavefront6targetE1EEEvT1_.uses_flat_scratch, 0
	.set _ZN7rocprim17ROCPRIM_400000_NS6detail17trampoline_kernelINS0_14default_configENS1_25partition_config_selectorILNS1_17partition_subalgoE5ElNS0_10empty_typeEbEEZZNS1_14partition_implILS5_5ELb0ES3_mN6hipcub16HIPCUB_304000_NS21CountingInputIteratorIllEEPS6_NSA_22TransformInputIteratorIb7NonZeroIsEPslEENS0_5tupleIJPlS6_EEENSJ_IJSD_SD_EEES6_SK_JS6_EEE10hipError_tPvRmT3_T4_T5_T6_T7_T9_mT8_P12ihipStream_tbDpT10_ENKUlT_T0_E_clISt17integral_constantIbLb1EES16_EEDaS11_S12_EUlS11_E_NS1_11comp_targetILNS1_3genE3ELNS1_11target_archE908ELNS1_3gpuE7ELNS1_3repE0EEENS1_30default_config_static_selectorELNS0_4arch9wavefront6targetE1EEEvT1_.has_dyn_sized_stack, 0
	.set _ZN7rocprim17ROCPRIM_400000_NS6detail17trampoline_kernelINS0_14default_configENS1_25partition_config_selectorILNS1_17partition_subalgoE5ElNS0_10empty_typeEbEEZZNS1_14partition_implILS5_5ELb0ES3_mN6hipcub16HIPCUB_304000_NS21CountingInputIteratorIllEEPS6_NSA_22TransformInputIteratorIb7NonZeroIsEPslEENS0_5tupleIJPlS6_EEENSJ_IJSD_SD_EEES6_SK_JS6_EEE10hipError_tPvRmT3_T4_T5_T6_T7_T9_mT8_P12ihipStream_tbDpT10_ENKUlT_T0_E_clISt17integral_constantIbLb1EES16_EEDaS11_S12_EUlS11_E_NS1_11comp_targetILNS1_3genE3ELNS1_11target_archE908ELNS1_3gpuE7ELNS1_3repE0EEENS1_30default_config_static_selectorELNS0_4arch9wavefront6targetE1EEEvT1_.has_recursion, 0
	.set _ZN7rocprim17ROCPRIM_400000_NS6detail17trampoline_kernelINS0_14default_configENS1_25partition_config_selectorILNS1_17partition_subalgoE5ElNS0_10empty_typeEbEEZZNS1_14partition_implILS5_5ELb0ES3_mN6hipcub16HIPCUB_304000_NS21CountingInputIteratorIllEEPS6_NSA_22TransformInputIteratorIb7NonZeroIsEPslEENS0_5tupleIJPlS6_EEENSJ_IJSD_SD_EEES6_SK_JS6_EEE10hipError_tPvRmT3_T4_T5_T6_T7_T9_mT8_P12ihipStream_tbDpT10_ENKUlT_T0_E_clISt17integral_constantIbLb1EES16_EEDaS11_S12_EUlS11_E_NS1_11comp_targetILNS1_3genE3ELNS1_11target_archE908ELNS1_3gpuE7ELNS1_3repE0EEENS1_30default_config_static_selectorELNS0_4arch9wavefront6targetE1EEEvT1_.has_indirect_call, 0
	.section	.AMDGPU.csdata,"",@progbits
; Kernel info:
; codeLenInByte = 0
; TotalNumSgprs: 4
; NumVgprs: 0
; ScratchSize: 0
; MemoryBound: 0
; FloatMode: 240
; IeeeMode: 1
; LDSByteSize: 0 bytes/workgroup (compile time only)
; SGPRBlocks: 0
; VGPRBlocks: 0
; NumSGPRsForWavesPerEU: 4
; NumVGPRsForWavesPerEU: 1
; Occupancy: 10
; WaveLimiterHint : 0
; COMPUTE_PGM_RSRC2:SCRATCH_EN: 0
; COMPUTE_PGM_RSRC2:USER_SGPR: 6
; COMPUTE_PGM_RSRC2:TRAP_HANDLER: 0
; COMPUTE_PGM_RSRC2:TGID_X_EN: 1
; COMPUTE_PGM_RSRC2:TGID_Y_EN: 0
; COMPUTE_PGM_RSRC2:TGID_Z_EN: 0
; COMPUTE_PGM_RSRC2:TIDIG_COMP_CNT: 0
	.section	.text._ZN7rocprim17ROCPRIM_400000_NS6detail17trampoline_kernelINS0_14default_configENS1_25partition_config_selectorILNS1_17partition_subalgoE5ElNS0_10empty_typeEbEEZZNS1_14partition_implILS5_5ELb0ES3_mN6hipcub16HIPCUB_304000_NS21CountingInputIteratorIllEEPS6_NSA_22TransformInputIteratorIb7NonZeroIsEPslEENS0_5tupleIJPlS6_EEENSJ_IJSD_SD_EEES6_SK_JS6_EEE10hipError_tPvRmT3_T4_T5_T6_T7_T9_mT8_P12ihipStream_tbDpT10_ENKUlT_T0_E_clISt17integral_constantIbLb1EES16_EEDaS11_S12_EUlS11_E_NS1_11comp_targetILNS1_3genE2ELNS1_11target_archE906ELNS1_3gpuE6ELNS1_3repE0EEENS1_30default_config_static_selectorELNS0_4arch9wavefront6targetE1EEEvT1_,"axG",@progbits,_ZN7rocprim17ROCPRIM_400000_NS6detail17trampoline_kernelINS0_14default_configENS1_25partition_config_selectorILNS1_17partition_subalgoE5ElNS0_10empty_typeEbEEZZNS1_14partition_implILS5_5ELb0ES3_mN6hipcub16HIPCUB_304000_NS21CountingInputIteratorIllEEPS6_NSA_22TransformInputIteratorIb7NonZeroIsEPslEENS0_5tupleIJPlS6_EEENSJ_IJSD_SD_EEES6_SK_JS6_EEE10hipError_tPvRmT3_T4_T5_T6_T7_T9_mT8_P12ihipStream_tbDpT10_ENKUlT_T0_E_clISt17integral_constantIbLb1EES16_EEDaS11_S12_EUlS11_E_NS1_11comp_targetILNS1_3genE2ELNS1_11target_archE906ELNS1_3gpuE6ELNS1_3repE0EEENS1_30default_config_static_selectorELNS0_4arch9wavefront6targetE1EEEvT1_,comdat
	.protected	_ZN7rocprim17ROCPRIM_400000_NS6detail17trampoline_kernelINS0_14default_configENS1_25partition_config_selectorILNS1_17partition_subalgoE5ElNS0_10empty_typeEbEEZZNS1_14partition_implILS5_5ELb0ES3_mN6hipcub16HIPCUB_304000_NS21CountingInputIteratorIllEEPS6_NSA_22TransformInputIteratorIb7NonZeroIsEPslEENS0_5tupleIJPlS6_EEENSJ_IJSD_SD_EEES6_SK_JS6_EEE10hipError_tPvRmT3_T4_T5_T6_T7_T9_mT8_P12ihipStream_tbDpT10_ENKUlT_T0_E_clISt17integral_constantIbLb1EES16_EEDaS11_S12_EUlS11_E_NS1_11comp_targetILNS1_3genE2ELNS1_11target_archE906ELNS1_3gpuE6ELNS1_3repE0EEENS1_30default_config_static_selectorELNS0_4arch9wavefront6targetE1EEEvT1_ ; -- Begin function _ZN7rocprim17ROCPRIM_400000_NS6detail17trampoline_kernelINS0_14default_configENS1_25partition_config_selectorILNS1_17partition_subalgoE5ElNS0_10empty_typeEbEEZZNS1_14partition_implILS5_5ELb0ES3_mN6hipcub16HIPCUB_304000_NS21CountingInputIteratorIllEEPS6_NSA_22TransformInputIteratorIb7NonZeroIsEPslEENS0_5tupleIJPlS6_EEENSJ_IJSD_SD_EEES6_SK_JS6_EEE10hipError_tPvRmT3_T4_T5_T6_T7_T9_mT8_P12ihipStream_tbDpT10_ENKUlT_T0_E_clISt17integral_constantIbLb1EES16_EEDaS11_S12_EUlS11_E_NS1_11comp_targetILNS1_3genE2ELNS1_11target_archE906ELNS1_3gpuE6ELNS1_3repE0EEENS1_30default_config_static_selectorELNS0_4arch9wavefront6targetE1EEEvT1_
	.globl	_ZN7rocprim17ROCPRIM_400000_NS6detail17trampoline_kernelINS0_14default_configENS1_25partition_config_selectorILNS1_17partition_subalgoE5ElNS0_10empty_typeEbEEZZNS1_14partition_implILS5_5ELb0ES3_mN6hipcub16HIPCUB_304000_NS21CountingInputIteratorIllEEPS6_NSA_22TransformInputIteratorIb7NonZeroIsEPslEENS0_5tupleIJPlS6_EEENSJ_IJSD_SD_EEES6_SK_JS6_EEE10hipError_tPvRmT3_T4_T5_T6_T7_T9_mT8_P12ihipStream_tbDpT10_ENKUlT_T0_E_clISt17integral_constantIbLb1EES16_EEDaS11_S12_EUlS11_E_NS1_11comp_targetILNS1_3genE2ELNS1_11target_archE906ELNS1_3gpuE6ELNS1_3repE0EEENS1_30default_config_static_selectorELNS0_4arch9wavefront6targetE1EEEvT1_
	.p2align	8
	.type	_ZN7rocprim17ROCPRIM_400000_NS6detail17trampoline_kernelINS0_14default_configENS1_25partition_config_selectorILNS1_17partition_subalgoE5ElNS0_10empty_typeEbEEZZNS1_14partition_implILS5_5ELb0ES3_mN6hipcub16HIPCUB_304000_NS21CountingInputIteratorIllEEPS6_NSA_22TransformInputIteratorIb7NonZeroIsEPslEENS0_5tupleIJPlS6_EEENSJ_IJSD_SD_EEES6_SK_JS6_EEE10hipError_tPvRmT3_T4_T5_T6_T7_T9_mT8_P12ihipStream_tbDpT10_ENKUlT_T0_E_clISt17integral_constantIbLb1EES16_EEDaS11_S12_EUlS11_E_NS1_11comp_targetILNS1_3genE2ELNS1_11target_archE906ELNS1_3gpuE6ELNS1_3repE0EEENS1_30default_config_static_selectorELNS0_4arch9wavefront6targetE1EEEvT1_,@function
_ZN7rocprim17ROCPRIM_400000_NS6detail17trampoline_kernelINS0_14default_configENS1_25partition_config_selectorILNS1_17partition_subalgoE5ElNS0_10empty_typeEbEEZZNS1_14partition_implILS5_5ELb0ES3_mN6hipcub16HIPCUB_304000_NS21CountingInputIteratorIllEEPS6_NSA_22TransformInputIteratorIb7NonZeroIsEPslEENS0_5tupleIJPlS6_EEENSJ_IJSD_SD_EEES6_SK_JS6_EEE10hipError_tPvRmT3_T4_T5_T6_T7_T9_mT8_P12ihipStream_tbDpT10_ENKUlT_T0_E_clISt17integral_constantIbLb1EES16_EEDaS11_S12_EUlS11_E_NS1_11comp_targetILNS1_3genE2ELNS1_11target_archE906ELNS1_3gpuE6ELNS1_3repE0EEENS1_30default_config_static_selectorELNS0_4arch9wavefront6targetE1EEEvT1_: ; @_ZN7rocprim17ROCPRIM_400000_NS6detail17trampoline_kernelINS0_14default_configENS1_25partition_config_selectorILNS1_17partition_subalgoE5ElNS0_10empty_typeEbEEZZNS1_14partition_implILS5_5ELb0ES3_mN6hipcub16HIPCUB_304000_NS21CountingInputIteratorIllEEPS6_NSA_22TransformInputIteratorIb7NonZeroIsEPslEENS0_5tupleIJPlS6_EEENSJ_IJSD_SD_EEES6_SK_JS6_EEE10hipError_tPvRmT3_T4_T5_T6_T7_T9_mT8_P12ihipStream_tbDpT10_ENKUlT_T0_E_clISt17integral_constantIbLb1EES16_EEDaS11_S12_EUlS11_E_NS1_11comp_targetILNS1_3genE2ELNS1_11target_archE906ELNS1_3gpuE6ELNS1_3repE0EEENS1_30default_config_static_selectorELNS0_4arch9wavefront6targetE1EEEvT1_
; %bb.0:
	s_endpgm
	.section	.rodata,"a",@progbits
	.p2align	6, 0x0
	.amdhsa_kernel _ZN7rocprim17ROCPRIM_400000_NS6detail17trampoline_kernelINS0_14default_configENS1_25partition_config_selectorILNS1_17partition_subalgoE5ElNS0_10empty_typeEbEEZZNS1_14partition_implILS5_5ELb0ES3_mN6hipcub16HIPCUB_304000_NS21CountingInputIteratorIllEEPS6_NSA_22TransformInputIteratorIb7NonZeroIsEPslEENS0_5tupleIJPlS6_EEENSJ_IJSD_SD_EEES6_SK_JS6_EEE10hipError_tPvRmT3_T4_T5_T6_T7_T9_mT8_P12ihipStream_tbDpT10_ENKUlT_T0_E_clISt17integral_constantIbLb1EES16_EEDaS11_S12_EUlS11_E_NS1_11comp_targetILNS1_3genE2ELNS1_11target_archE906ELNS1_3gpuE6ELNS1_3repE0EEENS1_30default_config_static_selectorELNS0_4arch9wavefront6targetE1EEEvT1_
		.amdhsa_group_segment_fixed_size 0
		.amdhsa_private_segment_fixed_size 0
		.amdhsa_kernarg_size 136
		.amdhsa_user_sgpr_count 6
		.amdhsa_user_sgpr_private_segment_buffer 1
		.amdhsa_user_sgpr_dispatch_ptr 0
		.amdhsa_user_sgpr_queue_ptr 0
		.amdhsa_user_sgpr_kernarg_segment_ptr 1
		.amdhsa_user_sgpr_dispatch_id 0
		.amdhsa_user_sgpr_flat_scratch_init 0
		.amdhsa_user_sgpr_private_segment_size 0
		.amdhsa_uses_dynamic_stack 0
		.amdhsa_system_sgpr_private_segment_wavefront_offset 0
		.amdhsa_system_sgpr_workgroup_id_x 1
		.amdhsa_system_sgpr_workgroup_id_y 0
		.amdhsa_system_sgpr_workgroup_id_z 0
		.amdhsa_system_sgpr_workgroup_info 0
		.amdhsa_system_vgpr_workitem_id 0
		.amdhsa_next_free_vgpr 1
		.amdhsa_next_free_sgpr 0
		.amdhsa_reserve_vcc 0
		.amdhsa_reserve_flat_scratch 0
		.amdhsa_float_round_mode_32 0
		.amdhsa_float_round_mode_16_64 0
		.amdhsa_float_denorm_mode_32 3
		.amdhsa_float_denorm_mode_16_64 3
		.amdhsa_dx10_clamp 1
		.amdhsa_ieee_mode 1
		.amdhsa_fp16_overflow 0
		.amdhsa_exception_fp_ieee_invalid_op 0
		.amdhsa_exception_fp_denorm_src 0
		.amdhsa_exception_fp_ieee_div_zero 0
		.amdhsa_exception_fp_ieee_overflow 0
		.amdhsa_exception_fp_ieee_underflow 0
		.amdhsa_exception_fp_ieee_inexact 0
		.amdhsa_exception_int_div_zero 0
	.end_amdhsa_kernel
	.section	.text._ZN7rocprim17ROCPRIM_400000_NS6detail17trampoline_kernelINS0_14default_configENS1_25partition_config_selectorILNS1_17partition_subalgoE5ElNS0_10empty_typeEbEEZZNS1_14partition_implILS5_5ELb0ES3_mN6hipcub16HIPCUB_304000_NS21CountingInputIteratorIllEEPS6_NSA_22TransformInputIteratorIb7NonZeroIsEPslEENS0_5tupleIJPlS6_EEENSJ_IJSD_SD_EEES6_SK_JS6_EEE10hipError_tPvRmT3_T4_T5_T6_T7_T9_mT8_P12ihipStream_tbDpT10_ENKUlT_T0_E_clISt17integral_constantIbLb1EES16_EEDaS11_S12_EUlS11_E_NS1_11comp_targetILNS1_3genE2ELNS1_11target_archE906ELNS1_3gpuE6ELNS1_3repE0EEENS1_30default_config_static_selectorELNS0_4arch9wavefront6targetE1EEEvT1_,"axG",@progbits,_ZN7rocprim17ROCPRIM_400000_NS6detail17trampoline_kernelINS0_14default_configENS1_25partition_config_selectorILNS1_17partition_subalgoE5ElNS0_10empty_typeEbEEZZNS1_14partition_implILS5_5ELb0ES3_mN6hipcub16HIPCUB_304000_NS21CountingInputIteratorIllEEPS6_NSA_22TransformInputIteratorIb7NonZeroIsEPslEENS0_5tupleIJPlS6_EEENSJ_IJSD_SD_EEES6_SK_JS6_EEE10hipError_tPvRmT3_T4_T5_T6_T7_T9_mT8_P12ihipStream_tbDpT10_ENKUlT_T0_E_clISt17integral_constantIbLb1EES16_EEDaS11_S12_EUlS11_E_NS1_11comp_targetILNS1_3genE2ELNS1_11target_archE906ELNS1_3gpuE6ELNS1_3repE0EEENS1_30default_config_static_selectorELNS0_4arch9wavefront6targetE1EEEvT1_,comdat
.Lfunc_end129:
	.size	_ZN7rocprim17ROCPRIM_400000_NS6detail17trampoline_kernelINS0_14default_configENS1_25partition_config_selectorILNS1_17partition_subalgoE5ElNS0_10empty_typeEbEEZZNS1_14partition_implILS5_5ELb0ES3_mN6hipcub16HIPCUB_304000_NS21CountingInputIteratorIllEEPS6_NSA_22TransformInputIteratorIb7NonZeroIsEPslEENS0_5tupleIJPlS6_EEENSJ_IJSD_SD_EEES6_SK_JS6_EEE10hipError_tPvRmT3_T4_T5_T6_T7_T9_mT8_P12ihipStream_tbDpT10_ENKUlT_T0_E_clISt17integral_constantIbLb1EES16_EEDaS11_S12_EUlS11_E_NS1_11comp_targetILNS1_3genE2ELNS1_11target_archE906ELNS1_3gpuE6ELNS1_3repE0EEENS1_30default_config_static_selectorELNS0_4arch9wavefront6targetE1EEEvT1_, .Lfunc_end129-_ZN7rocprim17ROCPRIM_400000_NS6detail17trampoline_kernelINS0_14default_configENS1_25partition_config_selectorILNS1_17partition_subalgoE5ElNS0_10empty_typeEbEEZZNS1_14partition_implILS5_5ELb0ES3_mN6hipcub16HIPCUB_304000_NS21CountingInputIteratorIllEEPS6_NSA_22TransformInputIteratorIb7NonZeroIsEPslEENS0_5tupleIJPlS6_EEENSJ_IJSD_SD_EEES6_SK_JS6_EEE10hipError_tPvRmT3_T4_T5_T6_T7_T9_mT8_P12ihipStream_tbDpT10_ENKUlT_T0_E_clISt17integral_constantIbLb1EES16_EEDaS11_S12_EUlS11_E_NS1_11comp_targetILNS1_3genE2ELNS1_11target_archE906ELNS1_3gpuE6ELNS1_3repE0EEENS1_30default_config_static_selectorELNS0_4arch9wavefront6targetE1EEEvT1_
                                        ; -- End function
	.set _ZN7rocprim17ROCPRIM_400000_NS6detail17trampoline_kernelINS0_14default_configENS1_25partition_config_selectorILNS1_17partition_subalgoE5ElNS0_10empty_typeEbEEZZNS1_14partition_implILS5_5ELb0ES3_mN6hipcub16HIPCUB_304000_NS21CountingInputIteratorIllEEPS6_NSA_22TransformInputIteratorIb7NonZeroIsEPslEENS0_5tupleIJPlS6_EEENSJ_IJSD_SD_EEES6_SK_JS6_EEE10hipError_tPvRmT3_T4_T5_T6_T7_T9_mT8_P12ihipStream_tbDpT10_ENKUlT_T0_E_clISt17integral_constantIbLb1EES16_EEDaS11_S12_EUlS11_E_NS1_11comp_targetILNS1_3genE2ELNS1_11target_archE906ELNS1_3gpuE6ELNS1_3repE0EEENS1_30default_config_static_selectorELNS0_4arch9wavefront6targetE1EEEvT1_.num_vgpr, 0
	.set _ZN7rocprim17ROCPRIM_400000_NS6detail17trampoline_kernelINS0_14default_configENS1_25partition_config_selectorILNS1_17partition_subalgoE5ElNS0_10empty_typeEbEEZZNS1_14partition_implILS5_5ELb0ES3_mN6hipcub16HIPCUB_304000_NS21CountingInputIteratorIllEEPS6_NSA_22TransformInputIteratorIb7NonZeroIsEPslEENS0_5tupleIJPlS6_EEENSJ_IJSD_SD_EEES6_SK_JS6_EEE10hipError_tPvRmT3_T4_T5_T6_T7_T9_mT8_P12ihipStream_tbDpT10_ENKUlT_T0_E_clISt17integral_constantIbLb1EES16_EEDaS11_S12_EUlS11_E_NS1_11comp_targetILNS1_3genE2ELNS1_11target_archE906ELNS1_3gpuE6ELNS1_3repE0EEENS1_30default_config_static_selectorELNS0_4arch9wavefront6targetE1EEEvT1_.num_agpr, 0
	.set _ZN7rocprim17ROCPRIM_400000_NS6detail17trampoline_kernelINS0_14default_configENS1_25partition_config_selectorILNS1_17partition_subalgoE5ElNS0_10empty_typeEbEEZZNS1_14partition_implILS5_5ELb0ES3_mN6hipcub16HIPCUB_304000_NS21CountingInputIteratorIllEEPS6_NSA_22TransformInputIteratorIb7NonZeroIsEPslEENS0_5tupleIJPlS6_EEENSJ_IJSD_SD_EEES6_SK_JS6_EEE10hipError_tPvRmT3_T4_T5_T6_T7_T9_mT8_P12ihipStream_tbDpT10_ENKUlT_T0_E_clISt17integral_constantIbLb1EES16_EEDaS11_S12_EUlS11_E_NS1_11comp_targetILNS1_3genE2ELNS1_11target_archE906ELNS1_3gpuE6ELNS1_3repE0EEENS1_30default_config_static_selectorELNS0_4arch9wavefront6targetE1EEEvT1_.numbered_sgpr, 0
	.set _ZN7rocprim17ROCPRIM_400000_NS6detail17trampoline_kernelINS0_14default_configENS1_25partition_config_selectorILNS1_17partition_subalgoE5ElNS0_10empty_typeEbEEZZNS1_14partition_implILS5_5ELb0ES3_mN6hipcub16HIPCUB_304000_NS21CountingInputIteratorIllEEPS6_NSA_22TransformInputIteratorIb7NonZeroIsEPslEENS0_5tupleIJPlS6_EEENSJ_IJSD_SD_EEES6_SK_JS6_EEE10hipError_tPvRmT3_T4_T5_T6_T7_T9_mT8_P12ihipStream_tbDpT10_ENKUlT_T0_E_clISt17integral_constantIbLb1EES16_EEDaS11_S12_EUlS11_E_NS1_11comp_targetILNS1_3genE2ELNS1_11target_archE906ELNS1_3gpuE6ELNS1_3repE0EEENS1_30default_config_static_selectorELNS0_4arch9wavefront6targetE1EEEvT1_.num_named_barrier, 0
	.set _ZN7rocprim17ROCPRIM_400000_NS6detail17trampoline_kernelINS0_14default_configENS1_25partition_config_selectorILNS1_17partition_subalgoE5ElNS0_10empty_typeEbEEZZNS1_14partition_implILS5_5ELb0ES3_mN6hipcub16HIPCUB_304000_NS21CountingInputIteratorIllEEPS6_NSA_22TransformInputIteratorIb7NonZeroIsEPslEENS0_5tupleIJPlS6_EEENSJ_IJSD_SD_EEES6_SK_JS6_EEE10hipError_tPvRmT3_T4_T5_T6_T7_T9_mT8_P12ihipStream_tbDpT10_ENKUlT_T0_E_clISt17integral_constantIbLb1EES16_EEDaS11_S12_EUlS11_E_NS1_11comp_targetILNS1_3genE2ELNS1_11target_archE906ELNS1_3gpuE6ELNS1_3repE0EEENS1_30default_config_static_selectorELNS0_4arch9wavefront6targetE1EEEvT1_.private_seg_size, 0
	.set _ZN7rocprim17ROCPRIM_400000_NS6detail17trampoline_kernelINS0_14default_configENS1_25partition_config_selectorILNS1_17partition_subalgoE5ElNS0_10empty_typeEbEEZZNS1_14partition_implILS5_5ELb0ES3_mN6hipcub16HIPCUB_304000_NS21CountingInputIteratorIllEEPS6_NSA_22TransformInputIteratorIb7NonZeroIsEPslEENS0_5tupleIJPlS6_EEENSJ_IJSD_SD_EEES6_SK_JS6_EEE10hipError_tPvRmT3_T4_T5_T6_T7_T9_mT8_P12ihipStream_tbDpT10_ENKUlT_T0_E_clISt17integral_constantIbLb1EES16_EEDaS11_S12_EUlS11_E_NS1_11comp_targetILNS1_3genE2ELNS1_11target_archE906ELNS1_3gpuE6ELNS1_3repE0EEENS1_30default_config_static_selectorELNS0_4arch9wavefront6targetE1EEEvT1_.uses_vcc, 0
	.set _ZN7rocprim17ROCPRIM_400000_NS6detail17trampoline_kernelINS0_14default_configENS1_25partition_config_selectorILNS1_17partition_subalgoE5ElNS0_10empty_typeEbEEZZNS1_14partition_implILS5_5ELb0ES3_mN6hipcub16HIPCUB_304000_NS21CountingInputIteratorIllEEPS6_NSA_22TransformInputIteratorIb7NonZeroIsEPslEENS0_5tupleIJPlS6_EEENSJ_IJSD_SD_EEES6_SK_JS6_EEE10hipError_tPvRmT3_T4_T5_T6_T7_T9_mT8_P12ihipStream_tbDpT10_ENKUlT_T0_E_clISt17integral_constantIbLb1EES16_EEDaS11_S12_EUlS11_E_NS1_11comp_targetILNS1_3genE2ELNS1_11target_archE906ELNS1_3gpuE6ELNS1_3repE0EEENS1_30default_config_static_selectorELNS0_4arch9wavefront6targetE1EEEvT1_.uses_flat_scratch, 0
	.set _ZN7rocprim17ROCPRIM_400000_NS6detail17trampoline_kernelINS0_14default_configENS1_25partition_config_selectorILNS1_17partition_subalgoE5ElNS0_10empty_typeEbEEZZNS1_14partition_implILS5_5ELb0ES3_mN6hipcub16HIPCUB_304000_NS21CountingInputIteratorIllEEPS6_NSA_22TransformInputIteratorIb7NonZeroIsEPslEENS0_5tupleIJPlS6_EEENSJ_IJSD_SD_EEES6_SK_JS6_EEE10hipError_tPvRmT3_T4_T5_T6_T7_T9_mT8_P12ihipStream_tbDpT10_ENKUlT_T0_E_clISt17integral_constantIbLb1EES16_EEDaS11_S12_EUlS11_E_NS1_11comp_targetILNS1_3genE2ELNS1_11target_archE906ELNS1_3gpuE6ELNS1_3repE0EEENS1_30default_config_static_selectorELNS0_4arch9wavefront6targetE1EEEvT1_.has_dyn_sized_stack, 0
	.set _ZN7rocprim17ROCPRIM_400000_NS6detail17trampoline_kernelINS0_14default_configENS1_25partition_config_selectorILNS1_17partition_subalgoE5ElNS0_10empty_typeEbEEZZNS1_14partition_implILS5_5ELb0ES3_mN6hipcub16HIPCUB_304000_NS21CountingInputIteratorIllEEPS6_NSA_22TransformInputIteratorIb7NonZeroIsEPslEENS0_5tupleIJPlS6_EEENSJ_IJSD_SD_EEES6_SK_JS6_EEE10hipError_tPvRmT3_T4_T5_T6_T7_T9_mT8_P12ihipStream_tbDpT10_ENKUlT_T0_E_clISt17integral_constantIbLb1EES16_EEDaS11_S12_EUlS11_E_NS1_11comp_targetILNS1_3genE2ELNS1_11target_archE906ELNS1_3gpuE6ELNS1_3repE0EEENS1_30default_config_static_selectorELNS0_4arch9wavefront6targetE1EEEvT1_.has_recursion, 0
	.set _ZN7rocprim17ROCPRIM_400000_NS6detail17trampoline_kernelINS0_14default_configENS1_25partition_config_selectorILNS1_17partition_subalgoE5ElNS0_10empty_typeEbEEZZNS1_14partition_implILS5_5ELb0ES3_mN6hipcub16HIPCUB_304000_NS21CountingInputIteratorIllEEPS6_NSA_22TransformInputIteratorIb7NonZeroIsEPslEENS0_5tupleIJPlS6_EEENSJ_IJSD_SD_EEES6_SK_JS6_EEE10hipError_tPvRmT3_T4_T5_T6_T7_T9_mT8_P12ihipStream_tbDpT10_ENKUlT_T0_E_clISt17integral_constantIbLb1EES16_EEDaS11_S12_EUlS11_E_NS1_11comp_targetILNS1_3genE2ELNS1_11target_archE906ELNS1_3gpuE6ELNS1_3repE0EEENS1_30default_config_static_selectorELNS0_4arch9wavefront6targetE1EEEvT1_.has_indirect_call, 0
	.section	.AMDGPU.csdata,"",@progbits
; Kernel info:
; codeLenInByte = 4
; TotalNumSgprs: 4
; NumVgprs: 0
; ScratchSize: 0
; MemoryBound: 0
; FloatMode: 240
; IeeeMode: 1
; LDSByteSize: 0 bytes/workgroup (compile time only)
; SGPRBlocks: 0
; VGPRBlocks: 0
; NumSGPRsForWavesPerEU: 4
; NumVGPRsForWavesPerEU: 1
; Occupancy: 10
; WaveLimiterHint : 0
; COMPUTE_PGM_RSRC2:SCRATCH_EN: 0
; COMPUTE_PGM_RSRC2:USER_SGPR: 6
; COMPUTE_PGM_RSRC2:TRAP_HANDLER: 0
; COMPUTE_PGM_RSRC2:TGID_X_EN: 1
; COMPUTE_PGM_RSRC2:TGID_Y_EN: 0
; COMPUTE_PGM_RSRC2:TGID_Z_EN: 0
; COMPUTE_PGM_RSRC2:TIDIG_COMP_CNT: 0
	.section	.text._ZN7rocprim17ROCPRIM_400000_NS6detail17trampoline_kernelINS0_14default_configENS1_25partition_config_selectorILNS1_17partition_subalgoE5ElNS0_10empty_typeEbEEZZNS1_14partition_implILS5_5ELb0ES3_mN6hipcub16HIPCUB_304000_NS21CountingInputIteratorIllEEPS6_NSA_22TransformInputIteratorIb7NonZeroIsEPslEENS0_5tupleIJPlS6_EEENSJ_IJSD_SD_EEES6_SK_JS6_EEE10hipError_tPvRmT3_T4_T5_T6_T7_T9_mT8_P12ihipStream_tbDpT10_ENKUlT_T0_E_clISt17integral_constantIbLb1EES16_EEDaS11_S12_EUlS11_E_NS1_11comp_targetILNS1_3genE10ELNS1_11target_archE1200ELNS1_3gpuE4ELNS1_3repE0EEENS1_30default_config_static_selectorELNS0_4arch9wavefront6targetE1EEEvT1_,"axG",@progbits,_ZN7rocprim17ROCPRIM_400000_NS6detail17trampoline_kernelINS0_14default_configENS1_25partition_config_selectorILNS1_17partition_subalgoE5ElNS0_10empty_typeEbEEZZNS1_14partition_implILS5_5ELb0ES3_mN6hipcub16HIPCUB_304000_NS21CountingInputIteratorIllEEPS6_NSA_22TransformInputIteratorIb7NonZeroIsEPslEENS0_5tupleIJPlS6_EEENSJ_IJSD_SD_EEES6_SK_JS6_EEE10hipError_tPvRmT3_T4_T5_T6_T7_T9_mT8_P12ihipStream_tbDpT10_ENKUlT_T0_E_clISt17integral_constantIbLb1EES16_EEDaS11_S12_EUlS11_E_NS1_11comp_targetILNS1_3genE10ELNS1_11target_archE1200ELNS1_3gpuE4ELNS1_3repE0EEENS1_30default_config_static_selectorELNS0_4arch9wavefront6targetE1EEEvT1_,comdat
	.protected	_ZN7rocprim17ROCPRIM_400000_NS6detail17trampoline_kernelINS0_14default_configENS1_25partition_config_selectorILNS1_17partition_subalgoE5ElNS0_10empty_typeEbEEZZNS1_14partition_implILS5_5ELb0ES3_mN6hipcub16HIPCUB_304000_NS21CountingInputIteratorIllEEPS6_NSA_22TransformInputIteratorIb7NonZeroIsEPslEENS0_5tupleIJPlS6_EEENSJ_IJSD_SD_EEES6_SK_JS6_EEE10hipError_tPvRmT3_T4_T5_T6_T7_T9_mT8_P12ihipStream_tbDpT10_ENKUlT_T0_E_clISt17integral_constantIbLb1EES16_EEDaS11_S12_EUlS11_E_NS1_11comp_targetILNS1_3genE10ELNS1_11target_archE1200ELNS1_3gpuE4ELNS1_3repE0EEENS1_30default_config_static_selectorELNS0_4arch9wavefront6targetE1EEEvT1_ ; -- Begin function _ZN7rocprim17ROCPRIM_400000_NS6detail17trampoline_kernelINS0_14default_configENS1_25partition_config_selectorILNS1_17partition_subalgoE5ElNS0_10empty_typeEbEEZZNS1_14partition_implILS5_5ELb0ES3_mN6hipcub16HIPCUB_304000_NS21CountingInputIteratorIllEEPS6_NSA_22TransformInputIteratorIb7NonZeroIsEPslEENS0_5tupleIJPlS6_EEENSJ_IJSD_SD_EEES6_SK_JS6_EEE10hipError_tPvRmT3_T4_T5_T6_T7_T9_mT8_P12ihipStream_tbDpT10_ENKUlT_T0_E_clISt17integral_constantIbLb1EES16_EEDaS11_S12_EUlS11_E_NS1_11comp_targetILNS1_3genE10ELNS1_11target_archE1200ELNS1_3gpuE4ELNS1_3repE0EEENS1_30default_config_static_selectorELNS0_4arch9wavefront6targetE1EEEvT1_
	.globl	_ZN7rocprim17ROCPRIM_400000_NS6detail17trampoline_kernelINS0_14default_configENS1_25partition_config_selectorILNS1_17partition_subalgoE5ElNS0_10empty_typeEbEEZZNS1_14partition_implILS5_5ELb0ES3_mN6hipcub16HIPCUB_304000_NS21CountingInputIteratorIllEEPS6_NSA_22TransformInputIteratorIb7NonZeroIsEPslEENS0_5tupleIJPlS6_EEENSJ_IJSD_SD_EEES6_SK_JS6_EEE10hipError_tPvRmT3_T4_T5_T6_T7_T9_mT8_P12ihipStream_tbDpT10_ENKUlT_T0_E_clISt17integral_constantIbLb1EES16_EEDaS11_S12_EUlS11_E_NS1_11comp_targetILNS1_3genE10ELNS1_11target_archE1200ELNS1_3gpuE4ELNS1_3repE0EEENS1_30default_config_static_selectorELNS0_4arch9wavefront6targetE1EEEvT1_
	.p2align	8
	.type	_ZN7rocprim17ROCPRIM_400000_NS6detail17trampoline_kernelINS0_14default_configENS1_25partition_config_selectorILNS1_17partition_subalgoE5ElNS0_10empty_typeEbEEZZNS1_14partition_implILS5_5ELb0ES3_mN6hipcub16HIPCUB_304000_NS21CountingInputIteratorIllEEPS6_NSA_22TransformInputIteratorIb7NonZeroIsEPslEENS0_5tupleIJPlS6_EEENSJ_IJSD_SD_EEES6_SK_JS6_EEE10hipError_tPvRmT3_T4_T5_T6_T7_T9_mT8_P12ihipStream_tbDpT10_ENKUlT_T0_E_clISt17integral_constantIbLb1EES16_EEDaS11_S12_EUlS11_E_NS1_11comp_targetILNS1_3genE10ELNS1_11target_archE1200ELNS1_3gpuE4ELNS1_3repE0EEENS1_30default_config_static_selectorELNS0_4arch9wavefront6targetE1EEEvT1_,@function
_ZN7rocprim17ROCPRIM_400000_NS6detail17trampoline_kernelINS0_14default_configENS1_25partition_config_selectorILNS1_17partition_subalgoE5ElNS0_10empty_typeEbEEZZNS1_14partition_implILS5_5ELb0ES3_mN6hipcub16HIPCUB_304000_NS21CountingInputIteratorIllEEPS6_NSA_22TransformInputIteratorIb7NonZeroIsEPslEENS0_5tupleIJPlS6_EEENSJ_IJSD_SD_EEES6_SK_JS6_EEE10hipError_tPvRmT3_T4_T5_T6_T7_T9_mT8_P12ihipStream_tbDpT10_ENKUlT_T0_E_clISt17integral_constantIbLb1EES16_EEDaS11_S12_EUlS11_E_NS1_11comp_targetILNS1_3genE10ELNS1_11target_archE1200ELNS1_3gpuE4ELNS1_3repE0EEENS1_30default_config_static_selectorELNS0_4arch9wavefront6targetE1EEEvT1_: ; @_ZN7rocprim17ROCPRIM_400000_NS6detail17trampoline_kernelINS0_14default_configENS1_25partition_config_selectorILNS1_17partition_subalgoE5ElNS0_10empty_typeEbEEZZNS1_14partition_implILS5_5ELb0ES3_mN6hipcub16HIPCUB_304000_NS21CountingInputIteratorIllEEPS6_NSA_22TransformInputIteratorIb7NonZeroIsEPslEENS0_5tupleIJPlS6_EEENSJ_IJSD_SD_EEES6_SK_JS6_EEE10hipError_tPvRmT3_T4_T5_T6_T7_T9_mT8_P12ihipStream_tbDpT10_ENKUlT_T0_E_clISt17integral_constantIbLb1EES16_EEDaS11_S12_EUlS11_E_NS1_11comp_targetILNS1_3genE10ELNS1_11target_archE1200ELNS1_3gpuE4ELNS1_3repE0EEENS1_30default_config_static_selectorELNS0_4arch9wavefront6targetE1EEEvT1_
; %bb.0:
	.section	.rodata,"a",@progbits
	.p2align	6, 0x0
	.amdhsa_kernel _ZN7rocprim17ROCPRIM_400000_NS6detail17trampoline_kernelINS0_14default_configENS1_25partition_config_selectorILNS1_17partition_subalgoE5ElNS0_10empty_typeEbEEZZNS1_14partition_implILS5_5ELb0ES3_mN6hipcub16HIPCUB_304000_NS21CountingInputIteratorIllEEPS6_NSA_22TransformInputIteratorIb7NonZeroIsEPslEENS0_5tupleIJPlS6_EEENSJ_IJSD_SD_EEES6_SK_JS6_EEE10hipError_tPvRmT3_T4_T5_T6_T7_T9_mT8_P12ihipStream_tbDpT10_ENKUlT_T0_E_clISt17integral_constantIbLb1EES16_EEDaS11_S12_EUlS11_E_NS1_11comp_targetILNS1_3genE10ELNS1_11target_archE1200ELNS1_3gpuE4ELNS1_3repE0EEENS1_30default_config_static_selectorELNS0_4arch9wavefront6targetE1EEEvT1_
		.amdhsa_group_segment_fixed_size 0
		.amdhsa_private_segment_fixed_size 0
		.amdhsa_kernarg_size 136
		.amdhsa_user_sgpr_count 6
		.amdhsa_user_sgpr_private_segment_buffer 1
		.amdhsa_user_sgpr_dispatch_ptr 0
		.amdhsa_user_sgpr_queue_ptr 0
		.amdhsa_user_sgpr_kernarg_segment_ptr 1
		.amdhsa_user_sgpr_dispatch_id 0
		.amdhsa_user_sgpr_flat_scratch_init 0
		.amdhsa_user_sgpr_private_segment_size 0
		.amdhsa_uses_dynamic_stack 0
		.amdhsa_system_sgpr_private_segment_wavefront_offset 0
		.amdhsa_system_sgpr_workgroup_id_x 1
		.amdhsa_system_sgpr_workgroup_id_y 0
		.amdhsa_system_sgpr_workgroup_id_z 0
		.amdhsa_system_sgpr_workgroup_info 0
		.amdhsa_system_vgpr_workitem_id 0
		.amdhsa_next_free_vgpr 1
		.amdhsa_next_free_sgpr 0
		.amdhsa_reserve_vcc 0
		.amdhsa_reserve_flat_scratch 0
		.amdhsa_float_round_mode_32 0
		.amdhsa_float_round_mode_16_64 0
		.amdhsa_float_denorm_mode_32 3
		.amdhsa_float_denorm_mode_16_64 3
		.amdhsa_dx10_clamp 1
		.amdhsa_ieee_mode 1
		.amdhsa_fp16_overflow 0
		.amdhsa_exception_fp_ieee_invalid_op 0
		.amdhsa_exception_fp_denorm_src 0
		.amdhsa_exception_fp_ieee_div_zero 0
		.amdhsa_exception_fp_ieee_overflow 0
		.amdhsa_exception_fp_ieee_underflow 0
		.amdhsa_exception_fp_ieee_inexact 0
		.amdhsa_exception_int_div_zero 0
	.end_amdhsa_kernel
	.section	.text._ZN7rocprim17ROCPRIM_400000_NS6detail17trampoline_kernelINS0_14default_configENS1_25partition_config_selectorILNS1_17partition_subalgoE5ElNS0_10empty_typeEbEEZZNS1_14partition_implILS5_5ELb0ES3_mN6hipcub16HIPCUB_304000_NS21CountingInputIteratorIllEEPS6_NSA_22TransformInputIteratorIb7NonZeroIsEPslEENS0_5tupleIJPlS6_EEENSJ_IJSD_SD_EEES6_SK_JS6_EEE10hipError_tPvRmT3_T4_T5_T6_T7_T9_mT8_P12ihipStream_tbDpT10_ENKUlT_T0_E_clISt17integral_constantIbLb1EES16_EEDaS11_S12_EUlS11_E_NS1_11comp_targetILNS1_3genE10ELNS1_11target_archE1200ELNS1_3gpuE4ELNS1_3repE0EEENS1_30default_config_static_selectorELNS0_4arch9wavefront6targetE1EEEvT1_,"axG",@progbits,_ZN7rocprim17ROCPRIM_400000_NS6detail17trampoline_kernelINS0_14default_configENS1_25partition_config_selectorILNS1_17partition_subalgoE5ElNS0_10empty_typeEbEEZZNS1_14partition_implILS5_5ELb0ES3_mN6hipcub16HIPCUB_304000_NS21CountingInputIteratorIllEEPS6_NSA_22TransformInputIteratorIb7NonZeroIsEPslEENS0_5tupleIJPlS6_EEENSJ_IJSD_SD_EEES6_SK_JS6_EEE10hipError_tPvRmT3_T4_T5_T6_T7_T9_mT8_P12ihipStream_tbDpT10_ENKUlT_T0_E_clISt17integral_constantIbLb1EES16_EEDaS11_S12_EUlS11_E_NS1_11comp_targetILNS1_3genE10ELNS1_11target_archE1200ELNS1_3gpuE4ELNS1_3repE0EEENS1_30default_config_static_selectorELNS0_4arch9wavefront6targetE1EEEvT1_,comdat
.Lfunc_end130:
	.size	_ZN7rocprim17ROCPRIM_400000_NS6detail17trampoline_kernelINS0_14default_configENS1_25partition_config_selectorILNS1_17partition_subalgoE5ElNS0_10empty_typeEbEEZZNS1_14partition_implILS5_5ELb0ES3_mN6hipcub16HIPCUB_304000_NS21CountingInputIteratorIllEEPS6_NSA_22TransformInputIteratorIb7NonZeroIsEPslEENS0_5tupleIJPlS6_EEENSJ_IJSD_SD_EEES6_SK_JS6_EEE10hipError_tPvRmT3_T4_T5_T6_T7_T9_mT8_P12ihipStream_tbDpT10_ENKUlT_T0_E_clISt17integral_constantIbLb1EES16_EEDaS11_S12_EUlS11_E_NS1_11comp_targetILNS1_3genE10ELNS1_11target_archE1200ELNS1_3gpuE4ELNS1_3repE0EEENS1_30default_config_static_selectorELNS0_4arch9wavefront6targetE1EEEvT1_, .Lfunc_end130-_ZN7rocprim17ROCPRIM_400000_NS6detail17trampoline_kernelINS0_14default_configENS1_25partition_config_selectorILNS1_17partition_subalgoE5ElNS0_10empty_typeEbEEZZNS1_14partition_implILS5_5ELb0ES3_mN6hipcub16HIPCUB_304000_NS21CountingInputIteratorIllEEPS6_NSA_22TransformInputIteratorIb7NonZeroIsEPslEENS0_5tupleIJPlS6_EEENSJ_IJSD_SD_EEES6_SK_JS6_EEE10hipError_tPvRmT3_T4_T5_T6_T7_T9_mT8_P12ihipStream_tbDpT10_ENKUlT_T0_E_clISt17integral_constantIbLb1EES16_EEDaS11_S12_EUlS11_E_NS1_11comp_targetILNS1_3genE10ELNS1_11target_archE1200ELNS1_3gpuE4ELNS1_3repE0EEENS1_30default_config_static_selectorELNS0_4arch9wavefront6targetE1EEEvT1_
                                        ; -- End function
	.set _ZN7rocprim17ROCPRIM_400000_NS6detail17trampoline_kernelINS0_14default_configENS1_25partition_config_selectorILNS1_17partition_subalgoE5ElNS0_10empty_typeEbEEZZNS1_14partition_implILS5_5ELb0ES3_mN6hipcub16HIPCUB_304000_NS21CountingInputIteratorIllEEPS6_NSA_22TransformInputIteratorIb7NonZeroIsEPslEENS0_5tupleIJPlS6_EEENSJ_IJSD_SD_EEES6_SK_JS6_EEE10hipError_tPvRmT3_T4_T5_T6_T7_T9_mT8_P12ihipStream_tbDpT10_ENKUlT_T0_E_clISt17integral_constantIbLb1EES16_EEDaS11_S12_EUlS11_E_NS1_11comp_targetILNS1_3genE10ELNS1_11target_archE1200ELNS1_3gpuE4ELNS1_3repE0EEENS1_30default_config_static_selectorELNS0_4arch9wavefront6targetE1EEEvT1_.num_vgpr, 0
	.set _ZN7rocprim17ROCPRIM_400000_NS6detail17trampoline_kernelINS0_14default_configENS1_25partition_config_selectorILNS1_17partition_subalgoE5ElNS0_10empty_typeEbEEZZNS1_14partition_implILS5_5ELb0ES3_mN6hipcub16HIPCUB_304000_NS21CountingInputIteratorIllEEPS6_NSA_22TransformInputIteratorIb7NonZeroIsEPslEENS0_5tupleIJPlS6_EEENSJ_IJSD_SD_EEES6_SK_JS6_EEE10hipError_tPvRmT3_T4_T5_T6_T7_T9_mT8_P12ihipStream_tbDpT10_ENKUlT_T0_E_clISt17integral_constantIbLb1EES16_EEDaS11_S12_EUlS11_E_NS1_11comp_targetILNS1_3genE10ELNS1_11target_archE1200ELNS1_3gpuE4ELNS1_3repE0EEENS1_30default_config_static_selectorELNS0_4arch9wavefront6targetE1EEEvT1_.num_agpr, 0
	.set _ZN7rocprim17ROCPRIM_400000_NS6detail17trampoline_kernelINS0_14default_configENS1_25partition_config_selectorILNS1_17partition_subalgoE5ElNS0_10empty_typeEbEEZZNS1_14partition_implILS5_5ELb0ES3_mN6hipcub16HIPCUB_304000_NS21CountingInputIteratorIllEEPS6_NSA_22TransformInputIteratorIb7NonZeroIsEPslEENS0_5tupleIJPlS6_EEENSJ_IJSD_SD_EEES6_SK_JS6_EEE10hipError_tPvRmT3_T4_T5_T6_T7_T9_mT8_P12ihipStream_tbDpT10_ENKUlT_T0_E_clISt17integral_constantIbLb1EES16_EEDaS11_S12_EUlS11_E_NS1_11comp_targetILNS1_3genE10ELNS1_11target_archE1200ELNS1_3gpuE4ELNS1_3repE0EEENS1_30default_config_static_selectorELNS0_4arch9wavefront6targetE1EEEvT1_.numbered_sgpr, 0
	.set _ZN7rocprim17ROCPRIM_400000_NS6detail17trampoline_kernelINS0_14default_configENS1_25partition_config_selectorILNS1_17partition_subalgoE5ElNS0_10empty_typeEbEEZZNS1_14partition_implILS5_5ELb0ES3_mN6hipcub16HIPCUB_304000_NS21CountingInputIteratorIllEEPS6_NSA_22TransformInputIteratorIb7NonZeroIsEPslEENS0_5tupleIJPlS6_EEENSJ_IJSD_SD_EEES6_SK_JS6_EEE10hipError_tPvRmT3_T4_T5_T6_T7_T9_mT8_P12ihipStream_tbDpT10_ENKUlT_T0_E_clISt17integral_constantIbLb1EES16_EEDaS11_S12_EUlS11_E_NS1_11comp_targetILNS1_3genE10ELNS1_11target_archE1200ELNS1_3gpuE4ELNS1_3repE0EEENS1_30default_config_static_selectorELNS0_4arch9wavefront6targetE1EEEvT1_.num_named_barrier, 0
	.set _ZN7rocprim17ROCPRIM_400000_NS6detail17trampoline_kernelINS0_14default_configENS1_25partition_config_selectorILNS1_17partition_subalgoE5ElNS0_10empty_typeEbEEZZNS1_14partition_implILS5_5ELb0ES3_mN6hipcub16HIPCUB_304000_NS21CountingInputIteratorIllEEPS6_NSA_22TransformInputIteratorIb7NonZeroIsEPslEENS0_5tupleIJPlS6_EEENSJ_IJSD_SD_EEES6_SK_JS6_EEE10hipError_tPvRmT3_T4_T5_T6_T7_T9_mT8_P12ihipStream_tbDpT10_ENKUlT_T0_E_clISt17integral_constantIbLb1EES16_EEDaS11_S12_EUlS11_E_NS1_11comp_targetILNS1_3genE10ELNS1_11target_archE1200ELNS1_3gpuE4ELNS1_3repE0EEENS1_30default_config_static_selectorELNS0_4arch9wavefront6targetE1EEEvT1_.private_seg_size, 0
	.set _ZN7rocprim17ROCPRIM_400000_NS6detail17trampoline_kernelINS0_14default_configENS1_25partition_config_selectorILNS1_17partition_subalgoE5ElNS0_10empty_typeEbEEZZNS1_14partition_implILS5_5ELb0ES3_mN6hipcub16HIPCUB_304000_NS21CountingInputIteratorIllEEPS6_NSA_22TransformInputIteratorIb7NonZeroIsEPslEENS0_5tupleIJPlS6_EEENSJ_IJSD_SD_EEES6_SK_JS6_EEE10hipError_tPvRmT3_T4_T5_T6_T7_T9_mT8_P12ihipStream_tbDpT10_ENKUlT_T0_E_clISt17integral_constantIbLb1EES16_EEDaS11_S12_EUlS11_E_NS1_11comp_targetILNS1_3genE10ELNS1_11target_archE1200ELNS1_3gpuE4ELNS1_3repE0EEENS1_30default_config_static_selectorELNS0_4arch9wavefront6targetE1EEEvT1_.uses_vcc, 0
	.set _ZN7rocprim17ROCPRIM_400000_NS6detail17trampoline_kernelINS0_14default_configENS1_25partition_config_selectorILNS1_17partition_subalgoE5ElNS0_10empty_typeEbEEZZNS1_14partition_implILS5_5ELb0ES3_mN6hipcub16HIPCUB_304000_NS21CountingInputIteratorIllEEPS6_NSA_22TransformInputIteratorIb7NonZeroIsEPslEENS0_5tupleIJPlS6_EEENSJ_IJSD_SD_EEES6_SK_JS6_EEE10hipError_tPvRmT3_T4_T5_T6_T7_T9_mT8_P12ihipStream_tbDpT10_ENKUlT_T0_E_clISt17integral_constantIbLb1EES16_EEDaS11_S12_EUlS11_E_NS1_11comp_targetILNS1_3genE10ELNS1_11target_archE1200ELNS1_3gpuE4ELNS1_3repE0EEENS1_30default_config_static_selectorELNS0_4arch9wavefront6targetE1EEEvT1_.uses_flat_scratch, 0
	.set _ZN7rocprim17ROCPRIM_400000_NS6detail17trampoline_kernelINS0_14default_configENS1_25partition_config_selectorILNS1_17partition_subalgoE5ElNS0_10empty_typeEbEEZZNS1_14partition_implILS5_5ELb0ES3_mN6hipcub16HIPCUB_304000_NS21CountingInputIteratorIllEEPS6_NSA_22TransformInputIteratorIb7NonZeroIsEPslEENS0_5tupleIJPlS6_EEENSJ_IJSD_SD_EEES6_SK_JS6_EEE10hipError_tPvRmT3_T4_T5_T6_T7_T9_mT8_P12ihipStream_tbDpT10_ENKUlT_T0_E_clISt17integral_constantIbLb1EES16_EEDaS11_S12_EUlS11_E_NS1_11comp_targetILNS1_3genE10ELNS1_11target_archE1200ELNS1_3gpuE4ELNS1_3repE0EEENS1_30default_config_static_selectorELNS0_4arch9wavefront6targetE1EEEvT1_.has_dyn_sized_stack, 0
	.set _ZN7rocprim17ROCPRIM_400000_NS6detail17trampoline_kernelINS0_14default_configENS1_25partition_config_selectorILNS1_17partition_subalgoE5ElNS0_10empty_typeEbEEZZNS1_14partition_implILS5_5ELb0ES3_mN6hipcub16HIPCUB_304000_NS21CountingInputIteratorIllEEPS6_NSA_22TransformInputIteratorIb7NonZeroIsEPslEENS0_5tupleIJPlS6_EEENSJ_IJSD_SD_EEES6_SK_JS6_EEE10hipError_tPvRmT3_T4_T5_T6_T7_T9_mT8_P12ihipStream_tbDpT10_ENKUlT_T0_E_clISt17integral_constantIbLb1EES16_EEDaS11_S12_EUlS11_E_NS1_11comp_targetILNS1_3genE10ELNS1_11target_archE1200ELNS1_3gpuE4ELNS1_3repE0EEENS1_30default_config_static_selectorELNS0_4arch9wavefront6targetE1EEEvT1_.has_recursion, 0
	.set _ZN7rocprim17ROCPRIM_400000_NS6detail17trampoline_kernelINS0_14default_configENS1_25partition_config_selectorILNS1_17partition_subalgoE5ElNS0_10empty_typeEbEEZZNS1_14partition_implILS5_5ELb0ES3_mN6hipcub16HIPCUB_304000_NS21CountingInputIteratorIllEEPS6_NSA_22TransformInputIteratorIb7NonZeroIsEPslEENS0_5tupleIJPlS6_EEENSJ_IJSD_SD_EEES6_SK_JS6_EEE10hipError_tPvRmT3_T4_T5_T6_T7_T9_mT8_P12ihipStream_tbDpT10_ENKUlT_T0_E_clISt17integral_constantIbLb1EES16_EEDaS11_S12_EUlS11_E_NS1_11comp_targetILNS1_3genE10ELNS1_11target_archE1200ELNS1_3gpuE4ELNS1_3repE0EEENS1_30default_config_static_selectorELNS0_4arch9wavefront6targetE1EEEvT1_.has_indirect_call, 0
	.section	.AMDGPU.csdata,"",@progbits
; Kernel info:
; codeLenInByte = 0
; TotalNumSgprs: 4
; NumVgprs: 0
; ScratchSize: 0
; MemoryBound: 0
; FloatMode: 240
; IeeeMode: 1
; LDSByteSize: 0 bytes/workgroup (compile time only)
; SGPRBlocks: 0
; VGPRBlocks: 0
; NumSGPRsForWavesPerEU: 4
; NumVGPRsForWavesPerEU: 1
; Occupancy: 10
; WaveLimiterHint : 0
; COMPUTE_PGM_RSRC2:SCRATCH_EN: 0
; COMPUTE_PGM_RSRC2:USER_SGPR: 6
; COMPUTE_PGM_RSRC2:TRAP_HANDLER: 0
; COMPUTE_PGM_RSRC2:TGID_X_EN: 1
; COMPUTE_PGM_RSRC2:TGID_Y_EN: 0
; COMPUTE_PGM_RSRC2:TGID_Z_EN: 0
; COMPUTE_PGM_RSRC2:TIDIG_COMP_CNT: 0
	.section	.text._ZN7rocprim17ROCPRIM_400000_NS6detail17trampoline_kernelINS0_14default_configENS1_25partition_config_selectorILNS1_17partition_subalgoE5ElNS0_10empty_typeEbEEZZNS1_14partition_implILS5_5ELb0ES3_mN6hipcub16HIPCUB_304000_NS21CountingInputIteratorIllEEPS6_NSA_22TransformInputIteratorIb7NonZeroIsEPslEENS0_5tupleIJPlS6_EEENSJ_IJSD_SD_EEES6_SK_JS6_EEE10hipError_tPvRmT3_T4_T5_T6_T7_T9_mT8_P12ihipStream_tbDpT10_ENKUlT_T0_E_clISt17integral_constantIbLb1EES16_EEDaS11_S12_EUlS11_E_NS1_11comp_targetILNS1_3genE9ELNS1_11target_archE1100ELNS1_3gpuE3ELNS1_3repE0EEENS1_30default_config_static_selectorELNS0_4arch9wavefront6targetE1EEEvT1_,"axG",@progbits,_ZN7rocprim17ROCPRIM_400000_NS6detail17trampoline_kernelINS0_14default_configENS1_25partition_config_selectorILNS1_17partition_subalgoE5ElNS0_10empty_typeEbEEZZNS1_14partition_implILS5_5ELb0ES3_mN6hipcub16HIPCUB_304000_NS21CountingInputIteratorIllEEPS6_NSA_22TransformInputIteratorIb7NonZeroIsEPslEENS0_5tupleIJPlS6_EEENSJ_IJSD_SD_EEES6_SK_JS6_EEE10hipError_tPvRmT3_T4_T5_T6_T7_T9_mT8_P12ihipStream_tbDpT10_ENKUlT_T0_E_clISt17integral_constantIbLb1EES16_EEDaS11_S12_EUlS11_E_NS1_11comp_targetILNS1_3genE9ELNS1_11target_archE1100ELNS1_3gpuE3ELNS1_3repE0EEENS1_30default_config_static_selectorELNS0_4arch9wavefront6targetE1EEEvT1_,comdat
	.protected	_ZN7rocprim17ROCPRIM_400000_NS6detail17trampoline_kernelINS0_14default_configENS1_25partition_config_selectorILNS1_17partition_subalgoE5ElNS0_10empty_typeEbEEZZNS1_14partition_implILS5_5ELb0ES3_mN6hipcub16HIPCUB_304000_NS21CountingInputIteratorIllEEPS6_NSA_22TransformInputIteratorIb7NonZeroIsEPslEENS0_5tupleIJPlS6_EEENSJ_IJSD_SD_EEES6_SK_JS6_EEE10hipError_tPvRmT3_T4_T5_T6_T7_T9_mT8_P12ihipStream_tbDpT10_ENKUlT_T0_E_clISt17integral_constantIbLb1EES16_EEDaS11_S12_EUlS11_E_NS1_11comp_targetILNS1_3genE9ELNS1_11target_archE1100ELNS1_3gpuE3ELNS1_3repE0EEENS1_30default_config_static_selectorELNS0_4arch9wavefront6targetE1EEEvT1_ ; -- Begin function _ZN7rocprim17ROCPRIM_400000_NS6detail17trampoline_kernelINS0_14default_configENS1_25partition_config_selectorILNS1_17partition_subalgoE5ElNS0_10empty_typeEbEEZZNS1_14partition_implILS5_5ELb0ES3_mN6hipcub16HIPCUB_304000_NS21CountingInputIteratorIllEEPS6_NSA_22TransformInputIteratorIb7NonZeroIsEPslEENS0_5tupleIJPlS6_EEENSJ_IJSD_SD_EEES6_SK_JS6_EEE10hipError_tPvRmT3_T4_T5_T6_T7_T9_mT8_P12ihipStream_tbDpT10_ENKUlT_T0_E_clISt17integral_constantIbLb1EES16_EEDaS11_S12_EUlS11_E_NS1_11comp_targetILNS1_3genE9ELNS1_11target_archE1100ELNS1_3gpuE3ELNS1_3repE0EEENS1_30default_config_static_selectorELNS0_4arch9wavefront6targetE1EEEvT1_
	.globl	_ZN7rocprim17ROCPRIM_400000_NS6detail17trampoline_kernelINS0_14default_configENS1_25partition_config_selectorILNS1_17partition_subalgoE5ElNS0_10empty_typeEbEEZZNS1_14partition_implILS5_5ELb0ES3_mN6hipcub16HIPCUB_304000_NS21CountingInputIteratorIllEEPS6_NSA_22TransformInputIteratorIb7NonZeroIsEPslEENS0_5tupleIJPlS6_EEENSJ_IJSD_SD_EEES6_SK_JS6_EEE10hipError_tPvRmT3_T4_T5_T6_T7_T9_mT8_P12ihipStream_tbDpT10_ENKUlT_T0_E_clISt17integral_constantIbLb1EES16_EEDaS11_S12_EUlS11_E_NS1_11comp_targetILNS1_3genE9ELNS1_11target_archE1100ELNS1_3gpuE3ELNS1_3repE0EEENS1_30default_config_static_selectorELNS0_4arch9wavefront6targetE1EEEvT1_
	.p2align	8
	.type	_ZN7rocprim17ROCPRIM_400000_NS6detail17trampoline_kernelINS0_14default_configENS1_25partition_config_selectorILNS1_17partition_subalgoE5ElNS0_10empty_typeEbEEZZNS1_14partition_implILS5_5ELb0ES3_mN6hipcub16HIPCUB_304000_NS21CountingInputIteratorIllEEPS6_NSA_22TransformInputIteratorIb7NonZeroIsEPslEENS0_5tupleIJPlS6_EEENSJ_IJSD_SD_EEES6_SK_JS6_EEE10hipError_tPvRmT3_T4_T5_T6_T7_T9_mT8_P12ihipStream_tbDpT10_ENKUlT_T0_E_clISt17integral_constantIbLb1EES16_EEDaS11_S12_EUlS11_E_NS1_11comp_targetILNS1_3genE9ELNS1_11target_archE1100ELNS1_3gpuE3ELNS1_3repE0EEENS1_30default_config_static_selectorELNS0_4arch9wavefront6targetE1EEEvT1_,@function
_ZN7rocprim17ROCPRIM_400000_NS6detail17trampoline_kernelINS0_14default_configENS1_25partition_config_selectorILNS1_17partition_subalgoE5ElNS0_10empty_typeEbEEZZNS1_14partition_implILS5_5ELb0ES3_mN6hipcub16HIPCUB_304000_NS21CountingInputIteratorIllEEPS6_NSA_22TransformInputIteratorIb7NonZeroIsEPslEENS0_5tupleIJPlS6_EEENSJ_IJSD_SD_EEES6_SK_JS6_EEE10hipError_tPvRmT3_T4_T5_T6_T7_T9_mT8_P12ihipStream_tbDpT10_ENKUlT_T0_E_clISt17integral_constantIbLb1EES16_EEDaS11_S12_EUlS11_E_NS1_11comp_targetILNS1_3genE9ELNS1_11target_archE1100ELNS1_3gpuE3ELNS1_3repE0EEENS1_30default_config_static_selectorELNS0_4arch9wavefront6targetE1EEEvT1_: ; @_ZN7rocprim17ROCPRIM_400000_NS6detail17trampoline_kernelINS0_14default_configENS1_25partition_config_selectorILNS1_17partition_subalgoE5ElNS0_10empty_typeEbEEZZNS1_14partition_implILS5_5ELb0ES3_mN6hipcub16HIPCUB_304000_NS21CountingInputIteratorIllEEPS6_NSA_22TransformInputIteratorIb7NonZeroIsEPslEENS0_5tupleIJPlS6_EEENSJ_IJSD_SD_EEES6_SK_JS6_EEE10hipError_tPvRmT3_T4_T5_T6_T7_T9_mT8_P12ihipStream_tbDpT10_ENKUlT_T0_E_clISt17integral_constantIbLb1EES16_EEDaS11_S12_EUlS11_E_NS1_11comp_targetILNS1_3genE9ELNS1_11target_archE1100ELNS1_3gpuE3ELNS1_3repE0EEENS1_30default_config_static_selectorELNS0_4arch9wavefront6targetE1EEEvT1_
; %bb.0:
	.section	.rodata,"a",@progbits
	.p2align	6, 0x0
	.amdhsa_kernel _ZN7rocprim17ROCPRIM_400000_NS6detail17trampoline_kernelINS0_14default_configENS1_25partition_config_selectorILNS1_17partition_subalgoE5ElNS0_10empty_typeEbEEZZNS1_14partition_implILS5_5ELb0ES3_mN6hipcub16HIPCUB_304000_NS21CountingInputIteratorIllEEPS6_NSA_22TransformInputIteratorIb7NonZeroIsEPslEENS0_5tupleIJPlS6_EEENSJ_IJSD_SD_EEES6_SK_JS6_EEE10hipError_tPvRmT3_T4_T5_T6_T7_T9_mT8_P12ihipStream_tbDpT10_ENKUlT_T0_E_clISt17integral_constantIbLb1EES16_EEDaS11_S12_EUlS11_E_NS1_11comp_targetILNS1_3genE9ELNS1_11target_archE1100ELNS1_3gpuE3ELNS1_3repE0EEENS1_30default_config_static_selectorELNS0_4arch9wavefront6targetE1EEEvT1_
		.amdhsa_group_segment_fixed_size 0
		.amdhsa_private_segment_fixed_size 0
		.amdhsa_kernarg_size 136
		.amdhsa_user_sgpr_count 6
		.amdhsa_user_sgpr_private_segment_buffer 1
		.amdhsa_user_sgpr_dispatch_ptr 0
		.amdhsa_user_sgpr_queue_ptr 0
		.amdhsa_user_sgpr_kernarg_segment_ptr 1
		.amdhsa_user_sgpr_dispatch_id 0
		.amdhsa_user_sgpr_flat_scratch_init 0
		.amdhsa_user_sgpr_private_segment_size 0
		.amdhsa_uses_dynamic_stack 0
		.amdhsa_system_sgpr_private_segment_wavefront_offset 0
		.amdhsa_system_sgpr_workgroup_id_x 1
		.amdhsa_system_sgpr_workgroup_id_y 0
		.amdhsa_system_sgpr_workgroup_id_z 0
		.amdhsa_system_sgpr_workgroup_info 0
		.amdhsa_system_vgpr_workitem_id 0
		.amdhsa_next_free_vgpr 1
		.amdhsa_next_free_sgpr 0
		.amdhsa_reserve_vcc 0
		.amdhsa_reserve_flat_scratch 0
		.amdhsa_float_round_mode_32 0
		.amdhsa_float_round_mode_16_64 0
		.amdhsa_float_denorm_mode_32 3
		.amdhsa_float_denorm_mode_16_64 3
		.amdhsa_dx10_clamp 1
		.amdhsa_ieee_mode 1
		.amdhsa_fp16_overflow 0
		.amdhsa_exception_fp_ieee_invalid_op 0
		.amdhsa_exception_fp_denorm_src 0
		.amdhsa_exception_fp_ieee_div_zero 0
		.amdhsa_exception_fp_ieee_overflow 0
		.amdhsa_exception_fp_ieee_underflow 0
		.amdhsa_exception_fp_ieee_inexact 0
		.amdhsa_exception_int_div_zero 0
	.end_amdhsa_kernel
	.section	.text._ZN7rocprim17ROCPRIM_400000_NS6detail17trampoline_kernelINS0_14default_configENS1_25partition_config_selectorILNS1_17partition_subalgoE5ElNS0_10empty_typeEbEEZZNS1_14partition_implILS5_5ELb0ES3_mN6hipcub16HIPCUB_304000_NS21CountingInputIteratorIllEEPS6_NSA_22TransformInputIteratorIb7NonZeroIsEPslEENS0_5tupleIJPlS6_EEENSJ_IJSD_SD_EEES6_SK_JS6_EEE10hipError_tPvRmT3_T4_T5_T6_T7_T9_mT8_P12ihipStream_tbDpT10_ENKUlT_T0_E_clISt17integral_constantIbLb1EES16_EEDaS11_S12_EUlS11_E_NS1_11comp_targetILNS1_3genE9ELNS1_11target_archE1100ELNS1_3gpuE3ELNS1_3repE0EEENS1_30default_config_static_selectorELNS0_4arch9wavefront6targetE1EEEvT1_,"axG",@progbits,_ZN7rocprim17ROCPRIM_400000_NS6detail17trampoline_kernelINS0_14default_configENS1_25partition_config_selectorILNS1_17partition_subalgoE5ElNS0_10empty_typeEbEEZZNS1_14partition_implILS5_5ELb0ES3_mN6hipcub16HIPCUB_304000_NS21CountingInputIteratorIllEEPS6_NSA_22TransformInputIteratorIb7NonZeroIsEPslEENS0_5tupleIJPlS6_EEENSJ_IJSD_SD_EEES6_SK_JS6_EEE10hipError_tPvRmT3_T4_T5_T6_T7_T9_mT8_P12ihipStream_tbDpT10_ENKUlT_T0_E_clISt17integral_constantIbLb1EES16_EEDaS11_S12_EUlS11_E_NS1_11comp_targetILNS1_3genE9ELNS1_11target_archE1100ELNS1_3gpuE3ELNS1_3repE0EEENS1_30default_config_static_selectorELNS0_4arch9wavefront6targetE1EEEvT1_,comdat
.Lfunc_end131:
	.size	_ZN7rocprim17ROCPRIM_400000_NS6detail17trampoline_kernelINS0_14default_configENS1_25partition_config_selectorILNS1_17partition_subalgoE5ElNS0_10empty_typeEbEEZZNS1_14partition_implILS5_5ELb0ES3_mN6hipcub16HIPCUB_304000_NS21CountingInputIteratorIllEEPS6_NSA_22TransformInputIteratorIb7NonZeroIsEPslEENS0_5tupleIJPlS6_EEENSJ_IJSD_SD_EEES6_SK_JS6_EEE10hipError_tPvRmT3_T4_T5_T6_T7_T9_mT8_P12ihipStream_tbDpT10_ENKUlT_T0_E_clISt17integral_constantIbLb1EES16_EEDaS11_S12_EUlS11_E_NS1_11comp_targetILNS1_3genE9ELNS1_11target_archE1100ELNS1_3gpuE3ELNS1_3repE0EEENS1_30default_config_static_selectorELNS0_4arch9wavefront6targetE1EEEvT1_, .Lfunc_end131-_ZN7rocprim17ROCPRIM_400000_NS6detail17trampoline_kernelINS0_14default_configENS1_25partition_config_selectorILNS1_17partition_subalgoE5ElNS0_10empty_typeEbEEZZNS1_14partition_implILS5_5ELb0ES3_mN6hipcub16HIPCUB_304000_NS21CountingInputIteratorIllEEPS6_NSA_22TransformInputIteratorIb7NonZeroIsEPslEENS0_5tupleIJPlS6_EEENSJ_IJSD_SD_EEES6_SK_JS6_EEE10hipError_tPvRmT3_T4_T5_T6_T7_T9_mT8_P12ihipStream_tbDpT10_ENKUlT_T0_E_clISt17integral_constantIbLb1EES16_EEDaS11_S12_EUlS11_E_NS1_11comp_targetILNS1_3genE9ELNS1_11target_archE1100ELNS1_3gpuE3ELNS1_3repE0EEENS1_30default_config_static_selectorELNS0_4arch9wavefront6targetE1EEEvT1_
                                        ; -- End function
	.set _ZN7rocprim17ROCPRIM_400000_NS6detail17trampoline_kernelINS0_14default_configENS1_25partition_config_selectorILNS1_17partition_subalgoE5ElNS0_10empty_typeEbEEZZNS1_14partition_implILS5_5ELb0ES3_mN6hipcub16HIPCUB_304000_NS21CountingInputIteratorIllEEPS6_NSA_22TransformInputIteratorIb7NonZeroIsEPslEENS0_5tupleIJPlS6_EEENSJ_IJSD_SD_EEES6_SK_JS6_EEE10hipError_tPvRmT3_T4_T5_T6_T7_T9_mT8_P12ihipStream_tbDpT10_ENKUlT_T0_E_clISt17integral_constantIbLb1EES16_EEDaS11_S12_EUlS11_E_NS1_11comp_targetILNS1_3genE9ELNS1_11target_archE1100ELNS1_3gpuE3ELNS1_3repE0EEENS1_30default_config_static_selectorELNS0_4arch9wavefront6targetE1EEEvT1_.num_vgpr, 0
	.set _ZN7rocprim17ROCPRIM_400000_NS6detail17trampoline_kernelINS0_14default_configENS1_25partition_config_selectorILNS1_17partition_subalgoE5ElNS0_10empty_typeEbEEZZNS1_14partition_implILS5_5ELb0ES3_mN6hipcub16HIPCUB_304000_NS21CountingInputIteratorIllEEPS6_NSA_22TransformInputIteratorIb7NonZeroIsEPslEENS0_5tupleIJPlS6_EEENSJ_IJSD_SD_EEES6_SK_JS6_EEE10hipError_tPvRmT3_T4_T5_T6_T7_T9_mT8_P12ihipStream_tbDpT10_ENKUlT_T0_E_clISt17integral_constantIbLb1EES16_EEDaS11_S12_EUlS11_E_NS1_11comp_targetILNS1_3genE9ELNS1_11target_archE1100ELNS1_3gpuE3ELNS1_3repE0EEENS1_30default_config_static_selectorELNS0_4arch9wavefront6targetE1EEEvT1_.num_agpr, 0
	.set _ZN7rocprim17ROCPRIM_400000_NS6detail17trampoline_kernelINS0_14default_configENS1_25partition_config_selectorILNS1_17partition_subalgoE5ElNS0_10empty_typeEbEEZZNS1_14partition_implILS5_5ELb0ES3_mN6hipcub16HIPCUB_304000_NS21CountingInputIteratorIllEEPS6_NSA_22TransformInputIteratorIb7NonZeroIsEPslEENS0_5tupleIJPlS6_EEENSJ_IJSD_SD_EEES6_SK_JS6_EEE10hipError_tPvRmT3_T4_T5_T6_T7_T9_mT8_P12ihipStream_tbDpT10_ENKUlT_T0_E_clISt17integral_constantIbLb1EES16_EEDaS11_S12_EUlS11_E_NS1_11comp_targetILNS1_3genE9ELNS1_11target_archE1100ELNS1_3gpuE3ELNS1_3repE0EEENS1_30default_config_static_selectorELNS0_4arch9wavefront6targetE1EEEvT1_.numbered_sgpr, 0
	.set _ZN7rocprim17ROCPRIM_400000_NS6detail17trampoline_kernelINS0_14default_configENS1_25partition_config_selectorILNS1_17partition_subalgoE5ElNS0_10empty_typeEbEEZZNS1_14partition_implILS5_5ELb0ES3_mN6hipcub16HIPCUB_304000_NS21CountingInputIteratorIllEEPS6_NSA_22TransformInputIteratorIb7NonZeroIsEPslEENS0_5tupleIJPlS6_EEENSJ_IJSD_SD_EEES6_SK_JS6_EEE10hipError_tPvRmT3_T4_T5_T6_T7_T9_mT8_P12ihipStream_tbDpT10_ENKUlT_T0_E_clISt17integral_constantIbLb1EES16_EEDaS11_S12_EUlS11_E_NS1_11comp_targetILNS1_3genE9ELNS1_11target_archE1100ELNS1_3gpuE3ELNS1_3repE0EEENS1_30default_config_static_selectorELNS0_4arch9wavefront6targetE1EEEvT1_.num_named_barrier, 0
	.set _ZN7rocprim17ROCPRIM_400000_NS6detail17trampoline_kernelINS0_14default_configENS1_25partition_config_selectorILNS1_17partition_subalgoE5ElNS0_10empty_typeEbEEZZNS1_14partition_implILS5_5ELb0ES3_mN6hipcub16HIPCUB_304000_NS21CountingInputIteratorIllEEPS6_NSA_22TransformInputIteratorIb7NonZeroIsEPslEENS0_5tupleIJPlS6_EEENSJ_IJSD_SD_EEES6_SK_JS6_EEE10hipError_tPvRmT3_T4_T5_T6_T7_T9_mT8_P12ihipStream_tbDpT10_ENKUlT_T0_E_clISt17integral_constantIbLb1EES16_EEDaS11_S12_EUlS11_E_NS1_11comp_targetILNS1_3genE9ELNS1_11target_archE1100ELNS1_3gpuE3ELNS1_3repE0EEENS1_30default_config_static_selectorELNS0_4arch9wavefront6targetE1EEEvT1_.private_seg_size, 0
	.set _ZN7rocprim17ROCPRIM_400000_NS6detail17trampoline_kernelINS0_14default_configENS1_25partition_config_selectorILNS1_17partition_subalgoE5ElNS0_10empty_typeEbEEZZNS1_14partition_implILS5_5ELb0ES3_mN6hipcub16HIPCUB_304000_NS21CountingInputIteratorIllEEPS6_NSA_22TransformInputIteratorIb7NonZeroIsEPslEENS0_5tupleIJPlS6_EEENSJ_IJSD_SD_EEES6_SK_JS6_EEE10hipError_tPvRmT3_T4_T5_T6_T7_T9_mT8_P12ihipStream_tbDpT10_ENKUlT_T0_E_clISt17integral_constantIbLb1EES16_EEDaS11_S12_EUlS11_E_NS1_11comp_targetILNS1_3genE9ELNS1_11target_archE1100ELNS1_3gpuE3ELNS1_3repE0EEENS1_30default_config_static_selectorELNS0_4arch9wavefront6targetE1EEEvT1_.uses_vcc, 0
	.set _ZN7rocprim17ROCPRIM_400000_NS6detail17trampoline_kernelINS0_14default_configENS1_25partition_config_selectorILNS1_17partition_subalgoE5ElNS0_10empty_typeEbEEZZNS1_14partition_implILS5_5ELb0ES3_mN6hipcub16HIPCUB_304000_NS21CountingInputIteratorIllEEPS6_NSA_22TransformInputIteratorIb7NonZeroIsEPslEENS0_5tupleIJPlS6_EEENSJ_IJSD_SD_EEES6_SK_JS6_EEE10hipError_tPvRmT3_T4_T5_T6_T7_T9_mT8_P12ihipStream_tbDpT10_ENKUlT_T0_E_clISt17integral_constantIbLb1EES16_EEDaS11_S12_EUlS11_E_NS1_11comp_targetILNS1_3genE9ELNS1_11target_archE1100ELNS1_3gpuE3ELNS1_3repE0EEENS1_30default_config_static_selectorELNS0_4arch9wavefront6targetE1EEEvT1_.uses_flat_scratch, 0
	.set _ZN7rocprim17ROCPRIM_400000_NS6detail17trampoline_kernelINS0_14default_configENS1_25partition_config_selectorILNS1_17partition_subalgoE5ElNS0_10empty_typeEbEEZZNS1_14partition_implILS5_5ELb0ES3_mN6hipcub16HIPCUB_304000_NS21CountingInputIteratorIllEEPS6_NSA_22TransformInputIteratorIb7NonZeroIsEPslEENS0_5tupleIJPlS6_EEENSJ_IJSD_SD_EEES6_SK_JS6_EEE10hipError_tPvRmT3_T4_T5_T6_T7_T9_mT8_P12ihipStream_tbDpT10_ENKUlT_T0_E_clISt17integral_constantIbLb1EES16_EEDaS11_S12_EUlS11_E_NS1_11comp_targetILNS1_3genE9ELNS1_11target_archE1100ELNS1_3gpuE3ELNS1_3repE0EEENS1_30default_config_static_selectorELNS0_4arch9wavefront6targetE1EEEvT1_.has_dyn_sized_stack, 0
	.set _ZN7rocprim17ROCPRIM_400000_NS6detail17trampoline_kernelINS0_14default_configENS1_25partition_config_selectorILNS1_17partition_subalgoE5ElNS0_10empty_typeEbEEZZNS1_14partition_implILS5_5ELb0ES3_mN6hipcub16HIPCUB_304000_NS21CountingInputIteratorIllEEPS6_NSA_22TransformInputIteratorIb7NonZeroIsEPslEENS0_5tupleIJPlS6_EEENSJ_IJSD_SD_EEES6_SK_JS6_EEE10hipError_tPvRmT3_T4_T5_T6_T7_T9_mT8_P12ihipStream_tbDpT10_ENKUlT_T0_E_clISt17integral_constantIbLb1EES16_EEDaS11_S12_EUlS11_E_NS1_11comp_targetILNS1_3genE9ELNS1_11target_archE1100ELNS1_3gpuE3ELNS1_3repE0EEENS1_30default_config_static_selectorELNS0_4arch9wavefront6targetE1EEEvT1_.has_recursion, 0
	.set _ZN7rocprim17ROCPRIM_400000_NS6detail17trampoline_kernelINS0_14default_configENS1_25partition_config_selectorILNS1_17partition_subalgoE5ElNS0_10empty_typeEbEEZZNS1_14partition_implILS5_5ELb0ES3_mN6hipcub16HIPCUB_304000_NS21CountingInputIteratorIllEEPS6_NSA_22TransformInputIteratorIb7NonZeroIsEPslEENS0_5tupleIJPlS6_EEENSJ_IJSD_SD_EEES6_SK_JS6_EEE10hipError_tPvRmT3_T4_T5_T6_T7_T9_mT8_P12ihipStream_tbDpT10_ENKUlT_T0_E_clISt17integral_constantIbLb1EES16_EEDaS11_S12_EUlS11_E_NS1_11comp_targetILNS1_3genE9ELNS1_11target_archE1100ELNS1_3gpuE3ELNS1_3repE0EEENS1_30default_config_static_selectorELNS0_4arch9wavefront6targetE1EEEvT1_.has_indirect_call, 0
	.section	.AMDGPU.csdata,"",@progbits
; Kernel info:
; codeLenInByte = 0
; TotalNumSgprs: 4
; NumVgprs: 0
; ScratchSize: 0
; MemoryBound: 0
; FloatMode: 240
; IeeeMode: 1
; LDSByteSize: 0 bytes/workgroup (compile time only)
; SGPRBlocks: 0
; VGPRBlocks: 0
; NumSGPRsForWavesPerEU: 4
; NumVGPRsForWavesPerEU: 1
; Occupancy: 10
; WaveLimiterHint : 0
; COMPUTE_PGM_RSRC2:SCRATCH_EN: 0
; COMPUTE_PGM_RSRC2:USER_SGPR: 6
; COMPUTE_PGM_RSRC2:TRAP_HANDLER: 0
; COMPUTE_PGM_RSRC2:TGID_X_EN: 1
; COMPUTE_PGM_RSRC2:TGID_Y_EN: 0
; COMPUTE_PGM_RSRC2:TGID_Z_EN: 0
; COMPUTE_PGM_RSRC2:TIDIG_COMP_CNT: 0
	.section	.text._ZN7rocprim17ROCPRIM_400000_NS6detail17trampoline_kernelINS0_14default_configENS1_25partition_config_selectorILNS1_17partition_subalgoE5ElNS0_10empty_typeEbEEZZNS1_14partition_implILS5_5ELb0ES3_mN6hipcub16HIPCUB_304000_NS21CountingInputIteratorIllEEPS6_NSA_22TransformInputIteratorIb7NonZeroIsEPslEENS0_5tupleIJPlS6_EEENSJ_IJSD_SD_EEES6_SK_JS6_EEE10hipError_tPvRmT3_T4_T5_T6_T7_T9_mT8_P12ihipStream_tbDpT10_ENKUlT_T0_E_clISt17integral_constantIbLb1EES16_EEDaS11_S12_EUlS11_E_NS1_11comp_targetILNS1_3genE8ELNS1_11target_archE1030ELNS1_3gpuE2ELNS1_3repE0EEENS1_30default_config_static_selectorELNS0_4arch9wavefront6targetE1EEEvT1_,"axG",@progbits,_ZN7rocprim17ROCPRIM_400000_NS6detail17trampoline_kernelINS0_14default_configENS1_25partition_config_selectorILNS1_17partition_subalgoE5ElNS0_10empty_typeEbEEZZNS1_14partition_implILS5_5ELb0ES3_mN6hipcub16HIPCUB_304000_NS21CountingInputIteratorIllEEPS6_NSA_22TransformInputIteratorIb7NonZeroIsEPslEENS0_5tupleIJPlS6_EEENSJ_IJSD_SD_EEES6_SK_JS6_EEE10hipError_tPvRmT3_T4_T5_T6_T7_T9_mT8_P12ihipStream_tbDpT10_ENKUlT_T0_E_clISt17integral_constantIbLb1EES16_EEDaS11_S12_EUlS11_E_NS1_11comp_targetILNS1_3genE8ELNS1_11target_archE1030ELNS1_3gpuE2ELNS1_3repE0EEENS1_30default_config_static_selectorELNS0_4arch9wavefront6targetE1EEEvT1_,comdat
	.protected	_ZN7rocprim17ROCPRIM_400000_NS6detail17trampoline_kernelINS0_14default_configENS1_25partition_config_selectorILNS1_17partition_subalgoE5ElNS0_10empty_typeEbEEZZNS1_14partition_implILS5_5ELb0ES3_mN6hipcub16HIPCUB_304000_NS21CountingInputIteratorIllEEPS6_NSA_22TransformInputIteratorIb7NonZeroIsEPslEENS0_5tupleIJPlS6_EEENSJ_IJSD_SD_EEES6_SK_JS6_EEE10hipError_tPvRmT3_T4_T5_T6_T7_T9_mT8_P12ihipStream_tbDpT10_ENKUlT_T0_E_clISt17integral_constantIbLb1EES16_EEDaS11_S12_EUlS11_E_NS1_11comp_targetILNS1_3genE8ELNS1_11target_archE1030ELNS1_3gpuE2ELNS1_3repE0EEENS1_30default_config_static_selectorELNS0_4arch9wavefront6targetE1EEEvT1_ ; -- Begin function _ZN7rocprim17ROCPRIM_400000_NS6detail17trampoline_kernelINS0_14default_configENS1_25partition_config_selectorILNS1_17partition_subalgoE5ElNS0_10empty_typeEbEEZZNS1_14partition_implILS5_5ELb0ES3_mN6hipcub16HIPCUB_304000_NS21CountingInputIteratorIllEEPS6_NSA_22TransformInputIteratorIb7NonZeroIsEPslEENS0_5tupleIJPlS6_EEENSJ_IJSD_SD_EEES6_SK_JS6_EEE10hipError_tPvRmT3_T4_T5_T6_T7_T9_mT8_P12ihipStream_tbDpT10_ENKUlT_T0_E_clISt17integral_constantIbLb1EES16_EEDaS11_S12_EUlS11_E_NS1_11comp_targetILNS1_3genE8ELNS1_11target_archE1030ELNS1_3gpuE2ELNS1_3repE0EEENS1_30default_config_static_selectorELNS0_4arch9wavefront6targetE1EEEvT1_
	.globl	_ZN7rocprim17ROCPRIM_400000_NS6detail17trampoline_kernelINS0_14default_configENS1_25partition_config_selectorILNS1_17partition_subalgoE5ElNS0_10empty_typeEbEEZZNS1_14partition_implILS5_5ELb0ES3_mN6hipcub16HIPCUB_304000_NS21CountingInputIteratorIllEEPS6_NSA_22TransformInputIteratorIb7NonZeroIsEPslEENS0_5tupleIJPlS6_EEENSJ_IJSD_SD_EEES6_SK_JS6_EEE10hipError_tPvRmT3_T4_T5_T6_T7_T9_mT8_P12ihipStream_tbDpT10_ENKUlT_T0_E_clISt17integral_constantIbLb1EES16_EEDaS11_S12_EUlS11_E_NS1_11comp_targetILNS1_3genE8ELNS1_11target_archE1030ELNS1_3gpuE2ELNS1_3repE0EEENS1_30default_config_static_selectorELNS0_4arch9wavefront6targetE1EEEvT1_
	.p2align	8
	.type	_ZN7rocprim17ROCPRIM_400000_NS6detail17trampoline_kernelINS0_14default_configENS1_25partition_config_selectorILNS1_17partition_subalgoE5ElNS0_10empty_typeEbEEZZNS1_14partition_implILS5_5ELb0ES3_mN6hipcub16HIPCUB_304000_NS21CountingInputIteratorIllEEPS6_NSA_22TransformInputIteratorIb7NonZeroIsEPslEENS0_5tupleIJPlS6_EEENSJ_IJSD_SD_EEES6_SK_JS6_EEE10hipError_tPvRmT3_T4_T5_T6_T7_T9_mT8_P12ihipStream_tbDpT10_ENKUlT_T0_E_clISt17integral_constantIbLb1EES16_EEDaS11_S12_EUlS11_E_NS1_11comp_targetILNS1_3genE8ELNS1_11target_archE1030ELNS1_3gpuE2ELNS1_3repE0EEENS1_30default_config_static_selectorELNS0_4arch9wavefront6targetE1EEEvT1_,@function
_ZN7rocprim17ROCPRIM_400000_NS6detail17trampoline_kernelINS0_14default_configENS1_25partition_config_selectorILNS1_17partition_subalgoE5ElNS0_10empty_typeEbEEZZNS1_14partition_implILS5_5ELb0ES3_mN6hipcub16HIPCUB_304000_NS21CountingInputIteratorIllEEPS6_NSA_22TransformInputIteratorIb7NonZeroIsEPslEENS0_5tupleIJPlS6_EEENSJ_IJSD_SD_EEES6_SK_JS6_EEE10hipError_tPvRmT3_T4_T5_T6_T7_T9_mT8_P12ihipStream_tbDpT10_ENKUlT_T0_E_clISt17integral_constantIbLb1EES16_EEDaS11_S12_EUlS11_E_NS1_11comp_targetILNS1_3genE8ELNS1_11target_archE1030ELNS1_3gpuE2ELNS1_3repE0EEENS1_30default_config_static_selectorELNS0_4arch9wavefront6targetE1EEEvT1_: ; @_ZN7rocprim17ROCPRIM_400000_NS6detail17trampoline_kernelINS0_14default_configENS1_25partition_config_selectorILNS1_17partition_subalgoE5ElNS0_10empty_typeEbEEZZNS1_14partition_implILS5_5ELb0ES3_mN6hipcub16HIPCUB_304000_NS21CountingInputIteratorIllEEPS6_NSA_22TransformInputIteratorIb7NonZeroIsEPslEENS0_5tupleIJPlS6_EEENSJ_IJSD_SD_EEES6_SK_JS6_EEE10hipError_tPvRmT3_T4_T5_T6_T7_T9_mT8_P12ihipStream_tbDpT10_ENKUlT_T0_E_clISt17integral_constantIbLb1EES16_EEDaS11_S12_EUlS11_E_NS1_11comp_targetILNS1_3genE8ELNS1_11target_archE1030ELNS1_3gpuE2ELNS1_3repE0EEENS1_30default_config_static_selectorELNS0_4arch9wavefront6targetE1EEEvT1_
; %bb.0:
	.section	.rodata,"a",@progbits
	.p2align	6, 0x0
	.amdhsa_kernel _ZN7rocprim17ROCPRIM_400000_NS6detail17trampoline_kernelINS0_14default_configENS1_25partition_config_selectorILNS1_17partition_subalgoE5ElNS0_10empty_typeEbEEZZNS1_14partition_implILS5_5ELb0ES3_mN6hipcub16HIPCUB_304000_NS21CountingInputIteratorIllEEPS6_NSA_22TransformInputIteratorIb7NonZeroIsEPslEENS0_5tupleIJPlS6_EEENSJ_IJSD_SD_EEES6_SK_JS6_EEE10hipError_tPvRmT3_T4_T5_T6_T7_T9_mT8_P12ihipStream_tbDpT10_ENKUlT_T0_E_clISt17integral_constantIbLb1EES16_EEDaS11_S12_EUlS11_E_NS1_11comp_targetILNS1_3genE8ELNS1_11target_archE1030ELNS1_3gpuE2ELNS1_3repE0EEENS1_30default_config_static_selectorELNS0_4arch9wavefront6targetE1EEEvT1_
		.amdhsa_group_segment_fixed_size 0
		.amdhsa_private_segment_fixed_size 0
		.amdhsa_kernarg_size 136
		.amdhsa_user_sgpr_count 6
		.amdhsa_user_sgpr_private_segment_buffer 1
		.amdhsa_user_sgpr_dispatch_ptr 0
		.amdhsa_user_sgpr_queue_ptr 0
		.amdhsa_user_sgpr_kernarg_segment_ptr 1
		.amdhsa_user_sgpr_dispatch_id 0
		.amdhsa_user_sgpr_flat_scratch_init 0
		.amdhsa_user_sgpr_private_segment_size 0
		.amdhsa_uses_dynamic_stack 0
		.amdhsa_system_sgpr_private_segment_wavefront_offset 0
		.amdhsa_system_sgpr_workgroup_id_x 1
		.amdhsa_system_sgpr_workgroup_id_y 0
		.amdhsa_system_sgpr_workgroup_id_z 0
		.amdhsa_system_sgpr_workgroup_info 0
		.amdhsa_system_vgpr_workitem_id 0
		.amdhsa_next_free_vgpr 1
		.amdhsa_next_free_sgpr 0
		.amdhsa_reserve_vcc 0
		.amdhsa_reserve_flat_scratch 0
		.amdhsa_float_round_mode_32 0
		.amdhsa_float_round_mode_16_64 0
		.amdhsa_float_denorm_mode_32 3
		.amdhsa_float_denorm_mode_16_64 3
		.amdhsa_dx10_clamp 1
		.amdhsa_ieee_mode 1
		.amdhsa_fp16_overflow 0
		.amdhsa_exception_fp_ieee_invalid_op 0
		.amdhsa_exception_fp_denorm_src 0
		.amdhsa_exception_fp_ieee_div_zero 0
		.amdhsa_exception_fp_ieee_overflow 0
		.amdhsa_exception_fp_ieee_underflow 0
		.amdhsa_exception_fp_ieee_inexact 0
		.amdhsa_exception_int_div_zero 0
	.end_amdhsa_kernel
	.section	.text._ZN7rocprim17ROCPRIM_400000_NS6detail17trampoline_kernelINS0_14default_configENS1_25partition_config_selectorILNS1_17partition_subalgoE5ElNS0_10empty_typeEbEEZZNS1_14partition_implILS5_5ELb0ES3_mN6hipcub16HIPCUB_304000_NS21CountingInputIteratorIllEEPS6_NSA_22TransformInputIteratorIb7NonZeroIsEPslEENS0_5tupleIJPlS6_EEENSJ_IJSD_SD_EEES6_SK_JS6_EEE10hipError_tPvRmT3_T4_T5_T6_T7_T9_mT8_P12ihipStream_tbDpT10_ENKUlT_T0_E_clISt17integral_constantIbLb1EES16_EEDaS11_S12_EUlS11_E_NS1_11comp_targetILNS1_3genE8ELNS1_11target_archE1030ELNS1_3gpuE2ELNS1_3repE0EEENS1_30default_config_static_selectorELNS0_4arch9wavefront6targetE1EEEvT1_,"axG",@progbits,_ZN7rocprim17ROCPRIM_400000_NS6detail17trampoline_kernelINS0_14default_configENS1_25partition_config_selectorILNS1_17partition_subalgoE5ElNS0_10empty_typeEbEEZZNS1_14partition_implILS5_5ELb0ES3_mN6hipcub16HIPCUB_304000_NS21CountingInputIteratorIllEEPS6_NSA_22TransformInputIteratorIb7NonZeroIsEPslEENS0_5tupleIJPlS6_EEENSJ_IJSD_SD_EEES6_SK_JS6_EEE10hipError_tPvRmT3_T4_T5_T6_T7_T9_mT8_P12ihipStream_tbDpT10_ENKUlT_T0_E_clISt17integral_constantIbLb1EES16_EEDaS11_S12_EUlS11_E_NS1_11comp_targetILNS1_3genE8ELNS1_11target_archE1030ELNS1_3gpuE2ELNS1_3repE0EEENS1_30default_config_static_selectorELNS0_4arch9wavefront6targetE1EEEvT1_,comdat
.Lfunc_end132:
	.size	_ZN7rocprim17ROCPRIM_400000_NS6detail17trampoline_kernelINS0_14default_configENS1_25partition_config_selectorILNS1_17partition_subalgoE5ElNS0_10empty_typeEbEEZZNS1_14partition_implILS5_5ELb0ES3_mN6hipcub16HIPCUB_304000_NS21CountingInputIteratorIllEEPS6_NSA_22TransformInputIteratorIb7NonZeroIsEPslEENS0_5tupleIJPlS6_EEENSJ_IJSD_SD_EEES6_SK_JS6_EEE10hipError_tPvRmT3_T4_T5_T6_T7_T9_mT8_P12ihipStream_tbDpT10_ENKUlT_T0_E_clISt17integral_constantIbLb1EES16_EEDaS11_S12_EUlS11_E_NS1_11comp_targetILNS1_3genE8ELNS1_11target_archE1030ELNS1_3gpuE2ELNS1_3repE0EEENS1_30default_config_static_selectorELNS0_4arch9wavefront6targetE1EEEvT1_, .Lfunc_end132-_ZN7rocprim17ROCPRIM_400000_NS6detail17trampoline_kernelINS0_14default_configENS1_25partition_config_selectorILNS1_17partition_subalgoE5ElNS0_10empty_typeEbEEZZNS1_14partition_implILS5_5ELb0ES3_mN6hipcub16HIPCUB_304000_NS21CountingInputIteratorIllEEPS6_NSA_22TransformInputIteratorIb7NonZeroIsEPslEENS0_5tupleIJPlS6_EEENSJ_IJSD_SD_EEES6_SK_JS6_EEE10hipError_tPvRmT3_T4_T5_T6_T7_T9_mT8_P12ihipStream_tbDpT10_ENKUlT_T0_E_clISt17integral_constantIbLb1EES16_EEDaS11_S12_EUlS11_E_NS1_11comp_targetILNS1_3genE8ELNS1_11target_archE1030ELNS1_3gpuE2ELNS1_3repE0EEENS1_30default_config_static_selectorELNS0_4arch9wavefront6targetE1EEEvT1_
                                        ; -- End function
	.set _ZN7rocprim17ROCPRIM_400000_NS6detail17trampoline_kernelINS0_14default_configENS1_25partition_config_selectorILNS1_17partition_subalgoE5ElNS0_10empty_typeEbEEZZNS1_14partition_implILS5_5ELb0ES3_mN6hipcub16HIPCUB_304000_NS21CountingInputIteratorIllEEPS6_NSA_22TransformInputIteratorIb7NonZeroIsEPslEENS0_5tupleIJPlS6_EEENSJ_IJSD_SD_EEES6_SK_JS6_EEE10hipError_tPvRmT3_T4_T5_T6_T7_T9_mT8_P12ihipStream_tbDpT10_ENKUlT_T0_E_clISt17integral_constantIbLb1EES16_EEDaS11_S12_EUlS11_E_NS1_11comp_targetILNS1_3genE8ELNS1_11target_archE1030ELNS1_3gpuE2ELNS1_3repE0EEENS1_30default_config_static_selectorELNS0_4arch9wavefront6targetE1EEEvT1_.num_vgpr, 0
	.set _ZN7rocprim17ROCPRIM_400000_NS6detail17trampoline_kernelINS0_14default_configENS1_25partition_config_selectorILNS1_17partition_subalgoE5ElNS0_10empty_typeEbEEZZNS1_14partition_implILS5_5ELb0ES3_mN6hipcub16HIPCUB_304000_NS21CountingInputIteratorIllEEPS6_NSA_22TransformInputIteratorIb7NonZeroIsEPslEENS0_5tupleIJPlS6_EEENSJ_IJSD_SD_EEES6_SK_JS6_EEE10hipError_tPvRmT3_T4_T5_T6_T7_T9_mT8_P12ihipStream_tbDpT10_ENKUlT_T0_E_clISt17integral_constantIbLb1EES16_EEDaS11_S12_EUlS11_E_NS1_11comp_targetILNS1_3genE8ELNS1_11target_archE1030ELNS1_3gpuE2ELNS1_3repE0EEENS1_30default_config_static_selectorELNS0_4arch9wavefront6targetE1EEEvT1_.num_agpr, 0
	.set _ZN7rocprim17ROCPRIM_400000_NS6detail17trampoline_kernelINS0_14default_configENS1_25partition_config_selectorILNS1_17partition_subalgoE5ElNS0_10empty_typeEbEEZZNS1_14partition_implILS5_5ELb0ES3_mN6hipcub16HIPCUB_304000_NS21CountingInputIteratorIllEEPS6_NSA_22TransformInputIteratorIb7NonZeroIsEPslEENS0_5tupleIJPlS6_EEENSJ_IJSD_SD_EEES6_SK_JS6_EEE10hipError_tPvRmT3_T4_T5_T6_T7_T9_mT8_P12ihipStream_tbDpT10_ENKUlT_T0_E_clISt17integral_constantIbLb1EES16_EEDaS11_S12_EUlS11_E_NS1_11comp_targetILNS1_3genE8ELNS1_11target_archE1030ELNS1_3gpuE2ELNS1_3repE0EEENS1_30default_config_static_selectorELNS0_4arch9wavefront6targetE1EEEvT1_.numbered_sgpr, 0
	.set _ZN7rocprim17ROCPRIM_400000_NS6detail17trampoline_kernelINS0_14default_configENS1_25partition_config_selectorILNS1_17partition_subalgoE5ElNS0_10empty_typeEbEEZZNS1_14partition_implILS5_5ELb0ES3_mN6hipcub16HIPCUB_304000_NS21CountingInputIteratorIllEEPS6_NSA_22TransformInputIteratorIb7NonZeroIsEPslEENS0_5tupleIJPlS6_EEENSJ_IJSD_SD_EEES6_SK_JS6_EEE10hipError_tPvRmT3_T4_T5_T6_T7_T9_mT8_P12ihipStream_tbDpT10_ENKUlT_T0_E_clISt17integral_constantIbLb1EES16_EEDaS11_S12_EUlS11_E_NS1_11comp_targetILNS1_3genE8ELNS1_11target_archE1030ELNS1_3gpuE2ELNS1_3repE0EEENS1_30default_config_static_selectorELNS0_4arch9wavefront6targetE1EEEvT1_.num_named_barrier, 0
	.set _ZN7rocprim17ROCPRIM_400000_NS6detail17trampoline_kernelINS0_14default_configENS1_25partition_config_selectorILNS1_17partition_subalgoE5ElNS0_10empty_typeEbEEZZNS1_14partition_implILS5_5ELb0ES3_mN6hipcub16HIPCUB_304000_NS21CountingInputIteratorIllEEPS6_NSA_22TransformInputIteratorIb7NonZeroIsEPslEENS0_5tupleIJPlS6_EEENSJ_IJSD_SD_EEES6_SK_JS6_EEE10hipError_tPvRmT3_T4_T5_T6_T7_T9_mT8_P12ihipStream_tbDpT10_ENKUlT_T0_E_clISt17integral_constantIbLb1EES16_EEDaS11_S12_EUlS11_E_NS1_11comp_targetILNS1_3genE8ELNS1_11target_archE1030ELNS1_3gpuE2ELNS1_3repE0EEENS1_30default_config_static_selectorELNS0_4arch9wavefront6targetE1EEEvT1_.private_seg_size, 0
	.set _ZN7rocprim17ROCPRIM_400000_NS6detail17trampoline_kernelINS0_14default_configENS1_25partition_config_selectorILNS1_17partition_subalgoE5ElNS0_10empty_typeEbEEZZNS1_14partition_implILS5_5ELb0ES3_mN6hipcub16HIPCUB_304000_NS21CountingInputIteratorIllEEPS6_NSA_22TransformInputIteratorIb7NonZeroIsEPslEENS0_5tupleIJPlS6_EEENSJ_IJSD_SD_EEES6_SK_JS6_EEE10hipError_tPvRmT3_T4_T5_T6_T7_T9_mT8_P12ihipStream_tbDpT10_ENKUlT_T0_E_clISt17integral_constantIbLb1EES16_EEDaS11_S12_EUlS11_E_NS1_11comp_targetILNS1_3genE8ELNS1_11target_archE1030ELNS1_3gpuE2ELNS1_3repE0EEENS1_30default_config_static_selectorELNS0_4arch9wavefront6targetE1EEEvT1_.uses_vcc, 0
	.set _ZN7rocprim17ROCPRIM_400000_NS6detail17trampoline_kernelINS0_14default_configENS1_25partition_config_selectorILNS1_17partition_subalgoE5ElNS0_10empty_typeEbEEZZNS1_14partition_implILS5_5ELb0ES3_mN6hipcub16HIPCUB_304000_NS21CountingInputIteratorIllEEPS6_NSA_22TransformInputIteratorIb7NonZeroIsEPslEENS0_5tupleIJPlS6_EEENSJ_IJSD_SD_EEES6_SK_JS6_EEE10hipError_tPvRmT3_T4_T5_T6_T7_T9_mT8_P12ihipStream_tbDpT10_ENKUlT_T0_E_clISt17integral_constantIbLb1EES16_EEDaS11_S12_EUlS11_E_NS1_11comp_targetILNS1_3genE8ELNS1_11target_archE1030ELNS1_3gpuE2ELNS1_3repE0EEENS1_30default_config_static_selectorELNS0_4arch9wavefront6targetE1EEEvT1_.uses_flat_scratch, 0
	.set _ZN7rocprim17ROCPRIM_400000_NS6detail17trampoline_kernelINS0_14default_configENS1_25partition_config_selectorILNS1_17partition_subalgoE5ElNS0_10empty_typeEbEEZZNS1_14partition_implILS5_5ELb0ES3_mN6hipcub16HIPCUB_304000_NS21CountingInputIteratorIllEEPS6_NSA_22TransformInputIteratorIb7NonZeroIsEPslEENS0_5tupleIJPlS6_EEENSJ_IJSD_SD_EEES6_SK_JS6_EEE10hipError_tPvRmT3_T4_T5_T6_T7_T9_mT8_P12ihipStream_tbDpT10_ENKUlT_T0_E_clISt17integral_constantIbLb1EES16_EEDaS11_S12_EUlS11_E_NS1_11comp_targetILNS1_3genE8ELNS1_11target_archE1030ELNS1_3gpuE2ELNS1_3repE0EEENS1_30default_config_static_selectorELNS0_4arch9wavefront6targetE1EEEvT1_.has_dyn_sized_stack, 0
	.set _ZN7rocprim17ROCPRIM_400000_NS6detail17trampoline_kernelINS0_14default_configENS1_25partition_config_selectorILNS1_17partition_subalgoE5ElNS0_10empty_typeEbEEZZNS1_14partition_implILS5_5ELb0ES3_mN6hipcub16HIPCUB_304000_NS21CountingInputIteratorIllEEPS6_NSA_22TransformInputIteratorIb7NonZeroIsEPslEENS0_5tupleIJPlS6_EEENSJ_IJSD_SD_EEES6_SK_JS6_EEE10hipError_tPvRmT3_T4_T5_T6_T7_T9_mT8_P12ihipStream_tbDpT10_ENKUlT_T0_E_clISt17integral_constantIbLb1EES16_EEDaS11_S12_EUlS11_E_NS1_11comp_targetILNS1_3genE8ELNS1_11target_archE1030ELNS1_3gpuE2ELNS1_3repE0EEENS1_30default_config_static_selectorELNS0_4arch9wavefront6targetE1EEEvT1_.has_recursion, 0
	.set _ZN7rocprim17ROCPRIM_400000_NS6detail17trampoline_kernelINS0_14default_configENS1_25partition_config_selectorILNS1_17partition_subalgoE5ElNS0_10empty_typeEbEEZZNS1_14partition_implILS5_5ELb0ES3_mN6hipcub16HIPCUB_304000_NS21CountingInputIteratorIllEEPS6_NSA_22TransformInputIteratorIb7NonZeroIsEPslEENS0_5tupleIJPlS6_EEENSJ_IJSD_SD_EEES6_SK_JS6_EEE10hipError_tPvRmT3_T4_T5_T6_T7_T9_mT8_P12ihipStream_tbDpT10_ENKUlT_T0_E_clISt17integral_constantIbLb1EES16_EEDaS11_S12_EUlS11_E_NS1_11comp_targetILNS1_3genE8ELNS1_11target_archE1030ELNS1_3gpuE2ELNS1_3repE0EEENS1_30default_config_static_selectorELNS0_4arch9wavefront6targetE1EEEvT1_.has_indirect_call, 0
	.section	.AMDGPU.csdata,"",@progbits
; Kernel info:
; codeLenInByte = 0
; TotalNumSgprs: 4
; NumVgprs: 0
; ScratchSize: 0
; MemoryBound: 0
; FloatMode: 240
; IeeeMode: 1
; LDSByteSize: 0 bytes/workgroup (compile time only)
; SGPRBlocks: 0
; VGPRBlocks: 0
; NumSGPRsForWavesPerEU: 4
; NumVGPRsForWavesPerEU: 1
; Occupancy: 10
; WaveLimiterHint : 0
; COMPUTE_PGM_RSRC2:SCRATCH_EN: 0
; COMPUTE_PGM_RSRC2:USER_SGPR: 6
; COMPUTE_PGM_RSRC2:TRAP_HANDLER: 0
; COMPUTE_PGM_RSRC2:TGID_X_EN: 1
; COMPUTE_PGM_RSRC2:TGID_Y_EN: 0
; COMPUTE_PGM_RSRC2:TGID_Z_EN: 0
; COMPUTE_PGM_RSRC2:TIDIG_COMP_CNT: 0
	.section	.text._ZN7rocprim17ROCPRIM_400000_NS6detail17trampoline_kernelINS0_14default_configENS1_25partition_config_selectorILNS1_17partition_subalgoE5ElNS0_10empty_typeEbEEZZNS1_14partition_implILS5_5ELb0ES3_mN6hipcub16HIPCUB_304000_NS21CountingInputIteratorIllEEPS6_NSA_22TransformInputIteratorIb7NonZeroIsEPslEENS0_5tupleIJPlS6_EEENSJ_IJSD_SD_EEES6_SK_JS6_EEE10hipError_tPvRmT3_T4_T5_T6_T7_T9_mT8_P12ihipStream_tbDpT10_ENKUlT_T0_E_clISt17integral_constantIbLb1EES15_IbLb0EEEEDaS11_S12_EUlS11_E_NS1_11comp_targetILNS1_3genE0ELNS1_11target_archE4294967295ELNS1_3gpuE0ELNS1_3repE0EEENS1_30default_config_static_selectorELNS0_4arch9wavefront6targetE1EEEvT1_,"axG",@progbits,_ZN7rocprim17ROCPRIM_400000_NS6detail17trampoline_kernelINS0_14default_configENS1_25partition_config_selectorILNS1_17partition_subalgoE5ElNS0_10empty_typeEbEEZZNS1_14partition_implILS5_5ELb0ES3_mN6hipcub16HIPCUB_304000_NS21CountingInputIteratorIllEEPS6_NSA_22TransformInputIteratorIb7NonZeroIsEPslEENS0_5tupleIJPlS6_EEENSJ_IJSD_SD_EEES6_SK_JS6_EEE10hipError_tPvRmT3_T4_T5_T6_T7_T9_mT8_P12ihipStream_tbDpT10_ENKUlT_T0_E_clISt17integral_constantIbLb1EES15_IbLb0EEEEDaS11_S12_EUlS11_E_NS1_11comp_targetILNS1_3genE0ELNS1_11target_archE4294967295ELNS1_3gpuE0ELNS1_3repE0EEENS1_30default_config_static_selectorELNS0_4arch9wavefront6targetE1EEEvT1_,comdat
	.protected	_ZN7rocprim17ROCPRIM_400000_NS6detail17trampoline_kernelINS0_14default_configENS1_25partition_config_selectorILNS1_17partition_subalgoE5ElNS0_10empty_typeEbEEZZNS1_14partition_implILS5_5ELb0ES3_mN6hipcub16HIPCUB_304000_NS21CountingInputIteratorIllEEPS6_NSA_22TransformInputIteratorIb7NonZeroIsEPslEENS0_5tupleIJPlS6_EEENSJ_IJSD_SD_EEES6_SK_JS6_EEE10hipError_tPvRmT3_T4_T5_T6_T7_T9_mT8_P12ihipStream_tbDpT10_ENKUlT_T0_E_clISt17integral_constantIbLb1EES15_IbLb0EEEEDaS11_S12_EUlS11_E_NS1_11comp_targetILNS1_3genE0ELNS1_11target_archE4294967295ELNS1_3gpuE0ELNS1_3repE0EEENS1_30default_config_static_selectorELNS0_4arch9wavefront6targetE1EEEvT1_ ; -- Begin function _ZN7rocprim17ROCPRIM_400000_NS6detail17trampoline_kernelINS0_14default_configENS1_25partition_config_selectorILNS1_17partition_subalgoE5ElNS0_10empty_typeEbEEZZNS1_14partition_implILS5_5ELb0ES3_mN6hipcub16HIPCUB_304000_NS21CountingInputIteratorIllEEPS6_NSA_22TransformInputIteratorIb7NonZeroIsEPslEENS0_5tupleIJPlS6_EEENSJ_IJSD_SD_EEES6_SK_JS6_EEE10hipError_tPvRmT3_T4_T5_T6_T7_T9_mT8_P12ihipStream_tbDpT10_ENKUlT_T0_E_clISt17integral_constantIbLb1EES15_IbLb0EEEEDaS11_S12_EUlS11_E_NS1_11comp_targetILNS1_3genE0ELNS1_11target_archE4294967295ELNS1_3gpuE0ELNS1_3repE0EEENS1_30default_config_static_selectorELNS0_4arch9wavefront6targetE1EEEvT1_
	.globl	_ZN7rocprim17ROCPRIM_400000_NS6detail17trampoline_kernelINS0_14default_configENS1_25partition_config_selectorILNS1_17partition_subalgoE5ElNS0_10empty_typeEbEEZZNS1_14partition_implILS5_5ELb0ES3_mN6hipcub16HIPCUB_304000_NS21CountingInputIteratorIllEEPS6_NSA_22TransformInputIteratorIb7NonZeroIsEPslEENS0_5tupleIJPlS6_EEENSJ_IJSD_SD_EEES6_SK_JS6_EEE10hipError_tPvRmT3_T4_T5_T6_T7_T9_mT8_P12ihipStream_tbDpT10_ENKUlT_T0_E_clISt17integral_constantIbLb1EES15_IbLb0EEEEDaS11_S12_EUlS11_E_NS1_11comp_targetILNS1_3genE0ELNS1_11target_archE4294967295ELNS1_3gpuE0ELNS1_3repE0EEENS1_30default_config_static_selectorELNS0_4arch9wavefront6targetE1EEEvT1_
	.p2align	8
	.type	_ZN7rocprim17ROCPRIM_400000_NS6detail17trampoline_kernelINS0_14default_configENS1_25partition_config_selectorILNS1_17partition_subalgoE5ElNS0_10empty_typeEbEEZZNS1_14partition_implILS5_5ELb0ES3_mN6hipcub16HIPCUB_304000_NS21CountingInputIteratorIllEEPS6_NSA_22TransformInputIteratorIb7NonZeroIsEPslEENS0_5tupleIJPlS6_EEENSJ_IJSD_SD_EEES6_SK_JS6_EEE10hipError_tPvRmT3_T4_T5_T6_T7_T9_mT8_P12ihipStream_tbDpT10_ENKUlT_T0_E_clISt17integral_constantIbLb1EES15_IbLb0EEEEDaS11_S12_EUlS11_E_NS1_11comp_targetILNS1_3genE0ELNS1_11target_archE4294967295ELNS1_3gpuE0ELNS1_3repE0EEENS1_30default_config_static_selectorELNS0_4arch9wavefront6targetE1EEEvT1_,@function
_ZN7rocprim17ROCPRIM_400000_NS6detail17trampoline_kernelINS0_14default_configENS1_25partition_config_selectorILNS1_17partition_subalgoE5ElNS0_10empty_typeEbEEZZNS1_14partition_implILS5_5ELb0ES3_mN6hipcub16HIPCUB_304000_NS21CountingInputIteratorIllEEPS6_NSA_22TransformInputIteratorIb7NonZeroIsEPslEENS0_5tupleIJPlS6_EEENSJ_IJSD_SD_EEES6_SK_JS6_EEE10hipError_tPvRmT3_T4_T5_T6_T7_T9_mT8_P12ihipStream_tbDpT10_ENKUlT_T0_E_clISt17integral_constantIbLb1EES15_IbLb0EEEEDaS11_S12_EUlS11_E_NS1_11comp_targetILNS1_3genE0ELNS1_11target_archE4294967295ELNS1_3gpuE0ELNS1_3repE0EEENS1_30default_config_static_selectorELNS0_4arch9wavefront6targetE1EEEvT1_: ; @_ZN7rocprim17ROCPRIM_400000_NS6detail17trampoline_kernelINS0_14default_configENS1_25partition_config_selectorILNS1_17partition_subalgoE5ElNS0_10empty_typeEbEEZZNS1_14partition_implILS5_5ELb0ES3_mN6hipcub16HIPCUB_304000_NS21CountingInputIteratorIllEEPS6_NSA_22TransformInputIteratorIb7NonZeroIsEPslEENS0_5tupleIJPlS6_EEENSJ_IJSD_SD_EEES6_SK_JS6_EEE10hipError_tPvRmT3_T4_T5_T6_T7_T9_mT8_P12ihipStream_tbDpT10_ENKUlT_T0_E_clISt17integral_constantIbLb1EES15_IbLb0EEEEDaS11_S12_EUlS11_E_NS1_11comp_targetILNS1_3genE0ELNS1_11target_archE4294967295ELNS1_3gpuE0ELNS1_3repE0EEENS1_30default_config_static_selectorELNS0_4arch9wavefront6targetE1EEEvT1_
; %bb.0:
	.section	.rodata,"a",@progbits
	.p2align	6, 0x0
	.amdhsa_kernel _ZN7rocprim17ROCPRIM_400000_NS6detail17trampoline_kernelINS0_14default_configENS1_25partition_config_selectorILNS1_17partition_subalgoE5ElNS0_10empty_typeEbEEZZNS1_14partition_implILS5_5ELb0ES3_mN6hipcub16HIPCUB_304000_NS21CountingInputIteratorIllEEPS6_NSA_22TransformInputIteratorIb7NonZeroIsEPslEENS0_5tupleIJPlS6_EEENSJ_IJSD_SD_EEES6_SK_JS6_EEE10hipError_tPvRmT3_T4_T5_T6_T7_T9_mT8_P12ihipStream_tbDpT10_ENKUlT_T0_E_clISt17integral_constantIbLb1EES15_IbLb0EEEEDaS11_S12_EUlS11_E_NS1_11comp_targetILNS1_3genE0ELNS1_11target_archE4294967295ELNS1_3gpuE0ELNS1_3repE0EEENS1_30default_config_static_selectorELNS0_4arch9wavefront6targetE1EEEvT1_
		.amdhsa_group_segment_fixed_size 0
		.amdhsa_private_segment_fixed_size 0
		.amdhsa_kernarg_size 120
		.amdhsa_user_sgpr_count 6
		.amdhsa_user_sgpr_private_segment_buffer 1
		.amdhsa_user_sgpr_dispatch_ptr 0
		.amdhsa_user_sgpr_queue_ptr 0
		.amdhsa_user_sgpr_kernarg_segment_ptr 1
		.amdhsa_user_sgpr_dispatch_id 0
		.amdhsa_user_sgpr_flat_scratch_init 0
		.amdhsa_user_sgpr_private_segment_size 0
		.amdhsa_uses_dynamic_stack 0
		.amdhsa_system_sgpr_private_segment_wavefront_offset 0
		.amdhsa_system_sgpr_workgroup_id_x 1
		.amdhsa_system_sgpr_workgroup_id_y 0
		.amdhsa_system_sgpr_workgroup_id_z 0
		.amdhsa_system_sgpr_workgroup_info 0
		.amdhsa_system_vgpr_workitem_id 0
		.amdhsa_next_free_vgpr 1
		.amdhsa_next_free_sgpr 0
		.amdhsa_reserve_vcc 0
		.amdhsa_reserve_flat_scratch 0
		.amdhsa_float_round_mode_32 0
		.amdhsa_float_round_mode_16_64 0
		.amdhsa_float_denorm_mode_32 3
		.amdhsa_float_denorm_mode_16_64 3
		.amdhsa_dx10_clamp 1
		.amdhsa_ieee_mode 1
		.amdhsa_fp16_overflow 0
		.amdhsa_exception_fp_ieee_invalid_op 0
		.amdhsa_exception_fp_denorm_src 0
		.amdhsa_exception_fp_ieee_div_zero 0
		.amdhsa_exception_fp_ieee_overflow 0
		.amdhsa_exception_fp_ieee_underflow 0
		.amdhsa_exception_fp_ieee_inexact 0
		.amdhsa_exception_int_div_zero 0
	.end_amdhsa_kernel
	.section	.text._ZN7rocprim17ROCPRIM_400000_NS6detail17trampoline_kernelINS0_14default_configENS1_25partition_config_selectorILNS1_17partition_subalgoE5ElNS0_10empty_typeEbEEZZNS1_14partition_implILS5_5ELb0ES3_mN6hipcub16HIPCUB_304000_NS21CountingInputIteratorIllEEPS6_NSA_22TransformInputIteratorIb7NonZeroIsEPslEENS0_5tupleIJPlS6_EEENSJ_IJSD_SD_EEES6_SK_JS6_EEE10hipError_tPvRmT3_T4_T5_T6_T7_T9_mT8_P12ihipStream_tbDpT10_ENKUlT_T0_E_clISt17integral_constantIbLb1EES15_IbLb0EEEEDaS11_S12_EUlS11_E_NS1_11comp_targetILNS1_3genE0ELNS1_11target_archE4294967295ELNS1_3gpuE0ELNS1_3repE0EEENS1_30default_config_static_selectorELNS0_4arch9wavefront6targetE1EEEvT1_,"axG",@progbits,_ZN7rocprim17ROCPRIM_400000_NS6detail17trampoline_kernelINS0_14default_configENS1_25partition_config_selectorILNS1_17partition_subalgoE5ElNS0_10empty_typeEbEEZZNS1_14partition_implILS5_5ELb0ES3_mN6hipcub16HIPCUB_304000_NS21CountingInputIteratorIllEEPS6_NSA_22TransformInputIteratorIb7NonZeroIsEPslEENS0_5tupleIJPlS6_EEENSJ_IJSD_SD_EEES6_SK_JS6_EEE10hipError_tPvRmT3_T4_T5_T6_T7_T9_mT8_P12ihipStream_tbDpT10_ENKUlT_T0_E_clISt17integral_constantIbLb1EES15_IbLb0EEEEDaS11_S12_EUlS11_E_NS1_11comp_targetILNS1_3genE0ELNS1_11target_archE4294967295ELNS1_3gpuE0ELNS1_3repE0EEENS1_30default_config_static_selectorELNS0_4arch9wavefront6targetE1EEEvT1_,comdat
.Lfunc_end133:
	.size	_ZN7rocprim17ROCPRIM_400000_NS6detail17trampoline_kernelINS0_14default_configENS1_25partition_config_selectorILNS1_17partition_subalgoE5ElNS0_10empty_typeEbEEZZNS1_14partition_implILS5_5ELb0ES3_mN6hipcub16HIPCUB_304000_NS21CountingInputIteratorIllEEPS6_NSA_22TransformInputIteratorIb7NonZeroIsEPslEENS0_5tupleIJPlS6_EEENSJ_IJSD_SD_EEES6_SK_JS6_EEE10hipError_tPvRmT3_T4_T5_T6_T7_T9_mT8_P12ihipStream_tbDpT10_ENKUlT_T0_E_clISt17integral_constantIbLb1EES15_IbLb0EEEEDaS11_S12_EUlS11_E_NS1_11comp_targetILNS1_3genE0ELNS1_11target_archE4294967295ELNS1_3gpuE0ELNS1_3repE0EEENS1_30default_config_static_selectorELNS0_4arch9wavefront6targetE1EEEvT1_, .Lfunc_end133-_ZN7rocprim17ROCPRIM_400000_NS6detail17trampoline_kernelINS0_14default_configENS1_25partition_config_selectorILNS1_17partition_subalgoE5ElNS0_10empty_typeEbEEZZNS1_14partition_implILS5_5ELb0ES3_mN6hipcub16HIPCUB_304000_NS21CountingInputIteratorIllEEPS6_NSA_22TransformInputIteratorIb7NonZeroIsEPslEENS0_5tupleIJPlS6_EEENSJ_IJSD_SD_EEES6_SK_JS6_EEE10hipError_tPvRmT3_T4_T5_T6_T7_T9_mT8_P12ihipStream_tbDpT10_ENKUlT_T0_E_clISt17integral_constantIbLb1EES15_IbLb0EEEEDaS11_S12_EUlS11_E_NS1_11comp_targetILNS1_3genE0ELNS1_11target_archE4294967295ELNS1_3gpuE0ELNS1_3repE0EEENS1_30default_config_static_selectorELNS0_4arch9wavefront6targetE1EEEvT1_
                                        ; -- End function
	.set _ZN7rocprim17ROCPRIM_400000_NS6detail17trampoline_kernelINS0_14default_configENS1_25partition_config_selectorILNS1_17partition_subalgoE5ElNS0_10empty_typeEbEEZZNS1_14partition_implILS5_5ELb0ES3_mN6hipcub16HIPCUB_304000_NS21CountingInputIteratorIllEEPS6_NSA_22TransformInputIteratorIb7NonZeroIsEPslEENS0_5tupleIJPlS6_EEENSJ_IJSD_SD_EEES6_SK_JS6_EEE10hipError_tPvRmT3_T4_T5_T6_T7_T9_mT8_P12ihipStream_tbDpT10_ENKUlT_T0_E_clISt17integral_constantIbLb1EES15_IbLb0EEEEDaS11_S12_EUlS11_E_NS1_11comp_targetILNS1_3genE0ELNS1_11target_archE4294967295ELNS1_3gpuE0ELNS1_3repE0EEENS1_30default_config_static_selectorELNS0_4arch9wavefront6targetE1EEEvT1_.num_vgpr, 0
	.set _ZN7rocprim17ROCPRIM_400000_NS6detail17trampoline_kernelINS0_14default_configENS1_25partition_config_selectorILNS1_17partition_subalgoE5ElNS0_10empty_typeEbEEZZNS1_14partition_implILS5_5ELb0ES3_mN6hipcub16HIPCUB_304000_NS21CountingInputIteratorIllEEPS6_NSA_22TransformInputIteratorIb7NonZeroIsEPslEENS0_5tupleIJPlS6_EEENSJ_IJSD_SD_EEES6_SK_JS6_EEE10hipError_tPvRmT3_T4_T5_T6_T7_T9_mT8_P12ihipStream_tbDpT10_ENKUlT_T0_E_clISt17integral_constantIbLb1EES15_IbLb0EEEEDaS11_S12_EUlS11_E_NS1_11comp_targetILNS1_3genE0ELNS1_11target_archE4294967295ELNS1_3gpuE0ELNS1_3repE0EEENS1_30default_config_static_selectorELNS0_4arch9wavefront6targetE1EEEvT1_.num_agpr, 0
	.set _ZN7rocprim17ROCPRIM_400000_NS6detail17trampoline_kernelINS0_14default_configENS1_25partition_config_selectorILNS1_17partition_subalgoE5ElNS0_10empty_typeEbEEZZNS1_14partition_implILS5_5ELb0ES3_mN6hipcub16HIPCUB_304000_NS21CountingInputIteratorIllEEPS6_NSA_22TransformInputIteratorIb7NonZeroIsEPslEENS0_5tupleIJPlS6_EEENSJ_IJSD_SD_EEES6_SK_JS6_EEE10hipError_tPvRmT3_T4_T5_T6_T7_T9_mT8_P12ihipStream_tbDpT10_ENKUlT_T0_E_clISt17integral_constantIbLb1EES15_IbLb0EEEEDaS11_S12_EUlS11_E_NS1_11comp_targetILNS1_3genE0ELNS1_11target_archE4294967295ELNS1_3gpuE0ELNS1_3repE0EEENS1_30default_config_static_selectorELNS0_4arch9wavefront6targetE1EEEvT1_.numbered_sgpr, 0
	.set _ZN7rocprim17ROCPRIM_400000_NS6detail17trampoline_kernelINS0_14default_configENS1_25partition_config_selectorILNS1_17partition_subalgoE5ElNS0_10empty_typeEbEEZZNS1_14partition_implILS5_5ELb0ES3_mN6hipcub16HIPCUB_304000_NS21CountingInputIteratorIllEEPS6_NSA_22TransformInputIteratorIb7NonZeroIsEPslEENS0_5tupleIJPlS6_EEENSJ_IJSD_SD_EEES6_SK_JS6_EEE10hipError_tPvRmT3_T4_T5_T6_T7_T9_mT8_P12ihipStream_tbDpT10_ENKUlT_T0_E_clISt17integral_constantIbLb1EES15_IbLb0EEEEDaS11_S12_EUlS11_E_NS1_11comp_targetILNS1_3genE0ELNS1_11target_archE4294967295ELNS1_3gpuE0ELNS1_3repE0EEENS1_30default_config_static_selectorELNS0_4arch9wavefront6targetE1EEEvT1_.num_named_barrier, 0
	.set _ZN7rocprim17ROCPRIM_400000_NS6detail17trampoline_kernelINS0_14default_configENS1_25partition_config_selectorILNS1_17partition_subalgoE5ElNS0_10empty_typeEbEEZZNS1_14partition_implILS5_5ELb0ES3_mN6hipcub16HIPCUB_304000_NS21CountingInputIteratorIllEEPS6_NSA_22TransformInputIteratorIb7NonZeroIsEPslEENS0_5tupleIJPlS6_EEENSJ_IJSD_SD_EEES6_SK_JS6_EEE10hipError_tPvRmT3_T4_T5_T6_T7_T9_mT8_P12ihipStream_tbDpT10_ENKUlT_T0_E_clISt17integral_constantIbLb1EES15_IbLb0EEEEDaS11_S12_EUlS11_E_NS1_11comp_targetILNS1_3genE0ELNS1_11target_archE4294967295ELNS1_3gpuE0ELNS1_3repE0EEENS1_30default_config_static_selectorELNS0_4arch9wavefront6targetE1EEEvT1_.private_seg_size, 0
	.set _ZN7rocprim17ROCPRIM_400000_NS6detail17trampoline_kernelINS0_14default_configENS1_25partition_config_selectorILNS1_17partition_subalgoE5ElNS0_10empty_typeEbEEZZNS1_14partition_implILS5_5ELb0ES3_mN6hipcub16HIPCUB_304000_NS21CountingInputIteratorIllEEPS6_NSA_22TransformInputIteratorIb7NonZeroIsEPslEENS0_5tupleIJPlS6_EEENSJ_IJSD_SD_EEES6_SK_JS6_EEE10hipError_tPvRmT3_T4_T5_T6_T7_T9_mT8_P12ihipStream_tbDpT10_ENKUlT_T0_E_clISt17integral_constantIbLb1EES15_IbLb0EEEEDaS11_S12_EUlS11_E_NS1_11comp_targetILNS1_3genE0ELNS1_11target_archE4294967295ELNS1_3gpuE0ELNS1_3repE0EEENS1_30default_config_static_selectorELNS0_4arch9wavefront6targetE1EEEvT1_.uses_vcc, 0
	.set _ZN7rocprim17ROCPRIM_400000_NS6detail17trampoline_kernelINS0_14default_configENS1_25partition_config_selectorILNS1_17partition_subalgoE5ElNS0_10empty_typeEbEEZZNS1_14partition_implILS5_5ELb0ES3_mN6hipcub16HIPCUB_304000_NS21CountingInputIteratorIllEEPS6_NSA_22TransformInputIteratorIb7NonZeroIsEPslEENS0_5tupleIJPlS6_EEENSJ_IJSD_SD_EEES6_SK_JS6_EEE10hipError_tPvRmT3_T4_T5_T6_T7_T9_mT8_P12ihipStream_tbDpT10_ENKUlT_T0_E_clISt17integral_constantIbLb1EES15_IbLb0EEEEDaS11_S12_EUlS11_E_NS1_11comp_targetILNS1_3genE0ELNS1_11target_archE4294967295ELNS1_3gpuE0ELNS1_3repE0EEENS1_30default_config_static_selectorELNS0_4arch9wavefront6targetE1EEEvT1_.uses_flat_scratch, 0
	.set _ZN7rocprim17ROCPRIM_400000_NS6detail17trampoline_kernelINS0_14default_configENS1_25partition_config_selectorILNS1_17partition_subalgoE5ElNS0_10empty_typeEbEEZZNS1_14partition_implILS5_5ELb0ES3_mN6hipcub16HIPCUB_304000_NS21CountingInputIteratorIllEEPS6_NSA_22TransformInputIteratorIb7NonZeroIsEPslEENS0_5tupleIJPlS6_EEENSJ_IJSD_SD_EEES6_SK_JS6_EEE10hipError_tPvRmT3_T4_T5_T6_T7_T9_mT8_P12ihipStream_tbDpT10_ENKUlT_T0_E_clISt17integral_constantIbLb1EES15_IbLb0EEEEDaS11_S12_EUlS11_E_NS1_11comp_targetILNS1_3genE0ELNS1_11target_archE4294967295ELNS1_3gpuE0ELNS1_3repE0EEENS1_30default_config_static_selectorELNS0_4arch9wavefront6targetE1EEEvT1_.has_dyn_sized_stack, 0
	.set _ZN7rocprim17ROCPRIM_400000_NS6detail17trampoline_kernelINS0_14default_configENS1_25partition_config_selectorILNS1_17partition_subalgoE5ElNS0_10empty_typeEbEEZZNS1_14partition_implILS5_5ELb0ES3_mN6hipcub16HIPCUB_304000_NS21CountingInputIteratorIllEEPS6_NSA_22TransformInputIteratorIb7NonZeroIsEPslEENS0_5tupleIJPlS6_EEENSJ_IJSD_SD_EEES6_SK_JS6_EEE10hipError_tPvRmT3_T4_T5_T6_T7_T9_mT8_P12ihipStream_tbDpT10_ENKUlT_T0_E_clISt17integral_constantIbLb1EES15_IbLb0EEEEDaS11_S12_EUlS11_E_NS1_11comp_targetILNS1_3genE0ELNS1_11target_archE4294967295ELNS1_3gpuE0ELNS1_3repE0EEENS1_30default_config_static_selectorELNS0_4arch9wavefront6targetE1EEEvT1_.has_recursion, 0
	.set _ZN7rocprim17ROCPRIM_400000_NS6detail17trampoline_kernelINS0_14default_configENS1_25partition_config_selectorILNS1_17partition_subalgoE5ElNS0_10empty_typeEbEEZZNS1_14partition_implILS5_5ELb0ES3_mN6hipcub16HIPCUB_304000_NS21CountingInputIteratorIllEEPS6_NSA_22TransformInputIteratorIb7NonZeroIsEPslEENS0_5tupleIJPlS6_EEENSJ_IJSD_SD_EEES6_SK_JS6_EEE10hipError_tPvRmT3_T4_T5_T6_T7_T9_mT8_P12ihipStream_tbDpT10_ENKUlT_T0_E_clISt17integral_constantIbLb1EES15_IbLb0EEEEDaS11_S12_EUlS11_E_NS1_11comp_targetILNS1_3genE0ELNS1_11target_archE4294967295ELNS1_3gpuE0ELNS1_3repE0EEENS1_30default_config_static_selectorELNS0_4arch9wavefront6targetE1EEEvT1_.has_indirect_call, 0
	.section	.AMDGPU.csdata,"",@progbits
; Kernel info:
; codeLenInByte = 0
; TotalNumSgprs: 4
; NumVgprs: 0
; ScratchSize: 0
; MemoryBound: 0
; FloatMode: 240
; IeeeMode: 1
; LDSByteSize: 0 bytes/workgroup (compile time only)
; SGPRBlocks: 0
; VGPRBlocks: 0
; NumSGPRsForWavesPerEU: 4
; NumVGPRsForWavesPerEU: 1
; Occupancy: 10
; WaveLimiterHint : 0
; COMPUTE_PGM_RSRC2:SCRATCH_EN: 0
; COMPUTE_PGM_RSRC2:USER_SGPR: 6
; COMPUTE_PGM_RSRC2:TRAP_HANDLER: 0
; COMPUTE_PGM_RSRC2:TGID_X_EN: 1
; COMPUTE_PGM_RSRC2:TGID_Y_EN: 0
; COMPUTE_PGM_RSRC2:TGID_Z_EN: 0
; COMPUTE_PGM_RSRC2:TIDIG_COMP_CNT: 0
	.section	.text._ZN7rocprim17ROCPRIM_400000_NS6detail17trampoline_kernelINS0_14default_configENS1_25partition_config_selectorILNS1_17partition_subalgoE5ElNS0_10empty_typeEbEEZZNS1_14partition_implILS5_5ELb0ES3_mN6hipcub16HIPCUB_304000_NS21CountingInputIteratorIllEEPS6_NSA_22TransformInputIteratorIb7NonZeroIsEPslEENS0_5tupleIJPlS6_EEENSJ_IJSD_SD_EEES6_SK_JS6_EEE10hipError_tPvRmT3_T4_T5_T6_T7_T9_mT8_P12ihipStream_tbDpT10_ENKUlT_T0_E_clISt17integral_constantIbLb1EES15_IbLb0EEEEDaS11_S12_EUlS11_E_NS1_11comp_targetILNS1_3genE5ELNS1_11target_archE942ELNS1_3gpuE9ELNS1_3repE0EEENS1_30default_config_static_selectorELNS0_4arch9wavefront6targetE1EEEvT1_,"axG",@progbits,_ZN7rocprim17ROCPRIM_400000_NS6detail17trampoline_kernelINS0_14default_configENS1_25partition_config_selectorILNS1_17partition_subalgoE5ElNS0_10empty_typeEbEEZZNS1_14partition_implILS5_5ELb0ES3_mN6hipcub16HIPCUB_304000_NS21CountingInputIteratorIllEEPS6_NSA_22TransformInputIteratorIb7NonZeroIsEPslEENS0_5tupleIJPlS6_EEENSJ_IJSD_SD_EEES6_SK_JS6_EEE10hipError_tPvRmT3_T4_T5_T6_T7_T9_mT8_P12ihipStream_tbDpT10_ENKUlT_T0_E_clISt17integral_constantIbLb1EES15_IbLb0EEEEDaS11_S12_EUlS11_E_NS1_11comp_targetILNS1_3genE5ELNS1_11target_archE942ELNS1_3gpuE9ELNS1_3repE0EEENS1_30default_config_static_selectorELNS0_4arch9wavefront6targetE1EEEvT1_,comdat
	.protected	_ZN7rocprim17ROCPRIM_400000_NS6detail17trampoline_kernelINS0_14default_configENS1_25partition_config_selectorILNS1_17partition_subalgoE5ElNS0_10empty_typeEbEEZZNS1_14partition_implILS5_5ELb0ES3_mN6hipcub16HIPCUB_304000_NS21CountingInputIteratorIllEEPS6_NSA_22TransformInputIteratorIb7NonZeroIsEPslEENS0_5tupleIJPlS6_EEENSJ_IJSD_SD_EEES6_SK_JS6_EEE10hipError_tPvRmT3_T4_T5_T6_T7_T9_mT8_P12ihipStream_tbDpT10_ENKUlT_T0_E_clISt17integral_constantIbLb1EES15_IbLb0EEEEDaS11_S12_EUlS11_E_NS1_11comp_targetILNS1_3genE5ELNS1_11target_archE942ELNS1_3gpuE9ELNS1_3repE0EEENS1_30default_config_static_selectorELNS0_4arch9wavefront6targetE1EEEvT1_ ; -- Begin function _ZN7rocprim17ROCPRIM_400000_NS6detail17trampoline_kernelINS0_14default_configENS1_25partition_config_selectorILNS1_17partition_subalgoE5ElNS0_10empty_typeEbEEZZNS1_14partition_implILS5_5ELb0ES3_mN6hipcub16HIPCUB_304000_NS21CountingInputIteratorIllEEPS6_NSA_22TransformInputIteratorIb7NonZeroIsEPslEENS0_5tupleIJPlS6_EEENSJ_IJSD_SD_EEES6_SK_JS6_EEE10hipError_tPvRmT3_T4_T5_T6_T7_T9_mT8_P12ihipStream_tbDpT10_ENKUlT_T0_E_clISt17integral_constantIbLb1EES15_IbLb0EEEEDaS11_S12_EUlS11_E_NS1_11comp_targetILNS1_3genE5ELNS1_11target_archE942ELNS1_3gpuE9ELNS1_3repE0EEENS1_30default_config_static_selectorELNS0_4arch9wavefront6targetE1EEEvT1_
	.globl	_ZN7rocprim17ROCPRIM_400000_NS6detail17trampoline_kernelINS0_14default_configENS1_25partition_config_selectorILNS1_17partition_subalgoE5ElNS0_10empty_typeEbEEZZNS1_14partition_implILS5_5ELb0ES3_mN6hipcub16HIPCUB_304000_NS21CountingInputIteratorIllEEPS6_NSA_22TransformInputIteratorIb7NonZeroIsEPslEENS0_5tupleIJPlS6_EEENSJ_IJSD_SD_EEES6_SK_JS6_EEE10hipError_tPvRmT3_T4_T5_T6_T7_T9_mT8_P12ihipStream_tbDpT10_ENKUlT_T0_E_clISt17integral_constantIbLb1EES15_IbLb0EEEEDaS11_S12_EUlS11_E_NS1_11comp_targetILNS1_3genE5ELNS1_11target_archE942ELNS1_3gpuE9ELNS1_3repE0EEENS1_30default_config_static_selectorELNS0_4arch9wavefront6targetE1EEEvT1_
	.p2align	8
	.type	_ZN7rocprim17ROCPRIM_400000_NS6detail17trampoline_kernelINS0_14default_configENS1_25partition_config_selectorILNS1_17partition_subalgoE5ElNS0_10empty_typeEbEEZZNS1_14partition_implILS5_5ELb0ES3_mN6hipcub16HIPCUB_304000_NS21CountingInputIteratorIllEEPS6_NSA_22TransformInputIteratorIb7NonZeroIsEPslEENS0_5tupleIJPlS6_EEENSJ_IJSD_SD_EEES6_SK_JS6_EEE10hipError_tPvRmT3_T4_T5_T6_T7_T9_mT8_P12ihipStream_tbDpT10_ENKUlT_T0_E_clISt17integral_constantIbLb1EES15_IbLb0EEEEDaS11_S12_EUlS11_E_NS1_11comp_targetILNS1_3genE5ELNS1_11target_archE942ELNS1_3gpuE9ELNS1_3repE0EEENS1_30default_config_static_selectorELNS0_4arch9wavefront6targetE1EEEvT1_,@function
_ZN7rocprim17ROCPRIM_400000_NS6detail17trampoline_kernelINS0_14default_configENS1_25partition_config_selectorILNS1_17partition_subalgoE5ElNS0_10empty_typeEbEEZZNS1_14partition_implILS5_5ELb0ES3_mN6hipcub16HIPCUB_304000_NS21CountingInputIteratorIllEEPS6_NSA_22TransformInputIteratorIb7NonZeroIsEPslEENS0_5tupleIJPlS6_EEENSJ_IJSD_SD_EEES6_SK_JS6_EEE10hipError_tPvRmT3_T4_T5_T6_T7_T9_mT8_P12ihipStream_tbDpT10_ENKUlT_T0_E_clISt17integral_constantIbLb1EES15_IbLb0EEEEDaS11_S12_EUlS11_E_NS1_11comp_targetILNS1_3genE5ELNS1_11target_archE942ELNS1_3gpuE9ELNS1_3repE0EEENS1_30default_config_static_selectorELNS0_4arch9wavefront6targetE1EEEvT1_: ; @_ZN7rocprim17ROCPRIM_400000_NS6detail17trampoline_kernelINS0_14default_configENS1_25partition_config_selectorILNS1_17partition_subalgoE5ElNS0_10empty_typeEbEEZZNS1_14partition_implILS5_5ELb0ES3_mN6hipcub16HIPCUB_304000_NS21CountingInputIteratorIllEEPS6_NSA_22TransformInputIteratorIb7NonZeroIsEPslEENS0_5tupleIJPlS6_EEENSJ_IJSD_SD_EEES6_SK_JS6_EEE10hipError_tPvRmT3_T4_T5_T6_T7_T9_mT8_P12ihipStream_tbDpT10_ENKUlT_T0_E_clISt17integral_constantIbLb1EES15_IbLb0EEEEDaS11_S12_EUlS11_E_NS1_11comp_targetILNS1_3genE5ELNS1_11target_archE942ELNS1_3gpuE9ELNS1_3repE0EEENS1_30default_config_static_selectorELNS0_4arch9wavefront6targetE1EEEvT1_
; %bb.0:
	.section	.rodata,"a",@progbits
	.p2align	6, 0x0
	.amdhsa_kernel _ZN7rocprim17ROCPRIM_400000_NS6detail17trampoline_kernelINS0_14default_configENS1_25partition_config_selectorILNS1_17partition_subalgoE5ElNS0_10empty_typeEbEEZZNS1_14partition_implILS5_5ELb0ES3_mN6hipcub16HIPCUB_304000_NS21CountingInputIteratorIllEEPS6_NSA_22TransformInputIteratorIb7NonZeroIsEPslEENS0_5tupleIJPlS6_EEENSJ_IJSD_SD_EEES6_SK_JS6_EEE10hipError_tPvRmT3_T4_T5_T6_T7_T9_mT8_P12ihipStream_tbDpT10_ENKUlT_T0_E_clISt17integral_constantIbLb1EES15_IbLb0EEEEDaS11_S12_EUlS11_E_NS1_11comp_targetILNS1_3genE5ELNS1_11target_archE942ELNS1_3gpuE9ELNS1_3repE0EEENS1_30default_config_static_selectorELNS0_4arch9wavefront6targetE1EEEvT1_
		.amdhsa_group_segment_fixed_size 0
		.amdhsa_private_segment_fixed_size 0
		.amdhsa_kernarg_size 120
		.amdhsa_user_sgpr_count 6
		.amdhsa_user_sgpr_private_segment_buffer 1
		.amdhsa_user_sgpr_dispatch_ptr 0
		.amdhsa_user_sgpr_queue_ptr 0
		.amdhsa_user_sgpr_kernarg_segment_ptr 1
		.amdhsa_user_sgpr_dispatch_id 0
		.amdhsa_user_sgpr_flat_scratch_init 0
		.amdhsa_user_sgpr_private_segment_size 0
		.amdhsa_uses_dynamic_stack 0
		.amdhsa_system_sgpr_private_segment_wavefront_offset 0
		.amdhsa_system_sgpr_workgroup_id_x 1
		.amdhsa_system_sgpr_workgroup_id_y 0
		.amdhsa_system_sgpr_workgroup_id_z 0
		.amdhsa_system_sgpr_workgroup_info 0
		.amdhsa_system_vgpr_workitem_id 0
		.amdhsa_next_free_vgpr 1
		.amdhsa_next_free_sgpr 0
		.amdhsa_reserve_vcc 0
		.amdhsa_reserve_flat_scratch 0
		.amdhsa_float_round_mode_32 0
		.amdhsa_float_round_mode_16_64 0
		.amdhsa_float_denorm_mode_32 3
		.amdhsa_float_denorm_mode_16_64 3
		.amdhsa_dx10_clamp 1
		.amdhsa_ieee_mode 1
		.amdhsa_fp16_overflow 0
		.amdhsa_exception_fp_ieee_invalid_op 0
		.amdhsa_exception_fp_denorm_src 0
		.amdhsa_exception_fp_ieee_div_zero 0
		.amdhsa_exception_fp_ieee_overflow 0
		.amdhsa_exception_fp_ieee_underflow 0
		.amdhsa_exception_fp_ieee_inexact 0
		.amdhsa_exception_int_div_zero 0
	.end_amdhsa_kernel
	.section	.text._ZN7rocprim17ROCPRIM_400000_NS6detail17trampoline_kernelINS0_14default_configENS1_25partition_config_selectorILNS1_17partition_subalgoE5ElNS0_10empty_typeEbEEZZNS1_14partition_implILS5_5ELb0ES3_mN6hipcub16HIPCUB_304000_NS21CountingInputIteratorIllEEPS6_NSA_22TransformInputIteratorIb7NonZeroIsEPslEENS0_5tupleIJPlS6_EEENSJ_IJSD_SD_EEES6_SK_JS6_EEE10hipError_tPvRmT3_T4_T5_T6_T7_T9_mT8_P12ihipStream_tbDpT10_ENKUlT_T0_E_clISt17integral_constantIbLb1EES15_IbLb0EEEEDaS11_S12_EUlS11_E_NS1_11comp_targetILNS1_3genE5ELNS1_11target_archE942ELNS1_3gpuE9ELNS1_3repE0EEENS1_30default_config_static_selectorELNS0_4arch9wavefront6targetE1EEEvT1_,"axG",@progbits,_ZN7rocprim17ROCPRIM_400000_NS6detail17trampoline_kernelINS0_14default_configENS1_25partition_config_selectorILNS1_17partition_subalgoE5ElNS0_10empty_typeEbEEZZNS1_14partition_implILS5_5ELb0ES3_mN6hipcub16HIPCUB_304000_NS21CountingInputIteratorIllEEPS6_NSA_22TransformInputIteratorIb7NonZeroIsEPslEENS0_5tupleIJPlS6_EEENSJ_IJSD_SD_EEES6_SK_JS6_EEE10hipError_tPvRmT3_T4_T5_T6_T7_T9_mT8_P12ihipStream_tbDpT10_ENKUlT_T0_E_clISt17integral_constantIbLb1EES15_IbLb0EEEEDaS11_S12_EUlS11_E_NS1_11comp_targetILNS1_3genE5ELNS1_11target_archE942ELNS1_3gpuE9ELNS1_3repE0EEENS1_30default_config_static_selectorELNS0_4arch9wavefront6targetE1EEEvT1_,comdat
.Lfunc_end134:
	.size	_ZN7rocprim17ROCPRIM_400000_NS6detail17trampoline_kernelINS0_14default_configENS1_25partition_config_selectorILNS1_17partition_subalgoE5ElNS0_10empty_typeEbEEZZNS1_14partition_implILS5_5ELb0ES3_mN6hipcub16HIPCUB_304000_NS21CountingInputIteratorIllEEPS6_NSA_22TransformInputIteratorIb7NonZeroIsEPslEENS0_5tupleIJPlS6_EEENSJ_IJSD_SD_EEES6_SK_JS6_EEE10hipError_tPvRmT3_T4_T5_T6_T7_T9_mT8_P12ihipStream_tbDpT10_ENKUlT_T0_E_clISt17integral_constantIbLb1EES15_IbLb0EEEEDaS11_S12_EUlS11_E_NS1_11comp_targetILNS1_3genE5ELNS1_11target_archE942ELNS1_3gpuE9ELNS1_3repE0EEENS1_30default_config_static_selectorELNS0_4arch9wavefront6targetE1EEEvT1_, .Lfunc_end134-_ZN7rocprim17ROCPRIM_400000_NS6detail17trampoline_kernelINS0_14default_configENS1_25partition_config_selectorILNS1_17partition_subalgoE5ElNS0_10empty_typeEbEEZZNS1_14partition_implILS5_5ELb0ES3_mN6hipcub16HIPCUB_304000_NS21CountingInputIteratorIllEEPS6_NSA_22TransformInputIteratorIb7NonZeroIsEPslEENS0_5tupleIJPlS6_EEENSJ_IJSD_SD_EEES6_SK_JS6_EEE10hipError_tPvRmT3_T4_T5_T6_T7_T9_mT8_P12ihipStream_tbDpT10_ENKUlT_T0_E_clISt17integral_constantIbLb1EES15_IbLb0EEEEDaS11_S12_EUlS11_E_NS1_11comp_targetILNS1_3genE5ELNS1_11target_archE942ELNS1_3gpuE9ELNS1_3repE0EEENS1_30default_config_static_selectorELNS0_4arch9wavefront6targetE1EEEvT1_
                                        ; -- End function
	.set _ZN7rocprim17ROCPRIM_400000_NS6detail17trampoline_kernelINS0_14default_configENS1_25partition_config_selectorILNS1_17partition_subalgoE5ElNS0_10empty_typeEbEEZZNS1_14partition_implILS5_5ELb0ES3_mN6hipcub16HIPCUB_304000_NS21CountingInputIteratorIllEEPS6_NSA_22TransformInputIteratorIb7NonZeroIsEPslEENS0_5tupleIJPlS6_EEENSJ_IJSD_SD_EEES6_SK_JS6_EEE10hipError_tPvRmT3_T4_T5_T6_T7_T9_mT8_P12ihipStream_tbDpT10_ENKUlT_T0_E_clISt17integral_constantIbLb1EES15_IbLb0EEEEDaS11_S12_EUlS11_E_NS1_11comp_targetILNS1_3genE5ELNS1_11target_archE942ELNS1_3gpuE9ELNS1_3repE0EEENS1_30default_config_static_selectorELNS0_4arch9wavefront6targetE1EEEvT1_.num_vgpr, 0
	.set _ZN7rocprim17ROCPRIM_400000_NS6detail17trampoline_kernelINS0_14default_configENS1_25partition_config_selectorILNS1_17partition_subalgoE5ElNS0_10empty_typeEbEEZZNS1_14partition_implILS5_5ELb0ES3_mN6hipcub16HIPCUB_304000_NS21CountingInputIteratorIllEEPS6_NSA_22TransformInputIteratorIb7NonZeroIsEPslEENS0_5tupleIJPlS6_EEENSJ_IJSD_SD_EEES6_SK_JS6_EEE10hipError_tPvRmT3_T4_T5_T6_T7_T9_mT8_P12ihipStream_tbDpT10_ENKUlT_T0_E_clISt17integral_constantIbLb1EES15_IbLb0EEEEDaS11_S12_EUlS11_E_NS1_11comp_targetILNS1_3genE5ELNS1_11target_archE942ELNS1_3gpuE9ELNS1_3repE0EEENS1_30default_config_static_selectorELNS0_4arch9wavefront6targetE1EEEvT1_.num_agpr, 0
	.set _ZN7rocprim17ROCPRIM_400000_NS6detail17trampoline_kernelINS0_14default_configENS1_25partition_config_selectorILNS1_17partition_subalgoE5ElNS0_10empty_typeEbEEZZNS1_14partition_implILS5_5ELb0ES3_mN6hipcub16HIPCUB_304000_NS21CountingInputIteratorIllEEPS6_NSA_22TransformInputIteratorIb7NonZeroIsEPslEENS0_5tupleIJPlS6_EEENSJ_IJSD_SD_EEES6_SK_JS6_EEE10hipError_tPvRmT3_T4_T5_T6_T7_T9_mT8_P12ihipStream_tbDpT10_ENKUlT_T0_E_clISt17integral_constantIbLb1EES15_IbLb0EEEEDaS11_S12_EUlS11_E_NS1_11comp_targetILNS1_3genE5ELNS1_11target_archE942ELNS1_3gpuE9ELNS1_3repE0EEENS1_30default_config_static_selectorELNS0_4arch9wavefront6targetE1EEEvT1_.numbered_sgpr, 0
	.set _ZN7rocprim17ROCPRIM_400000_NS6detail17trampoline_kernelINS0_14default_configENS1_25partition_config_selectorILNS1_17partition_subalgoE5ElNS0_10empty_typeEbEEZZNS1_14partition_implILS5_5ELb0ES3_mN6hipcub16HIPCUB_304000_NS21CountingInputIteratorIllEEPS6_NSA_22TransformInputIteratorIb7NonZeroIsEPslEENS0_5tupleIJPlS6_EEENSJ_IJSD_SD_EEES6_SK_JS6_EEE10hipError_tPvRmT3_T4_T5_T6_T7_T9_mT8_P12ihipStream_tbDpT10_ENKUlT_T0_E_clISt17integral_constantIbLb1EES15_IbLb0EEEEDaS11_S12_EUlS11_E_NS1_11comp_targetILNS1_3genE5ELNS1_11target_archE942ELNS1_3gpuE9ELNS1_3repE0EEENS1_30default_config_static_selectorELNS0_4arch9wavefront6targetE1EEEvT1_.num_named_barrier, 0
	.set _ZN7rocprim17ROCPRIM_400000_NS6detail17trampoline_kernelINS0_14default_configENS1_25partition_config_selectorILNS1_17partition_subalgoE5ElNS0_10empty_typeEbEEZZNS1_14partition_implILS5_5ELb0ES3_mN6hipcub16HIPCUB_304000_NS21CountingInputIteratorIllEEPS6_NSA_22TransformInputIteratorIb7NonZeroIsEPslEENS0_5tupleIJPlS6_EEENSJ_IJSD_SD_EEES6_SK_JS6_EEE10hipError_tPvRmT3_T4_T5_T6_T7_T9_mT8_P12ihipStream_tbDpT10_ENKUlT_T0_E_clISt17integral_constantIbLb1EES15_IbLb0EEEEDaS11_S12_EUlS11_E_NS1_11comp_targetILNS1_3genE5ELNS1_11target_archE942ELNS1_3gpuE9ELNS1_3repE0EEENS1_30default_config_static_selectorELNS0_4arch9wavefront6targetE1EEEvT1_.private_seg_size, 0
	.set _ZN7rocprim17ROCPRIM_400000_NS6detail17trampoline_kernelINS0_14default_configENS1_25partition_config_selectorILNS1_17partition_subalgoE5ElNS0_10empty_typeEbEEZZNS1_14partition_implILS5_5ELb0ES3_mN6hipcub16HIPCUB_304000_NS21CountingInputIteratorIllEEPS6_NSA_22TransformInputIteratorIb7NonZeroIsEPslEENS0_5tupleIJPlS6_EEENSJ_IJSD_SD_EEES6_SK_JS6_EEE10hipError_tPvRmT3_T4_T5_T6_T7_T9_mT8_P12ihipStream_tbDpT10_ENKUlT_T0_E_clISt17integral_constantIbLb1EES15_IbLb0EEEEDaS11_S12_EUlS11_E_NS1_11comp_targetILNS1_3genE5ELNS1_11target_archE942ELNS1_3gpuE9ELNS1_3repE0EEENS1_30default_config_static_selectorELNS0_4arch9wavefront6targetE1EEEvT1_.uses_vcc, 0
	.set _ZN7rocprim17ROCPRIM_400000_NS6detail17trampoline_kernelINS0_14default_configENS1_25partition_config_selectorILNS1_17partition_subalgoE5ElNS0_10empty_typeEbEEZZNS1_14partition_implILS5_5ELb0ES3_mN6hipcub16HIPCUB_304000_NS21CountingInputIteratorIllEEPS6_NSA_22TransformInputIteratorIb7NonZeroIsEPslEENS0_5tupleIJPlS6_EEENSJ_IJSD_SD_EEES6_SK_JS6_EEE10hipError_tPvRmT3_T4_T5_T6_T7_T9_mT8_P12ihipStream_tbDpT10_ENKUlT_T0_E_clISt17integral_constantIbLb1EES15_IbLb0EEEEDaS11_S12_EUlS11_E_NS1_11comp_targetILNS1_3genE5ELNS1_11target_archE942ELNS1_3gpuE9ELNS1_3repE0EEENS1_30default_config_static_selectorELNS0_4arch9wavefront6targetE1EEEvT1_.uses_flat_scratch, 0
	.set _ZN7rocprim17ROCPRIM_400000_NS6detail17trampoline_kernelINS0_14default_configENS1_25partition_config_selectorILNS1_17partition_subalgoE5ElNS0_10empty_typeEbEEZZNS1_14partition_implILS5_5ELb0ES3_mN6hipcub16HIPCUB_304000_NS21CountingInputIteratorIllEEPS6_NSA_22TransformInputIteratorIb7NonZeroIsEPslEENS0_5tupleIJPlS6_EEENSJ_IJSD_SD_EEES6_SK_JS6_EEE10hipError_tPvRmT3_T4_T5_T6_T7_T9_mT8_P12ihipStream_tbDpT10_ENKUlT_T0_E_clISt17integral_constantIbLb1EES15_IbLb0EEEEDaS11_S12_EUlS11_E_NS1_11comp_targetILNS1_3genE5ELNS1_11target_archE942ELNS1_3gpuE9ELNS1_3repE0EEENS1_30default_config_static_selectorELNS0_4arch9wavefront6targetE1EEEvT1_.has_dyn_sized_stack, 0
	.set _ZN7rocprim17ROCPRIM_400000_NS6detail17trampoline_kernelINS0_14default_configENS1_25partition_config_selectorILNS1_17partition_subalgoE5ElNS0_10empty_typeEbEEZZNS1_14partition_implILS5_5ELb0ES3_mN6hipcub16HIPCUB_304000_NS21CountingInputIteratorIllEEPS6_NSA_22TransformInputIteratorIb7NonZeroIsEPslEENS0_5tupleIJPlS6_EEENSJ_IJSD_SD_EEES6_SK_JS6_EEE10hipError_tPvRmT3_T4_T5_T6_T7_T9_mT8_P12ihipStream_tbDpT10_ENKUlT_T0_E_clISt17integral_constantIbLb1EES15_IbLb0EEEEDaS11_S12_EUlS11_E_NS1_11comp_targetILNS1_3genE5ELNS1_11target_archE942ELNS1_3gpuE9ELNS1_3repE0EEENS1_30default_config_static_selectorELNS0_4arch9wavefront6targetE1EEEvT1_.has_recursion, 0
	.set _ZN7rocprim17ROCPRIM_400000_NS6detail17trampoline_kernelINS0_14default_configENS1_25partition_config_selectorILNS1_17partition_subalgoE5ElNS0_10empty_typeEbEEZZNS1_14partition_implILS5_5ELb0ES3_mN6hipcub16HIPCUB_304000_NS21CountingInputIteratorIllEEPS6_NSA_22TransformInputIteratorIb7NonZeroIsEPslEENS0_5tupleIJPlS6_EEENSJ_IJSD_SD_EEES6_SK_JS6_EEE10hipError_tPvRmT3_T4_T5_T6_T7_T9_mT8_P12ihipStream_tbDpT10_ENKUlT_T0_E_clISt17integral_constantIbLb1EES15_IbLb0EEEEDaS11_S12_EUlS11_E_NS1_11comp_targetILNS1_3genE5ELNS1_11target_archE942ELNS1_3gpuE9ELNS1_3repE0EEENS1_30default_config_static_selectorELNS0_4arch9wavefront6targetE1EEEvT1_.has_indirect_call, 0
	.section	.AMDGPU.csdata,"",@progbits
; Kernel info:
; codeLenInByte = 0
; TotalNumSgprs: 4
; NumVgprs: 0
; ScratchSize: 0
; MemoryBound: 0
; FloatMode: 240
; IeeeMode: 1
; LDSByteSize: 0 bytes/workgroup (compile time only)
; SGPRBlocks: 0
; VGPRBlocks: 0
; NumSGPRsForWavesPerEU: 4
; NumVGPRsForWavesPerEU: 1
; Occupancy: 10
; WaveLimiterHint : 0
; COMPUTE_PGM_RSRC2:SCRATCH_EN: 0
; COMPUTE_PGM_RSRC2:USER_SGPR: 6
; COMPUTE_PGM_RSRC2:TRAP_HANDLER: 0
; COMPUTE_PGM_RSRC2:TGID_X_EN: 1
; COMPUTE_PGM_RSRC2:TGID_Y_EN: 0
; COMPUTE_PGM_RSRC2:TGID_Z_EN: 0
; COMPUTE_PGM_RSRC2:TIDIG_COMP_CNT: 0
	.section	.text._ZN7rocprim17ROCPRIM_400000_NS6detail17trampoline_kernelINS0_14default_configENS1_25partition_config_selectorILNS1_17partition_subalgoE5ElNS0_10empty_typeEbEEZZNS1_14partition_implILS5_5ELb0ES3_mN6hipcub16HIPCUB_304000_NS21CountingInputIteratorIllEEPS6_NSA_22TransformInputIteratorIb7NonZeroIsEPslEENS0_5tupleIJPlS6_EEENSJ_IJSD_SD_EEES6_SK_JS6_EEE10hipError_tPvRmT3_T4_T5_T6_T7_T9_mT8_P12ihipStream_tbDpT10_ENKUlT_T0_E_clISt17integral_constantIbLb1EES15_IbLb0EEEEDaS11_S12_EUlS11_E_NS1_11comp_targetILNS1_3genE4ELNS1_11target_archE910ELNS1_3gpuE8ELNS1_3repE0EEENS1_30default_config_static_selectorELNS0_4arch9wavefront6targetE1EEEvT1_,"axG",@progbits,_ZN7rocprim17ROCPRIM_400000_NS6detail17trampoline_kernelINS0_14default_configENS1_25partition_config_selectorILNS1_17partition_subalgoE5ElNS0_10empty_typeEbEEZZNS1_14partition_implILS5_5ELb0ES3_mN6hipcub16HIPCUB_304000_NS21CountingInputIteratorIllEEPS6_NSA_22TransformInputIteratorIb7NonZeroIsEPslEENS0_5tupleIJPlS6_EEENSJ_IJSD_SD_EEES6_SK_JS6_EEE10hipError_tPvRmT3_T4_T5_T6_T7_T9_mT8_P12ihipStream_tbDpT10_ENKUlT_T0_E_clISt17integral_constantIbLb1EES15_IbLb0EEEEDaS11_S12_EUlS11_E_NS1_11comp_targetILNS1_3genE4ELNS1_11target_archE910ELNS1_3gpuE8ELNS1_3repE0EEENS1_30default_config_static_selectorELNS0_4arch9wavefront6targetE1EEEvT1_,comdat
	.protected	_ZN7rocprim17ROCPRIM_400000_NS6detail17trampoline_kernelINS0_14default_configENS1_25partition_config_selectorILNS1_17partition_subalgoE5ElNS0_10empty_typeEbEEZZNS1_14partition_implILS5_5ELb0ES3_mN6hipcub16HIPCUB_304000_NS21CountingInputIteratorIllEEPS6_NSA_22TransformInputIteratorIb7NonZeroIsEPslEENS0_5tupleIJPlS6_EEENSJ_IJSD_SD_EEES6_SK_JS6_EEE10hipError_tPvRmT3_T4_T5_T6_T7_T9_mT8_P12ihipStream_tbDpT10_ENKUlT_T0_E_clISt17integral_constantIbLb1EES15_IbLb0EEEEDaS11_S12_EUlS11_E_NS1_11comp_targetILNS1_3genE4ELNS1_11target_archE910ELNS1_3gpuE8ELNS1_3repE0EEENS1_30default_config_static_selectorELNS0_4arch9wavefront6targetE1EEEvT1_ ; -- Begin function _ZN7rocprim17ROCPRIM_400000_NS6detail17trampoline_kernelINS0_14default_configENS1_25partition_config_selectorILNS1_17partition_subalgoE5ElNS0_10empty_typeEbEEZZNS1_14partition_implILS5_5ELb0ES3_mN6hipcub16HIPCUB_304000_NS21CountingInputIteratorIllEEPS6_NSA_22TransformInputIteratorIb7NonZeroIsEPslEENS0_5tupleIJPlS6_EEENSJ_IJSD_SD_EEES6_SK_JS6_EEE10hipError_tPvRmT3_T4_T5_T6_T7_T9_mT8_P12ihipStream_tbDpT10_ENKUlT_T0_E_clISt17integral_constantIbLb1EES15_IbLb0EEEEDaS11_S12_EUlS11_E_NS1_11comp_targetILNS1_3genE4ELNS1_11target_archE910ELNS1_3gpuE8ELNS1_3repE0EEENS1_30default_config_static_selectorELNS0_4arch9wavefront6targetE1EEEvT1_
	.globl	_ZN7rocprim17ROCPRIM_400000_NS6detail17trampoline_kernelINS0_14default_configENS1_25partition_config_selectorILNS1_17partition_subalgoE5ElNS0_10empty_typeEbEEZZNS1_14partition_implILS5_5ELb0ES3_mN6hipcub16HIPCUB_304000_NS21CountingInputIteratorIllEEPS6_NSA_22TransformInputIteratorIb7NonZeroIsEPslEENS0_5tupleIJPlS6_EEENSJ_IJSD_SD_EEES6_SK_JS6_EEE10hipError_tPvRmT3_T4_T5_T6_T7_T9_mT8_P12ihipStream_tbDpT10_ENKUlT_T0_E_clISt17integral_constantIbLb1EES15_IbLb0EEEEDaS11_S12_EUlS11_E_NS1_11comp_targetILNS1_3genE4ELNS1_11target_archE910ELNS1_3gpuE8ELNS1_3repE0EEENS1_30default_config_static_selectorELNS0_4arch9wavefront6targetE1EEEvT1_
	.p2align	8
	.type	_ZN7rocprim17ROCPRIM_400000_NS6detail17trampoline_kernelINS0_14default_configENS1_25partition_config_selectorILNS1_17partition_subalgoE5ElNS0_10empty_typeEbEEZZNS1_14partition_implILS5_5ELb0ES3_mN6hipcub16HIPCUB_304000_NS21CountingInputIteratorIllEEPS6_NSA_22TransformInputIteratorIb7NonZeroIsEPslEENS0_5tupleIJPlS6_EEENSJ_IJSD_SD_EEES6_SK_JS6_EEE10hipError_tPvRmT3_T4_T5_T6_T7_T9_mT8_P12ihipStream_tbDpT10_ENKUlT_T0_E_clISt17integral_constantIbLb1EES15_IbLb0EEEEDaS11_S12_EUlS11_E_NS1_11comp_targetILNS1_3genE4ELNS1_11target_archE910ELNS1_3gpuE8ELNS1_3repE0EEENS1_30default_config_static_selectorELNS0_4arch9wavefront6targetE1EEEvT1_,@function
_ZN7rocprim17ROCPRIM_400000_NS6detail17trampoline_kernelINS0_14default_configENS1_25partition_config_selectorILNS1_17partition_subalgoE5ElNS0_10empty_typeEbEEZZNS1_14partition_implILS5_5ELb0ES3_mN6hipcub16HIPCUB_304000_NS21CountingInputIteratorIllEEPS6_NSA_22TransformInputIteratorIb7NonZeroIsEPslEENS0_5tupleIJPlS6_EEENSJ_IJSD_SD_EEES6_SK_JS6_EEE10hipError_tPvRmT3_T4_T5_T6_T7_T9_mT8_P12ihipStream_tbDpT10_ENKUlT_T0_E_clISt17integral_constantIbLb1EES15_IbLb0EEEEDaS11_S12_EUlS11_E_NS1_11comp_targetILNS1_3genE4ELNS1_11target_archE910ELNS1_3gpuE8ELNS1_3repE0EEENS1_30default_config_static_selectorELNS0_4arch9wavefront6targetE1EEEvT1_: ; @_ZN7rocprim17ROCPRIM_400000_NS6detail17trampoline_kernelINS0_14default_configENS1_25partition_config_selectorILNS1_17partition_subalgoE5ElNS0_10empty_typeEbEEZZNS1_14partition_implILS5_5ELb0ES3_mN6hipcub16HIPCUB_304000_NS21CountingInputIteratorIllEEPS6_NSA_22TransformInputIteratorIb7NonZeroIsEPslEENS0_5tupleIJPlS6_EEENSJ_IJSD_SD_EEES6_SK_JS6_EEE10hipError_tPvRmT3_T4_T5_T6_T7_T9_mT8_P12ihipStream_tbDpT10_ENKUlT_T0_E_clISt17integral_constantIbLb1EES15_IbLb0EEEEDaS11_S12_EUlS11_E_NS1_11comp_targetILNS1_3genE4ELNS1_11target_archE910ELNS1_3gpuE8ELNS1_3repE0EEENS1_30default_config_static_selectorELNS0_4arch9wavefront6targetE1EEEvT1_
; %bb.0:
	.section	.rodata,"a",@progbits
	.p2align	6, 0x0
	.amdhsa_kernel _ZN7rocprim17ROCPRIM_400000_NS6detail17trampoline_kernelINS0_14default_configENS1_25partition_config_selectorILNS1_17partition_subalgoE5ElNS0_10empty_typeEbEEZZNS1_14partition_implILS5_5ELb0ES3_mN6hipcub16HIPCUB_304000_NS21CountingInputIteratorIllEEPS6_NSA_22TransformInputIteratorIb7NonZeroIsEPslEENS0_5tupleIJPlS6_EEENSJ_IJSD_SD_EEES6_SK_JS6_EEE10hipError_tPvRmT3_T4_T5_T6_T7_T9_mT8_P12ihipStream_tbDpT10_ENKUlT_T0_E_clISt17integral_constantIbLb1EES15_IbLb0EEEEDaS11_S12_EUlS11_E_NS1_11comp_targetILNS1_3genE4ELNS1_11target_archE910ELNS1_3gpuE8ELNS1_3repE0EEENS1_30default_config_static_selectorELNS0_4arch9wavefront6targetE1EEEvT1_
		.amdhsa_group_segment_fixed_size 0
		.amdhsa_private_segment_fixed_size 0
		.amdhsa_kernarg_size 120
		.amdhsa_user_sgpr_count 6
		.amdhsa_user_sgpr_private_segment_buffer 1
		.amdhsa_user_sgpr_dispatch_ptr 0
		.amdhsa_user_sgpr_queue_ptr 0
		.amdhsa_user_sgpr_kernarg_segment_ptr 1
		.amdhsa_user_sgpr_dispatch_id 0
		.amdhsa_user_sgpr_flat_scratch_init 0
		.amdhsa_user_sgpr_private_segment_size 0
		.amdhsa_uses_dynamic_stack 0
		.amdhsa_system_sgpr_private_segment_wavefront_offset 0
		.amdhsa_system_sgpr_workgroup_id_x 1
		.amdhsa_system_sgpr_workgroup_id_y 0
		.amdhsa_system_sgpr_workgroup_id_z 0
		.amdhsa_system_sgpr_workgroup_info 0
		.amdhsa_system_vgpr_workitem_id 0
		.amdhsa_next_free_vgpr 1
		.amdhsa_next_free_sgpr 0
		.amdhsa_reserve_vcc 0
		.amdhsa_reserve_flat_scratch 0
		.amdhsa_float_round_mode_32 0
		.amdhsa_float_round_mode_16_64 0
		.amdhsa_float_denorm_mode_32 3
		.amdhsa_float_denorm_mode_16_64 3
		.amdhsa_dx10_clamp 1
		.amdhsa_ieee_mode 1
		.amdhsa_fp16_overflow 0
		.amdhsa_exception_fp_ieee_invalid_op 0
		.amdhsa_exception_fp_denorm_src 0
		.amdhsa_exception_fp_ieee_div_zero 0
		.amdhsa_exception_fp_ieee_overflow 0
		.amdhsa_exception_fp_ieee_underflow 0
		.amdhsa_exception_fp_ieee_inexact 0
		.amdhsa_exception_int_div_zero 0
	.end_amdhsa_kernel
	.section	.text._ZN7rocprim17ROCPRIM_400000_NS6detail17trampoline_kernelINS0_14default_configENS1_25partition_config_selectorILNS1_17partition_subalgoE5ElNS0_10empty_typeEbEEZZNS1_14partition_implILS5_5ELb0ES3_mN6hipcub16HIPCUB_304000_NS21CountingInputIteratorIllEEPS6_NSA_22TransformInputIteratorIb7NonZeroIsEPslEENS0_5tupleIJPlS6_EEENSJ_IJSD_SD_EEES6_SK_JS6_EEE10hipError_tPvRmT3_T4_T5_T6_T7_T9_mT8_P12ihipStream_tbDpT10_ENKUlT_T0_E_clISt17integral_constantIbLb1EES15_IbLb0EEEEDaS11_S12_EUlS11_E_NS1_11comp_targetILNS1_3genE4ELNS1_11target_archE910ELNS1_3gpuE8ELNS1_3repE0EEENS1_30default_config_static_selectorELNS0_4arch9wavefront6targetE1EEEvT1_,"axG",@progbits,_ZN7rocprim17ROCPRIM_400000_NS6detail17trampoline_kernelINS0_14default_configENS1_25partition_config_selectorILNS1_17partition_subalgoE5ElNS0_10empty_typeEbEEZZNS1_14partition_implILS5_5ELb0ES3_mN6hipcub16HIPCUB_304000_NS21CountingInputIteratorIllEEPS6_NSA_22TransformInputIteratorIb7NonZeroIsEPslEENS0_5tupleIJPlS6_EEENSJ_IJSD_SD_EEES6_SK_JS6_EEE10hipError_tPvRmT3_T4_T5_T6_T7_T9_mT8_P12ihipStream_tbDpT10_ENKUlT_T0_E_clISt17integral_constantIbLb1EES15_IbLb0EEEEDaS11_S12_EUlS11_E_NS1_11comp_targetILNS1_3genE4ELNS1_11target_archE910ELNS1_3gpuE8ELNS1_3repE0EEENS1_30default_config_static_selectorELNS0_4arch9wavefront6targetE1EEEvT1_,comdat
.Lfunc_end135:
	.size	_ZN7rocprim17ROCPRIM_400000_NS6detail17trampoline_kernelINS0_14default_configENS1_25partition_config_selectorILNS1_17partition_subalgoE5ElNS0_10empty_typeEbEEZZNS1_14partition_implILS5_5ELb0ES3_mN6hipcub16HIPCUB_304000_NS21CountingInputIteratorIllEEPS6_NSA_22TransformInputIteratorIb7NonZeroIsEPslEENS0_5tupleIJPlS6_EEENSJ_IJSD_SD_EEES6_SK_JS6_EEE10hipError_tPvRmT3_T4_T5_T6_T7_T9_mT8_P12ihipStream_tbDpT10_ENKUlT_T0_E_clISt17integral_constantIbLb1EES15_IbLb0EEEEDaS11_S12_EUlS11_E_NS1_11comp_targetILNS1_3genE4ELNS1_11target_archE910ELNS1_3gpuE8ELNS1_3repE0EEENS1_30default_config_static_selectorELNS0_4arch9wavefront6targetE1EEEvT1_, .Lfunc_end135-_ZN7rocprim17ROCPRIM_400000_NS6detail17trampoline_kernelINS0_14default_configENS1_25partition_config_selectorILNS1_17partition_subalgoE5ElNS0_10empty_typeEbEEZZNS1_14partition_implILS5_5ELb0ES3_mN6hipcub16HIPCUB_304000_NS21CountingInputIteratorIllEEPS6_NSA_22TransformInputIteratorIb7NonZeroIsEPslEENS0_5tupleIJPlS6_EEENSJ_IJSD_SD_EEES6_SK_JS6_EEE10hipError_tPvRmT3_T4_T5_T6_T7_T9_mT8_P12ihipStream_tbDpT10_ENKUlT_T0_E_clISt17integral_constantIbLb1EES15_IbLb0EEEEDaS11_S12_EUlS11_E_NS1_11comp_targetILNS1_3genE4ELNS1_11target_archE910ELNS1_3gpuE8ELNS1_3repE0EEENS1_30default_config_static_selectorELNS0_4arch9wavefront6targetE1EEEvT1_
                                        ; -- End function
	.set _ZN7rocprim17ROCPRIM_400000_NS6detail17trampoline_kernelINS0_14default_configENS1_25partition_config_selectorILNS1_17partition_subalgoE5ElNS0_10empty_typeEbEEZZNS1_14partition_implILS5_5ELb0ES3_mN6hipcub16HIPCUB_304000_NS21CountingInputIteratorIllEEPS6_NSA_22TransformInputIteratorIb7NonZeroIsEPslEENS0_5tupleIJPlS6_EEENSJ_IJSD_SD_EEES6_SK_JS6_EEE10hipError_tPvRmT3_T4_T5_T6_T7_T9_mT8_P12ihipStream_tbDpT10_ENKUlT_T0_E_clISt17integral_constantIbLb1EES15_IbLb0EEEEDaS11_S12_EUlS11_E_NS1_11comp_targetILNS1_3genE4ELNS1_11target_archE910ELNS1_3gpuE8ELNS1_3repE0EEENS1_30default_config_static_selectorELNS0_4arch9wavefront6targetE1EEEvT1_.num_vgpr, 0
	.set _ZN7rocprim17ROCPRIM_400000_NS6detail17trampoline_kernelINS0_14default_configENS1_25partition_config_selectorILNS1_17partition_subalgoE5ElNS0_10empty_typeEbEEZZNS1_14partition_implILS5_5ELb0ES3_mN6hipcub16HIPCUB_304000_NS21CountingInputIteratorIllEEPS6_NSA_22TransformInputIteratorIb7NonZeroIsEPslEENS0_5tupleIJPlS6_EEENSJ_IJSD_SD_EEES6_SK_JS6_EEE10hipError_tPvRmT3_T4_T5_T6_T7_T9_mT8_P12ihipStream_tbDpT10_ENKUlT_T0_E_clISt17integral_constantIbLb1EES15_IbLb0EEEEDaS11_S12_EUlS11_E_NS1_11comp_targetILNS1_3genE4ELNS1_11target_archE910ELNS1_3gpuE8ELNS1_3repE0EEENS1_30default_config_static_selectorELNS0_4arch9wavefront6targetE1EEEvT1_.num_agpr, 0
	.set _ZN7rocprim17ROCPRIM_400000_NS6detail17trampoline_kernelINS0_14default_configENS1_25partition_config_selectorILNS1_17partition_subalgoE5ElNS0_10empty_typeEbEEZZNS1_14partition_implILS5_5ELb0ES3_mN6hipcub16HIPCUB_304000_NS21CountingInputIteratorIllEEPS6_NSA_22TransformInputIteratorIb7NonZeroIsEPslEENS0_5tupleIJPlS6_EEENSJ_IJSD_SD_EEES6_SK_JS6_EEE10hipError_tPvRmT3_T4_T5_T6_T7_T9_mT8_P12ihipStream_tbDpT10_ENKUlT_T0_E_clISt17integral_constantIbLb1EES15_IbLb0EEEEDaS11_S12_EUlS11_E_NS1_11comp_targetILNS1_3genE4ELNS1_11target_archE910ELNS1_3gpuE8ELNS1_3repE0EEENS1_30default_config_static_selectorELNS0_4arch9wavefront6targetE1EEEvT1_.numbered_sgpr, 0
	.set _ZN7rocprim17ROCPRIM_400000_NS6detail17trampoline_kernelINS0_14default_configENS1_25partition_config_selectorILNS1_17partition_subalgoE5ElNS0_10empty_typeEbEEZZNS1_14partition_implILS5_5ELb0ES3_mN6hipcub16HIPCUB_304000_NS21CountingInputIteratorIllEEPS6_NSA_22TransformInputIteratorIb7NonZeroIsEPslEENS0_5tupleIJPlS6_EEENSJ_IJSD_SD_EEES6_SK_JS6_EEE10hipError_tPvRmT3_T4_T5_T6_T7_T9_mT8_P12ihipStream_tbDpT10_ENKUlT_T0_E_clISt17integral_constantIbLb1EES15_IbLb0EEEEDaS11_S12_EUlS11_E_NS1_11comp_targetILNS1_3genE4ELNS1_11target_archE910ELNS1_3gpuE8ELNS1_3repE0EEENS1_30default_config_static_selectorELNS0_4arch9wavefront6targetE1EEEvT1_.num_named_barrier, 0
	.set _ZN7rocprim17ROCPRIM_400000_NS6detail17trampoline_kernelINS0_14default_configENS1_25partition_config_selectorILNS1_17partition_subalgoE5ElNS0_10empty_typeEbEEZZNS1_14partition_implILS5_5ELb0ES3_mN6hipcub16HIPCUB_304000_NS21CountingInputIteratorIllEEPS6_NSA_22TransformInputIteratorIb7NonZeroIsEPslEENS0_5tupleIJPlS6_EEENSJ_IJSD_SD_EEES6_SK_JS6_EEE10hipError_tPvRmT3_T4_T5_T6_T7_T9_mT8_P12ihipStream_tbDpT10_ENKUlT_T0_E_clISt17integral_constantIbLb1EES15_IbLb0EEEEDaS11_S12_EUlS11_E_NS1_11comp_targetILNS1_3genE4ELNS1_11target_archE910ELNS1_3gpuE8ELNS1_3repE0EEENS1_30default_config_static_selectorELNS0_4arch9wavefront6targetE1EEEvT1_.private_seg_size, 0
	.set _ZN7rocprim17ROCPRIM_400000_NS6detail17trampoline_kernelINS0_14default_configENS1_25partition_config_selectorILNS1_17partition_subalgoE5ElNS0_10empty_typeEbEEZZNS1_14partition_implILS5_5ELb0ES3_mN6hipcub16HIPCUB_304000_NS21CountingInputIteratorIllEEPS6_NSA_22TransformInputIteratorIb7NonZeroIsEPslEENS0_5tupleIJPlS6_EEENSJ_IJSD_SD_EEES6_SK_JS6_EEE10hipError_tPvRmT3_T4_T5_T6_T7_T9_mT8_P12ihipStream_tbDpT10_ENKUlT_T0_E_clISt17integral_constantIbLb1EES15_IbLb0EEEEDaS11_S12_EUlS11_E_NS1_11comp_targetILNS1_3genE4ELNS1_11target_archE910ELNS1_3gpuE8ELNS1_3repE0EEENS1_30default_config_static_selectorELNS0_4arch9wavefront6targetE1EEEvT1_.uses_vcc, 0
	.set _ZN7rocprim17ROCPRIM_400000_NS6detail17trampoline_kernelINS0_14default_configENS1_25partition_config_selectorILNS1_17partition_subalgoE5ElNS0_10empty_typeEbEEZZNS1_14partition_implILS5_5ELb0ES3_mN6hipcub16HIPCUB_304000_NS21CountingInputIteratorIllEEPS6_NSA_22TransformInputIteratorIb7NonZeroIsEPslEENS0_5tupleIJPlS6_EEENSJ_IJSD_SD_EEES6_SK_JS6_EEE10hipError_tPvRmT3_T4_T5_T6_T7_T9_mT8_P12ihipStream_tbDpT10_ENKUlT_T0_E_clISt17integral_constantIbLb1EES15_IbLb0EEEEDaS11_S12_EUlS11_E_NS1_11comp_targetILNS1_3genE4ELNS1_11target_archE910ELNS1_3gpuE8ELNS1_3repE0EEENS1_30default_config_static_selectorELNS0_4arch9wavefront6targetE1EEEvT1_.uses_flat_scratch, 0
	.set _ZN7rocprim17ROCPRIM_400000_NS6detail17trampoline_kernelINS0_14default_configENS1_25partition_config_selectorILNS1_17partition_subalgoE5ElNS0_10empty_typeEbEEZZNS1_14partition_implILS5_5ELb0ES3_mN6hipcub16HIPCUB_304000_NS21CountingInputIteratorIllEEPS6_NSA_22TransformInputIteratorIb7NonZeroIsEPslEENS0_5tupleIJPlS6_EEENSJ_IJSD_SD_EEES6_SK_JS6_EEE10hipError_tPvRmT3_T4_T5_T6_T7_T9_mT8_P12ihipStream_tbDpT10_ENKUlT_T0_E_clISt17integral_constantIbLb1EES15_IbLb0EEEEDaS11_S12_EUlS11_E_NS1_11comp_targetILNS1_3genE4ELNS1_11target_archE910ELNS1_3gpuE8ELNS1_3repE0EEENS1_30default_config_static_selectorELNS0_4arch9wavefront6targetE1EEEvT1_.has_dyn_sized_stack, 0
	.set _ZN7rocprim17ROCPRIM_400000_NS6detail17trampoline_kernelINS0_14default_configENS1_25partition_config_selectorILNS1_17partition_subalgoE5ElNS0_10empty_typeEbEEZZNS1_14partition_implILS5_5ELb0ES3_mN6hipcub16HIPCUB_304000_NS21CountingInputIteratorIllEEPS6_NSA_22TransformInputIteratorIb7NonZeroIsEPslEENS0_5tupleIJPlS6_EEENSJ_IJSD_SD_EEES6_SK_JS6_EEE10hipError_tPvRmT3_T4_T5_T6_T7_T9_mT8_P12ihipStream_tbDpT10_ENKUlT_T0_E_clISt17integral_constantIbLb1EES15_IbLb0EEEEDaS11_S12_EUlS11_E_NS1_11comp_targetILNS1_3genE4ELNS1_11target_archE910ELNS1_3gpuE8ELNS1_3repE0EEENS1_30default_config_static_selectorELNS0_4arch9wavefront6targetE1EEEvT1_.has_recursion, 0
	.set _ZN7rocprim17ROCPRIM_400000_NS6detail17trampoline_kernelINS0_14default_configENS1_25partition_config_selectorILNS1_17partition_subalgoE5ElNS0_10empty_typeEbEEZZNS1_14partition_implILS5_5ELb0ES3_mN6hipcub16HIPCUB_304000_NS21CountingInputIteratorIllEEPS6_NSA_22TransformInputIteratorIb7NonZeroIsEPslEENS0_5tupleIJPlS6_EEENSJ_IJSD_SD_EEES6_SK_JS6_EEE10hipError_tPvRmT3_T4_T5_T6_T7_T9_mT8_P12ihipStream_tbDpT10_ENKUlT_T0_E_clISt17integral_constantIbLb1EES15_IbLb0EEEEDaS11_S12_EUlS11_E_NS1_11comp_targetILNS1_3genE4ELNS1_11target_archE910ELNS1_3gpuE8ELNS1_3repE0EEENS1_30default_config_static_selectorELNS0_4arch9wavefront6targetE1EEEvT1_.has_indirect_call, 0
	.section	.AMDGPU.csdata,"",@progbits
; Kernel info:
; codeLenInByte = 0
; TotalNumSgprs: 4
; NumVgprs: 0
; ScratchSize: 0
; MemoryBound: 0
; FloatMode: 240
; IeeeMode: 1
; LDSByteSize: 0 bytes/workgroup (compile time only)
; SGPRBlocks: 0
; VGPRBlocks: 0
; NumSGPRsForWavesPerEU: 4
; NumVGPRsForWavesPerEU: 1
; Occupancy: 10
; WaveLimiterHint : 0
; COMPUTE_PGM_RSRC2:SCRATCH_EN: 0
; COMPUTE_PGM_RSRC2:USER_SGPR: 6
; COMPUTE_PGM_RSRC2:TRAP_HANDLER: 0
; COMPUTE_PGM_RSRC2:TGID_X_EN: 1
; COMPUTE_PGM_RSRC2:TGID_Y_EN: 0
; COMPUTE_PGM_RSRC2:TGID_Z_EN: 0
; COMPUTE_PGM_RSRC2:TIDIG_COMP_CNT: 0
	.section	.text._ZN7rocprim17ROCPRIM_400000_NS6detail17trampoline_kernelINS0_14default_configENS1_25partition_config_selectorILNS1_17partition_subalgoE5ElNS0_10empty_typeEbEEZZNS1_14partition_implILS5_5ELb0ES3_mN6hipcub16HIPCUB_304000_NS21CountingInputIteratorIllEEPS6_NSA_22TransformInputIteratorIb7NonZeroIsEPslEENS0_5tupleIJPlS6_EEENSJ_IJSD_SD_EEES6_SK_JS6_EEE10hipError_tPvRmT3_T4_T5_T6_T7_T9_mT8_P12ihipStream_tbDpT10_ENKUlT_T0_E_clISt17integral_constantIbLb1EES15_IbLb0EEEEDaS11_S12_EUlS11_E_NS1_11comp_targetILNS1_3genE3ELNS1_11target_archE908ELNS1_3gpuE7ELNS1_3repE0EEENS1_30default_config_static_selectorELNS0_4arch9wavefront6targetE1EEEvT1_,"axG",@progbits,_ZN7rocprim17ROCPRIM_400000_NS6detail17trampoline_kernelINS0_14default_configENS1_25partition_config_selectorILNS1_17partition_subalgoE5ElNS0_10empty_typeEbEEZZNS1_14partition_implILS5_5ELb0ES3_mN6hipcub16HIPCUB_304000_NS21CountingInputIteratorIllEEPS6_NSA_22TransformInputIteratorIb7NonZeroIsEPslEENS0_5tupleIJPlS6_EEENSJ_IJSD_SD_EEES6_SK_JS6_EEE10hipError_tPvRmT3_T4_T5_T6_T7_T9_mT8_P12ihipStream_tbDpT10_ENKUlT_T0_E_clISt17integral_constantIbLb1EES15_IbLb0EEEEDaS11_S12_EUlS11_E_NS1_11comp_targetILNS1_3genE3ELNS1_11target_archE908ELNS1_3gpuE7ELNS1_3repE0EEENS1_30default_config_static_selectorELNS0_4arch9wavefront6targetE1EEEvT1_,comdat
	.protected	_ZN7rocprim17ROCPRIM_400000_NS6detail17trampoline_kernelINS0_14default_configENS1_25partition_config_selectorILNS1_17partition_subalgoE5ElNS0_10empty_typeEbEEZZNS1_14partition_implILS5_5ELb0ES3_mN6hipcub16HIPCUB_304000_NS21CountingInputIteratorIllEEPS6_NSA_22TransformInputIteratorIb7NonZeroIsEPslEENS0_5tupleIJPlS6_EEENSJ_IJSD_SD_EEES6_SK_JS6_EEE10hipError_tPvRmT3_T4_T5_T6_T7_T9_mT8_P12ihipStream_tbDpT10_ENKUlT_T0_E_clISt17integral_constantIbLb1EES15_IbLb0EEEEDaS11_S12_EUlS11_E_NS1_11comp_targetILNS1_3genE3ELNS1_11target_archE908ELNS1_3gpuE7ELNS1_3repE0EEENS1_30default_config_static_selectorELNS0_4arch9wavefront6targetE1EEEvT1_ ; -- Begin function _ZN7rocprim17ROCPRIM_400000_NS6detail17trampoline_kernelINS0_14default_configENS1_25partition_config_selectorILNS1_17partition_subalgoE5ElNS0_10empty_typeEbEEZZNS1_14partition_implILS5_5ELb0ES3_mN6hipcub16HIPCUB_304000_NS21CountingInputIteratorIllEEPS6_NSA_22TransformInputIteratorIb7NonZeroIsEPslEENS0_5tupleIJPlS6_EEENSJ_IJSD_SD_EEES6_SK_JS6_EEE10hipError_tPvRmT3_T4_T5_T6_T7_T9_mT8_P12ihipStream_tbDpT10_ENKUlT_T0_E_clISt17integral_constantIbLb1EES15_IbLb0EEEEDaS11_S12_EUlS11_E_NS1_11comp_targetILNS1_3genE3ELNS1_11target_archE908ELNS1_3gpuE7ELNS1_3repE0EEENS1_30default_config_static_selectorELNS0_4arch9wavefront6targetE1EEEvT1_
	.globl	_ZN7rocprim17ROCPRIM_400000_NS6detail17trampoline_kernelINS0_14default_configENS1_25partition_config_selectorILNS1_17partition_subalgoE5ElNS0_10empty_typeEbEEZZNS1_14partition_implILS5_5ELb0ES3_mN6hipcub16HIPCUB_304000_NS21CountingInputIteratorIllEEPS6_NSA_22TransformInputIteratorIb7NonZeroIsEPslEENS0_5tupleIJPlS6_EEENSJ_IJSD_SD_EEES6_SK_JS6_EEE10hipError_tPvRmT3_T4_T5_T6_T7_T9_mT8_P12ihipStream_tbDpT10_ENKUlT_T0_E_clISt17integral_constantIbLb1EES15_IbLb0EEEEDaS11_S12_EUlS11_E_NS1_11comp_targetILNS1_3genE3ELNS1_11target_archE908ELNS1_3gpuE7ELNS1_3repE0EEENS1_30default_config_static_selectorELNS0_4arch9wavefront6targetE1EEEvT1_
	.p2align	8
	.type	_ZN7rocprim17ROCPRIM_400000_NS6detail17trampoline_kernelINS0_14default_configENS1_25partition_config_selectorILNS1_17partition_subalgoE5ElNS0_10empty_typeEbEEZZNS1_14partition_implILS5_5ELb0ES3_mN6hipcub16HIPCUB_304000_NS21CountingInputIteratorIllEEPS6_NSA_22TransformInputIteratorIb7NonZeroIsEPslEENS0_5tupleIJPlS6_EEENSJ_IJSD_SD_EEES6_SK_JS6_EEE10hipError_tPvRmT3_T4_T5_T6_T7_T9_mT8_P12ihipStream_tbDpT10_ENKUlT_T0_E_clISt17integral_constantIbLb1EES15_IbLb0EEEEDaS11_S12_EUlS11_E_NS1_11comp_targetILNS1_3genE3ELNS1_11target_archE908ELNS1_3gpuE7ELNS1_3repE0EEENS1_30default_config_static_selectorELNS0_4arch9wavefront6targetE1EEEvT1_,@function
_ZN7rocprim17ROCPRIM_400000_NS6detail17trampoline_kernelINS0_14default_configENS1_25partition_config_selectorILNS1_17partition_subalgoE5ElNS0_10empty_typeEbEEZZNS1_14partition_implILS5_5ELb0ES3_mN6hipcub16HIPCUB_304000_NS21CountingInputIteratorIllEEPS6_NSA_22TransformInputIteratorIb7NonZeroIsEPslEENS0_5tupleIJPlS6_EEENSJ_IJSD_SD_EEES6_SK_JS6_EEE10hipError_tPvRmT3_T4_T5_T6_T7_T9_mT8_P12ihipStream_tbDpT10_ENKUlT_T0_E_clISt17integral_constantIbLb1EES15_IbLb0EEEEDaS11_S12_EUlS11_E_NS1_11comp_targetILNS1_3genE3ELNS1_11target_archE908ELNS1_3gpuE7ELNS1_3repE0EEENS1_30default_config_static_selectorELNS0_4arch9wavefront6targetE1EEEvT1_: ; @_ZN7rocprim17ROCPRIM_400000_NS6detail17trampoline_kernelINS0_14default_configENS1_25partition_config_selectorILNS1_17partition_subalgoE5ElNS0_10empty_typeEbEEZZNS1_14partition_implILS5_5ELb0ES3_mN6hipcub16HIPCUB_304000_NS21CountingInputIteratorIllEEPS6_NSA_22TransformInputIteratorIb7NonZeroIsEPslEENS0_5tupleIJPlS6_EEENSJ_IJSD_SD_EEES6_SK_JS6_EEE10hipError_tPvRmT3_T4_T5_T6_T7_T9_mT8_P12ihipStream_tbDpT10_ENKUlT_T0_E_clISt17integral_constantIbLb1EES15_IbLb0EEEEDaS11_S12_EUlS11_E_NS1_11comp_targetILNS1_3genE3ELNS1_11target_archE908ELNS1_3gpuE7ELNS1_3repE0EEENS1_30default_config_static_selectorELNS0_4arch9wavefront6targetE1EEEvT1_
; %bb.0:
	.section	.rodata,"a",@progbits
	.p2align	6, 0x0
	.amdhsa_kernel _ZN7rocprim17ROCPRIM_400000_NS6detail17trampoline_kernelINS0_14default_configENS1_25partition_config_selectorILNS1_17partition_subalgoE5ElNS0_10empty_typeEbEEZZNS1_14partition_implILS5_5ELb0ES3_mN6hipcub16HIPCUB_304000_NS21CountingInputIteratorIllEEPS6_NSA_22TransformInputIteratorIb7NonZeroIsEPslEENS0_5tupleIJPlS6_EEENSJ_IJSD_SD_EEES6_SK_JS6_EEE10hipError_tPvRmT3_T4_T5_T6_T7_T9_mT8_P12ihipStream_tbDpT10_ENKUlT_T0_E_clISt17integral_constantIbLb1EES15_IbLb0EEEEDaS11_S12_EUlS11_E_NS1_11comp_targetILNS1_3genE3ELNS1_11target_archE908ELNS1_3gpuE7ELNS1_3repE0EEENS1_30default_config_static_selectorELNS0_4arch9wavefront6targetE1EEEvT1_
		.amdhsa_group_segment_fixed_size 0
		.amdhsa_private_segment_fixed_size 0
		.amdhsa_kernarg_size 120
		.amdhsa_user_sgpr_count 6
		.amdhsa_user_sgpr_private_segment_buffer 1
		.amdhsa_user_sgpr_dispatch_ptr 0
		.amdhsa_user_sgpr_queue_ptr 0
		.amdhsa_user_sgpr_kernarg_segment_ptr 1
		.amdhsa_user_sgpr_dispatch_id 0
		.amdhsa_user_sgpr_flat_scratch_init 0
		.amdhsa_user_sgpr_private_segment_size 0
		.amdhsa_uses_dynamic_stack 0
		.amdhsa_system_sgpr_private_segment_wavefront_offset 0
		.amdhsa_system_sgpr_workgroup_id_x 1
		.amdhsa_system_sgpr_workgroup_id_y 0
		.amdhsa_system_sgpr_workgroup_id_z 0
		.amdhsa_system_sgpr_workgroup_info 0
		.amdhsa_system_vgpr_workitem_id 0
		.amdhsa_next_free_vgpr 1
		.amdhsa_next_free_sgpr 0
		.amdhsa_reserve_vcc 0
		.amdhsa_reserve_flat_scratch 0
		.amdhsa_float_round_mode_32 0
		.amdhsa_float_round_mode_16_64 0
		.amdhsa_float_denorm_mode_32 3
		.amdhsa_float_denorm_mode_16_64 3
		.amdhsa_dx10_clamp 1
		.amdhsa_ieee_mode 1
		.amdhsa_fp16_overflow 0
		.amdhsa_exception_fp_ieee_invalid_op 0
		.amdhsa_exception_fp_denorm_src 0
		.amdhsa_exception_fp_ieee_div_zero 0
		.amdhsa_exception_fp_ieee_overflow 0
		.amdhsa_exception_fp_ieee_underflow 0
		.amdhsa_exception_fp_ieee_inexact 0
		.amdhsa_exception_int_div_zero 0
	.end_amdhsa_kernel
	.section	.text._ZN7rocprim17ROCPRIM_400000_NS6detail17trampoline_kernelINS0_14default_configENS1_25partition_config_selectorILNS1_17partition_subalgoE5ElNS0_10empty_typeEbEEZZNS1_14partition_implILS5_5ELb0ES3_mN6hipcub16HIPCUB_304000_NS21CountingInputIteratorIllEEPS6_NSA_22TransformInputIteratorIb7NonZeroIsEPslEENS0_5tupleIJPlS6_EEENSJ_IJSD_SD_EEES6_SK_JS6_EEE10hipError_tPvRmT3_T4_T5_T6_T7_T9_mT8_P12ihipStream_tbDpT10_ENKUlT_T0_E_clISt17integral_constantIbLb1EES15_IbLb0EEEEDaS11_S12_EUlS11_E_NS1_11comp_targetILNS1_3genE3ELNS1_11target_archE908ELNS1_3gpuE7ELNS1_3repE0EEENS1_30default_config_static_selectorELNS0_4arch9wavefront6targetE1EEEvT1_,"axG",@progbits,_ZN7rocprim17ROCPRIM_400000_NS6detail17trampoline_kernelINS0_14default_configENS1_25partition_config_selectorILNS1_17partition_subalgoE5ElNS0_10empty_typeEbEEZZNS1_14partition_implILS5_5ELb0ES3_mN6hipcub16HIPCUB_304000_NS21CountingInputIteratorIllEEPS6_NSA_22TransformInputIteratorIb7NonZeroIsEPslEENS0_5tupleIJPlS6_EEENSJ_IJSD_SD_EEES6_SK_JS6_EEE10hipError_tPvRmT3_T4_T5_T6_T7_T9_mT8_P12ihipStream_tbDpT10_ENKUlT_T0_E_clISt17integral_constantIbLb1EES15_IbLb0EEEEDaS11_S12_EUlS11_E_NS1_11comp_targetILNS1_3genE3ELNS1_11target_archE908ELNS1_3gpuE7ELNS1_3repE0EEENS1_30default_config_static_selectorELNS0_4arch9wavefront6targetE1EEEvT1_,comdat
.Lfunc_end136:
	.size	_ZN7rocprim17ROCPRIM_400000_NS6detail17trampoline_kernelINS0_14default_configENS1_25partition_config_selectorILNS1_17partition_subalgoE5ElNS0_10empty_typeEbEEZZNS1_14partition_implILS5_5ELb0ES3_mN6hipcub16HIPCUB_304000_NS21CountingInputIteratorIllEEPS6_NSA_22TransformInputIteratorIb7NonZeroIsEPslEENS0_5tupleIJPlS6_EEENSJ_IJSD_SD_EEES6_SK_JS6_EEE10hipError_tPvRmT3_T4_T5_T6_T7_T9_mT8_P12ihipStream_tbDpT10_ENKUlT_T0_E_clISt17integral_constantIbLb1EES15_IbLb0EEEEDaS11_S12_EUlS11_E_NS1_11comp_targetILNS1_3genE3ELNS1_11target_archE908ELNS1_3gpuE7ELNS1_3repE0EEENS1_30default_config_static_selectorELNS0_4arch9wavefront6targetE1EEEvT1_, .Lfunc_end136-_ZN7rocprim17ROCPRIM_400000_NS6detail17trampoline_kernelINS0_14default_configENS1_25partition_config_selectorILNS1_17partition_subalgoE5ElNS0_10empty_typeEbEEZZNS1_14partition_implILS5_5ELb0ES3_mN6hipcub16HIPCUB_304000_NS21CountingInputIteratorIllEEPS6_NSA_22TransformInputIteratorIb7NonZeroIsEPslEENS0_5tupleIJPlS6_EEENSJ_IJSD_SD_EEES6_SK_JS6_EEE10hipError_tPvRmT3_T4_T5_T6_T7_T9_mT8_P12ihipStream_tbDpT10_ENKUlT_T0_E_clISt17integral_constantIbLb1EES15_IbLb0EEEEDaS11_S12_EUlS11_E_NS1_11comp_targetILNS1_3genE3ELNS1_11target_archE908ELNS1_3gpuE7ELNS1_3repE0EEENS1_30default_config_static_selectorELNS0_4arch9wavefront6targetE1EEEvT1_
                                        ; -- End function
	.set _ZN7rocprim17ROCPRIM_400000_NS6detail17trampoline_kernelINS0_14default_configENS1_25partition_config_selectorILNS1_17partition_subalgoE5ElNS0_10empty_typeEbEEZZNS1_14partition_implILS5_5ELb0ES3_mN6hipcub16HIPCUB_304000_NS21CountingInputIteratorIllEEPS6_NSA_22TransformInputIteratorIb7NonZeroIsEPslEENS0_5tupleIJPlS6_EEENSJ_IJSD_SD_EEES6_SK_JS6_EEE10hipError_tPvRmT3_T4_T5_T6_T7_T9_mT8_P12ihipStream_tbDpT10_ENKUlT_T0_E_clISt17integral_constantIbLb1EES15_IbLb0EEEEDaS11_S12_EUlS11_E_NS1_11comp_targetILNS1_3genE3ELNS1_11target_archE908ELNS1_3gpuE7ELNS1_3repE0EEENS1_30default_config_static_selectorELNS0_4arch9wavefront6targetE1EEEvT1_.num_vgpr, 0
	.set _ZN7rocprim17ROCPRIM_400000_NS6detail17trampoline_kernelINS0_14default_configENS1_25partition_config_selectorILNS1_17partition_subalgoE5ElNS0_10empty_typeEbEEZZNS1_14partition_implILS5_5ELb0ES3_mN6hipcub16HIPCUB_304000_NS21CountingInputIteratorIllEEPS6_NSA_22TransformInputIteratorIb7NonZeroIsEPslEENS0_5tupleIJPlS6_EEENSJ_IJSD_SD_EEES6_SK_JS6_EEE10hipError_tPvRmT3_T4_T5_T6_T7_T9_mT8_P12ihipStream_tbDpT10_ENKUlT_T0_E_clISt17integral_constantIbLb1EES15_IbLb0EEEEDaS11_S12_EUlS11_E_NS1_11comp_targetILNS1_3genE3ELNS1_11target_archE908ELNS1_3gpuE7ELNS1_3repE0EEENS1_30default_config_static_selectorELNS0_4arch9wavefront6targetE1EEEvT1_.num_agpr, 0
	.set _ZN7rocprim17ROCPRIM_400000_NS6detail17trampoline_kernelINS0_14default_configENS1_25partition_config_selectorILNS1_17partition_subalgoE5ElNS0_10empty_typeEbEEZZNS1_14partition_implILS5_5ELb0ES3_mN6hipcub16HIPCUB_304000_NS21CountingInputIteratorIllEEPS6_NSA_22TransformInputIteratorIb7NonZeroIsEPslEENS0_5tupleIJPlS6_EEENSJ_IJSD_SD_EEES6_SK_JS6_EEE10hipError_tPvRmT3_T4_T5_T6_T7_T9_mT8_P12ihipStream_tbDpT10_ENKUlT_T0_E_clISt17integral_constantIbLb1EES15_IbLb0EEEEDaS11_S12_EUlS11_E_NS1_11comp_targetILNS1_3genE3ELNS1_11target_archE908ELNS1_3gpuE7ELNS1_3repE0EEENS1_30default_config_static_selectorELNS0_4arch9wavefront6targetE1EEEvT1_.numbered_sgpr, 0
	.set _ZN7rocprim17ROCPRIM_400000_NS6detail17trampoline_kernelINS0_14default_configENS1_25partition_config_selectorILNS1_17partition_subalgoE5ElNS0_10empty_typeEbEEZZNS1_14partition_implILS5_5ELb0ES3_mN6hipcub16HIPCUB_304000_NS21CountingInputIteratorIllEEPS6_NSA_22TransformInputIteratorIb7NonZeroIsEPslEENS0_5tupleIJPlS6_EEENSJ_IJSD_SD_EEES6_SK_JS6_EEE10hipError_tPvRmT3_T4_T5_T6_T7_T9_mT8_P12ihipStream_tbDpT10_ENKUlT_T0_E_clISt17integral_constantIbLb1EES15_IbLb0EEEEDaS11_S12_EUlS11_E_NS1_11comp_targetILNS1_3genE3ELNS1_11target_archE908ELNS1_3gpuE7ELNS1_3repE0EEENS1_30default_config_static_selectorELNS0_4arch9wavefront6targetE1EEEvT1_.num_named_barrier, 0
	.set _ZN7rocprim17ROCPRIM_400000_NS6detail17trampoline_kernelINS0_14default_configENS1_25partition_config_selectorILNS1_17partition_subalgoE5ElNS0_10empty_typeEbEEZZNS1_14partition_implILS5_5ELb0ES3_mN6hipcub16HIPCUB_304000_NS21CountingInputIteratorIllEEPS6_NSA_22TransformInputIteratorIb7NonZeroIsEPslEENS0_5tupleIJPlS6_EEENSJ_IJSD_SD_EEES6_SK_JS6_EEE10hipError_tPvRmT3_T4_T5_T6_T7_T9_mT8_P12ihipStream_tbDpT10_ENKUlT_T0_E_clISt17integral_constantIbLb1EES15_IbLb0EEEEDaS11_S12_EUlS11_E_NS1_11comp_targetILNS1_3genE3ELNS1_11target_archE908ELNS1_3gpuE7ELNS1_3repE0EEENS1_30default_config_static_selectorELNS0_4arch9wavefront6targetE1EEEvT1_.private_seg_size, 0
	.set _ZN7rocprim17ROCPRIM_400000_NS6detail17trampoline_kernelINS0_14default_configENS1_25partition_config_selectorILNS1_17partition_subalgoE5ElNS0_10empty_typeEbEEZZNS1_14partition_implILS5_5ELb0ES3_mN6hipcub16HIPCUB_304000_NS21CountingInputIteratorIllEEPS6_NSA_22TransformInputIteratorIb7NonZeroIsEPslEENS0_5tupleIJPlS6_EEENSJ_IJSD_SD_EEES6_SK_JS6_EEE10hipError_tPvRmT3_T4_T5_T6_T7_T9_mT8_P12ihipStream_tbDpT10_ENKUlT_T0_E_clISt17integral_constantIbLb1EES15_IbLb0EEEEDaS11_S12_EUlS11_E_NS1_11comp_targetILNS1_3genE3ELNS1_11target_archE908ELNS1_3gpuE7ELNS1_3repE0EEENS1_30default_config_static_selectorELNS0_4arch9wavefront6targetE1EEEvT1_.uses_vcc, 0
	.set _ZN7rocprim17ROCPRIM_400000_NS6detail17trampoline_kernelINS0_14default_configENS1_25partition_config_selectorILNS1_17partition_subalgoE5ElNS0_10empty_typeEbEEZZNS1_14partition_implILS5_5ELb0ES3_mN6hipcub16HIPCUB_304000_NS21CountingInputIteratorIllEEPS6_NSA_22TransformInputIteratorIb7NonZeroIsEPslEENS0_5tupleIJPlS6_EEENSJ_IJSD_SD_EEES6_SK_JS6_EEE10hipError_tPvRmT3_T4_T5_T6_T7_T9_mT8_P12ihipStream_tbDpT10_ENKUlT_T0_E_clISt17integral_constantIbLb1EES15_IbLb0EEEEDaS11_S12_EUlS11_E_NS1_11comp_targetILNS1_3genE3ELNS1_11target_archE908ELNS1_3gpuE7ELNS1_3repE0EEENS1_30default_config_static_selectorELNS0_4arch9wavefront6targetE1EEEvT1_.uses_flat_scratch, 0
	.set _ZN7rocprim17ROCPRIM_400000_NS6detail17trampoline_kernelINS0_14default_configENS1_25partition_config_selectorILNS1_17partition_subalgoE5ElNS0_10empty_typeEbEEZZNS1_14partition_implILS5_5ELb0ES3_mN6hipcub16HIPCUB_304000_NS21CountingInputIteratorIllEEPS6_NSA_22TransformInputIteratorIb7NonZeroIsEPslEENS0_5tupleIJPlS6_EEENSJ_IJSD_SD_EEES6_SK_JS6_EEE10hipError_tPvRmT3_T4_T5_T6_T7_T9_mT8_P12ihipStream_tbDpT10_ENKUlT_T0_E_clISt17integral_constantIbLb1EES15_IbLb0EEEEDaS11_S12_EUlS11_E_NS1_11comp_targetILNS1_3genE3ELNS1_11target_archE908ELNS1_3gpuE7ELNS1_3repE0EEENS1_30default_config_static_selectorELNS0_4arch9wavefront6targetE1EEEvT1_.has_dyn_sized_stack, 0
	.set _ZN7rocprim17ROCPRIM_400000_NS6detail17trampoline_kernelINS0_14default_configENS1_25partition_config_selectorILNS1_17partition_subalgoE5ElNS0_10empty_typeEbEEZZNS1_14partition_implILS5_5ELb0ES3_mN6hipcub16HIPCUB_304000_NS21CountingInputIteratorIllEEPS6_NSA_22TransformInputIteratorIb7NonZeroIsEPslEENS0_5tupleIJPlS6_EEENSJ_IJSD_SD_EEES6_SK_JS6_EEE10hipError_tPvRmT3_T4_T5_T6_T7_T9_mT8_P12ihipStream_tbDpT10_ENKUlT_T0_E_clISt17integral_constantIbLb1EES15_IbLb0EEEEDaS11_S12_EUlS11_E_NS1_11comp_targetILNS1_3genE3ELNS1_11target_archE908ELNS1_3gpuE7ELNS1_3repE0EEENS1_30default_config_static_selectorELNS0_4arch9wavefront6targetE1EEEvT1_.has_recursion, 0
	.set _ZN7rocprim17ROCPRIM_400000_NS6detail17trampoline_kernelINS0_14default_configENS1_25partition_config_selectorILNS1_17partition_subalgoE5ElNS0_10empty_typeEbEEZZNS1_14partition_implILS5_5ELb0ES3_mN6hipcub16HIPCUB_304000_NS21CountingInputIteratorIllEEPS6_NSA_22TransformInputIteratorIb7NonZeroIsEPslEENS0_5tupleIJPlS6_EEENSJ_IJSD_SD_EEES6_SK_JS6_EEE10hipError_tPvRmT3_T4_T5_T6_T7_T9_mT8_P12ihipStream_tbDpT10_ENKUlT_T0_E_clISt17integral_constantIbLb1EES15_IbLb0EEEEDaS11_S12_EUlS11_E_NS1_11comp_targetILNS1_3genE3ELNS1_11target_archE908ELNS1_3gpuE7ELNS1_3repE0EEENS1_30default_config_static_selectorELNS0_4arch9wavefront6targetE1EEEvT1_.has_indirect_call, 0
	.section	.AMDGPU.csdata,"",@progbits
; Kernel info:
; codeLenInByte = 0
; TotalNumSgprs: 4
; NumVgprs: 0
; ScratchSize: 0
; MemoryBound: 0
; FloatMode: 240
; IeeeMode: 1
; LDSByteSize: 0 bytes/workgroup (compile time only)
; SGPRBlocks: 0
; VGPRBlocks: 0
; NumSGPRsForWavesPerEU: 4
; NumVGPRsForWavesPerEU: 1
; Occupancy: 10
; WaveLimiterHint : 0
; COMPUTE_PGM_RSRC2:SCRATCH_EN: 0
; COMPUTE_PGM_RSRC2:USER_SGPR: 6
; COMPUTE_PGM_RSRC2:TRAP_HANDLER: 0
; COMPUTE_PGM_RSRC2:TGID_X_EN: 1
; COMPUTE_PGM_RSRC2:TGID_Y_EN: 0
; COMPUTE_PGM_RSRC2:TGID_Z_EN: 0
; COMPUTE_PGM_RSRC2:TIDIG_COMP_CNT: 0
	.section	.text._ZN7rocprim17ROCPRIM_400000_NS6detail17trampoline_kernelINS0_14default_configENS1_25partition_config_selectorILNS1_17partition_subalgoE5ElNS0_10empty_typeEbEEZZNS1_14partition_implILS5_5ELb0ES3_mN6hipcub16HIPCUB_304000_NS21CountingInputIteratorIllEEPS6_NSA_22TransformInputIteratorIb7NonZeroIsEPslEENS0_5tupleIJPlS6_EEENSJ_IJSD_SD_EEES6_SK_JS6_EEE10hipError_tPvRmT3_T4_T5_T6_T7_T9_mT8_P12ihipStream_tbDpT10_ENKUlT_T0_E_clISt17integral_constantIbLb1EES15_IbLb0EEEEDaS11_S12_EUlS11_E_NS1_11comp_targetILNS1_3genE2ELNS1_11target_archE906ELNS1_3gpuE6ELNS1_3repE0EEENS1_30default_config_static_selectorELNS0_4arch9wavefront6targetE1EEEvT1_,"axG",@progbits,_ZN7rocprim17ROCPRIM_400000_NS6detail17trampoline_kernelINS0_14default_configENS1_25partition_config_selectorILNS1_17partition_subalgoE5ElNS0_10empty_typeEbEEZZNS1_14partition_implILS5_5ELb0ES3_mN6hipcub16HIPCUB_304000_NS21CountingInputIteratorIllEEPS6_NSA_22TransformInputIteratorIb7NonZeroIsEPslEENS0_5tupleIJPlS6_EEENSJ_IJSD_SD_EEES6_SK_JS6_EEE10hipError_tPvRmT3_T4_T5_T6_T7_T9_mT8_P12ihipStream_tbDpT10_ENKUlT_T0_E_clISt17integral_constantIbLb1EES15_IbLb0EEEEDaS11_S12_EUlS11_E_NS1_11comp_targetILNS1_3genE2ELNS1_11target_archE906ELNS1_3gpuE6ELNS1_3repE0EEENS1_30default_config_static_selectorELNS0_4arch9wavefront6targetE1EEEvT1_,comdat
	.protected	_ZN7rocprim17ROCPRIM_400000_NS6detail17trampoline_kernelINS0_14default_configENS1_25partition_config_selectorILNS1_17partition_subalgoE5ElNS0_10empty_typeEbEEZZNS1_14partition_implILS5_5ELb0ES3_mN6hipcub16HIPCUB_304000_NS21CountingInputIteratorIllEEPS6_NSA_22TransformInputIteratorIb7NonZeroIsEPslEENS0_5tupleIJPlS6_EEENSJ_IJSD_SD_EEES6_SK_JS6_EEE10hipError_tPvRmT3_T4_T5_T6_T7_T9_mT8_P12ihipStream_tbDpT10_ENKUlT_T0_E_clISt17integral_constantIbLb1EES15_IbLb0EEEEDaS11_S12_EUlS11_E_NS1_11comp_targetILNS1_3genE2ELNS1_11target_archE906ELNS1_3gpuE6ELNS1_3repE0EEENS1_30default_config_static_selectorELNS0_4arch9wavefront6targetE1EEEvT1_ ; -- Begin function _ZN7rocprim17ROCPRIM_400000_NS6detail17trampoline_kernelINS0_14default_configENS1_25partition_config_selectorILNS1_17partition_subalgoE5ElNS0_10empty_typeEbEEZZNS1_14partition_implILS5_5ELb0ES3_mN6hipcub16HIPCUB_304000_NS21CountingInputIteratorIllEEPS6_NSA_22TransformInputIteratorIb7NonZeroIsEPslEENS0_5tupleIJPlS6_EEENSJ_IJSD_SD_EEES6_SK_JS6_EEE10hipError_tPvRmT3_T4_T5_T6_T7_T9_mT8_P12ihipStream_tbDpT10_ENKUlT_T0_E_clISt17integral_constantIbLb1EES15_IbLb0EEEEDaS11_S12_EUlS11_E_NS1_11comp_targetILNS1_3genE2ELNS1_11target_archE906ELNS1_3gpuE6ELNS1_3repE0EEENS1_30default_config_static_selectorELNS0_4arch9wavefront6targetE1EEEvT1_
	.globl	_ZN7rocprim17ROCPRIM_400000_NS6detail17trampoline_kernelINS0_14default_configENS1_25partition_config_selectorILNS1_17partition_subalgoE5ElNS0_10empty_typeEbEEZZNS1_14partition_implILS5_5ELb0ES3_mN6hipcub16HIPCUB_304000_NS21CountingInputIteratorIllEEPS6_NSA_22TransformInputIteratorIb7NonZeroIsEPslEENS0_5tupleIJPlS6_EEENSJ_IJSD_SD_EEES6_SK_JS6_EEE10hipError_tPvRmT3_T4_T5_T6_T7_T9_mT8_P12ihipStream_tbDpT10_ENKUlT_T0_E_clISt17integral_constantIbLb1EES15_IbLb0EEEEDaS11_S12_EUlS11_E_NS1_11comp_targetILNS1_3genE2ELNS1_11target_archE906ELNS1_3gpuE6ELNS1_3repE0EEENS1_30default_config_static_selectorELNS0_4arch9wavefront6targetE1EEEvT1_
	.p2align	8
	.type	_ZN7rocprim17ROCPRIM_400000_NS6detail17trampoline_kernelINS0_14default_configENS1_25partition_config_selectorILNS1_17partition_subalgoE5ElNS0_10empty_typeEbEEZZNS1_14partition_implILS5_5ELb0ES3_mN6hipcub16HIPCUB_304000_NS21CountingInputIteratorIllEEPS6_NSA_22TransformInputIteratorIb7NonZeroIsEPslEENS0_5tupleIJPlS6_EEENSJ_IJSD_SD_EEES6_SK_JS6_EEE10hipError_tPvRmT3_T4_T5_T6_T7_T9_mT8_P12ihipStream_tbDpT10_ENKUlT_T0_E_clISt17integral_constantIbLb1EES15_IbLb0EEEEDaS11_S12_EUlS11_E_NS1_11comp_targetILNS1_3genE2ELNS1_11target_archE906ELNS1_3gpuE6ELNS1_3repE0EEENS1_30default_config_static_selectorELNS0_4arch9wavefront6targetE1EEEvT1_,@function
_ZN7rocprim17ROCPRIM_400000_NS6detail17trampoline_kernelINS0_14default_configENS1_25partition_config_selectorILNS1_17partition_subalgoE5ElNS0_10empty_typeEbEEZZNS1_14partition_implILS5_5ELb0ES3_mN6hipcub16HIPCUB_304000_NS21CountingInputIteratorIllEEPS6_NSA_22TransformInputIteratorIb7NonZeroIsEPslEENS0_5tupleIJPlS6_EEENSJ_IJSD_SD_EEES6_SK_JS6_EEE10hipError_tPvRmT3_T4_T5_T6_T7_T9_mT8_P12ihipStream_tbDpT10_ENKUlT_T0_E_clISt17integral_constantIbLb1EES15_IbLb0EEEEDaS11_S12_EUlS11_E_NS1_11comp_targetILNS1_3genE2ELNS1_11target_archE906ELNS1_3gpuE6ELNS1_3repE0EEENS1_30default_config_static_selectorELNS0_4arch9wavefront6targetE1EEEvT1_: ; @_ZN7rocprim17ROCPRIM_400000_NS6detail17trampoline_kernelINS0_14default_configENS1_25partition_config_selectorILNS1_17partition_subalgoE5ElNS0_10empty_typeEbEEZZNS1_14partition_implILS5_5ELb0ES3_mN6hipcub16HIPCUB_304000_NS21CountingInputIteratorIllEEPS6_NSA_22TransformInputIteratorIb7NonZeroIsEPslEENS0_5tupleIJPlS6_EEENSJ_IJSD_SD_EEES6_SK_JS6_EEE10hipError_tPvRmT3_T4_T5_T6_T7_T9_mT8_P12ihipStream_tbDpT10_ENKUlT_T0_E_clISt17integral_constantIbLb1EES15_IbLb0EEEEDaS11_S12_EUlS11_E_NS1_11comp_targetILNS1_3genE2ELNS1_11target_archE906ELNS1_3gpuE6ELNS1_3repE0EEENS1_30default_config_static_selectorELNS0_4arch9wavefront6targetE1EEEvT1_
; %bb.0:
	s_endpgm
	.section	.rodata,"a",@progbits
	.p2align	6, 0x0
	.amdhsa_kernel _ZN7rocprim17ROCPRIM_400000_NS6detail17trampoline_kernelINS0_14default_configENS1_25partition_config_selectorILNS1_17partition_subalgoE5ElNS0_10empty_typeEbEEZZNS1_14partition_implILS5_5ELb0ES3_mN6hipcub16HIPCUB_304000_NS21CountingInputIteratorIllEEPS6_NSA_22TransformInputIteratorIb7NonZeroIsEPslEENS0_5tupleIJPlS6_EEENSJ_IJSD_SD_EEES6_SK_JS6_EEE10hipError_tPvRmT3_T4_T5_T6_T7_T9_mT8_P12ihipStream_tbDpT10_ENKUlT_T0_E_clISt17integral_constantIbLb1EES15_IbLb0EEEEDaS11_S12_EUlS11_E_NS1_11comp_targetILNS1_3genE2ELNS1_11target_archE906ELNS1_3gpuE6ELNS1_3repE0EEENS1_30default_config_static_selectorELNS0_4arch9wavefront6targetE1EEEvT1_
		.amdhsa_group_segment_fixed_size 0
		.amdhsa_private_segment_fixed_size 0
		.amdhsa_kernarg_size 120
		.amdhsa_user_sgpr_count 6
		.amdhsa_user_sgpr_private_segment_buffer 1
		.amdhsa_user_sgpr_dispatch_ptr 0
		.amdhsa_user_sgpr_queue_ptr 0
		.amdhsa_user_sgpr_kernarg_segment_ptr 1
		.amdhsa_user_sgpr_dispatch_id 0
		.amdhsa_user_sgpr_flat_scratch_init 0
		.amdhsa_user_sgpr_private_segment_size 0
		.amdhsa_uses_dynamic_stack 0
		.amdhsa_system_sgpr_private_segment_wavefront_offset 0
		.amdhsa_system_sgpr_workgroup_id_x 1
		.amdhsa_system_sgpr_workgroup_id_y 0
		.amdhsa_system_sgpr_workgroup_id_z 0
		.amdhsa_system_sgpr_workgroup_info 0
		.amdhsa_system_vgpr_workitem_id 0
		.amdhsa_next_free_vgpr 1
		.amdhsa_next_free_sgpr 0
		.amdhsa_reserve_vcc 0
		.amdhsa_reserve_flat_scratch 0
		.amdhsa_float_round_mode_32 0
		.amdhsa_float_round_mode_16_64 0
		.amdhsa_float_denorm_mode_32 3
		.amdhsa_float_denorm_mode_16_64 3
		.amdhsa_dx10_clamp 1
		.amdhsa_ieee_mode 1
		.amdhsa_fp16_overflow 0
		.amdhsa_exception_fp_ieee_invalid_op 0
		.amdhsa_exception_fp_denorm_src 0
		.amdhsa_exception_fp_ieee_div_zero 0
		.amdhsa_exception_fp_ieee_overflow 0
		.amdhsa_exception_fp_ieee_underflow 0
		.amdhsa_exception_fp_ieee_inexact 0
		.amdhsa_exception_int_div_zero 0
	.end_amdhsa_kernel
	.section	.text._ZN7rocprim17ROCPRIM_400000_NS6detail17trampoline_kernelINS0_14default_configENS1_25partition_config_selectorILNS1_17partition_subalgoE5ElNS0_10empty_typeEbEEZZNS1_14partition_implILS5_5ELb0ES3_mN6hipcub16HIPCUB_304000_NS21CountingInputIteratorIllEEPS6_NSA_22TransformInputIteratorIb7NonZeroIsEPslEENS0_5tupleIJPlS6_EEENSJ_IJSD_SD_EEES6_SK_JS6_EEE10hipError_tPvRmT3_T4_T5_T6_T7_T9_mT8_P12ihipStream_tbDpT10_ENKUlT_T0_E_clISt17integral_constantIbLb1EES15_IbLb0EEEEDaS11_S12_EUlS11_E_NS1_11comp_targetILNS1_3genE2ELNS1_11target_archE906ELNS1_3gpuE6ELNS1_3repE0EEENS1_30default_config_static_selectorELNS0_4arch9wavefront6targetE1EEEvT1_,"axG",@progbits,_ZN7rocprim17ROCPRIM_400000_NS6detail17trampoline_kernelINS0_14default_configENS1_25partition_config_selectorILNS1_17partition_subalgoE5ElNS0_10empty_typeEbEEZZNS1_14partition_implILS5_5ELb0ES3_mN6hipcub16HIPCUB_304000_NS21CountingInputIteratorIllEEPS6_NSA_22TransformInputIteratorIb7NonZeroIsEPslEENS0_5tupleIJPlS6_EEENSJ_IJSD_SD_EEES6_SK_JS6_EEE10hipError_tPvRmT3_T4_T5_T6_T7_T9_mT8_P12ihipStream_tbDpT10_ENKUlT_T0_E_clISt17integral_constantIbLb1EES15_IbLb0EEEEDaS11_S12_EUlS11_E_NS1_11comp_targetILNS1_3genE2ELNS1_11target_archE906ELNS1_3gpuE6ELNS1_3repE0EEENS1_30default_config_static_selectorELNS0_4arch9wavefront6targetE1EEEvT1_,comdat
.Lfunc_end137:
	.size	_ZN7rocprim17ROCPRIM_400000_NS6detail17trampoline_kernelINS0_14default_configENS1_25partition_config_selectorILNS1_17partition_subalgoE5ElNS0_10empty_typeEbEEZZNS1_14partition_implILS5_5ELb0ES3_mN6hipcub16HIPCUB_304000_NS21CountingInputIteratorIllEEPS6_NSA_22TransformInputIteratorIb7NonZeroIsEPslEENS0_5tupleIJPlS6_EEENSJ_IJSD_SD_EEES6_SK_JS6_EEE10hipError_tPvRmT3_T4_T5_T6_T7_T9_mT8_P12ihipStream_tbDpT10_ENKUlT_T0_E_clISt17integral_constantIbLb1EES15_IbLb0EEEEDaS11_S12_EUlS11_E_NS1_11comp_targetILNS1_3genE2ELNS1_11target_archE906ELNS1_3gpuE6ELNS1_3repE0EEENS1_30default_config_static_selectorELNS0_4arch9wavefront6targetE1EEEvT1_, .Lfunc_end137-_ZN7rocprim17ROCPRIM_400000_NS6detail17trampoline_kernelINS0_14default_configENS1_25partition_config_selectorILNS1_17partition_subalgoE5ElNS0_10empty_typeEbEEZZNS1_14partition_implILS5_5ELb0ES3_mN6hipcub16HIPCUB_304000_NS21CountingInputIteratorIllEEPS6_NSA_22TransformInputIteratorIb7NonZeroIsEPslEENS0_5tupleIJPlS6_EEENSJ_IJSD_SD_EEES6_SK_JS6_EEE10hipError_tPvRmT3_T4_T5_T6_T7_T9_mT8_P12ihipStream_tbDpT10_ENKUlT_T0_E_clISt17integral_constantIbLb1EES15_IbLb0EEEEDaS11_S12_EUlS11_E_NS1_11comp_targetILNS1_3genE2ELNS1_11target_archE906ELNS1_3gpuE6ELNS1_3repE0EEENS1_30default_config_static_selectorELNS0_4arch9wavefront6targetE1EEEvT1_
                                        ; -- End function
	.set _ZN7rocprim17ROCPRIM_400000_NS6detail17trampoline_kernelINS0_14default_configENS1_25partition_config_selectorILNS1_17partition_subalgoE5ElNS0_10empty_typeEbEEZZNS1_14partition_implILS5_5ELb0ES3_mN6hipcub16HIPCUB_304000_NS21CountingInputIteratorIllEEPS6_NSA_22TransformInputIteratorIb7NonZeroIsEPslEENS0_5tupleIJPlS6_EEENSJ_IJSD_SD_EEES6_SK_JS6_EEE10hipError_tPvRmT3_T4_T5_T6_T7_T9_mT8_P12ihipStream_tbDpT10_ENKUlT_T0_E_clISt17integral_constantIbLb1EES15_IbLb0EEEEDaS11_S12_EUlS11_E_NS1_11comp_targetILNS1_3genE2ELNS1_11target_archE906ELNS1_3gpuE6ELNS1_3repE0EEENS1_30default_config_static_selectorELNS0_4arch9wavefront6targetE1EEEvT1_.num_vgpr, 0
	.set _ZN7rocprim17ROCPRIM_400000_NS6detail17trampoline_kernelINS0_14default_configENS1_25partition_config_selectorILNS1_17partition_subalgoE5ElNS0_10empty_typeEbEEZZNS1_14partition_implILS5_5ELb0ES3_mN6hipcub16HIPCUB_304000_NS21CountingInputIteratorIllEEPS6_NSA_22TransformInputIteratorIb7NonZeroIsEPslEENS0_5tupleIJPlS6_EEENSJ_IJSD_SD_EEES6_SK_JS6_EEE10hipError_tPvRmT3_T4_T5_T6_T7_T9_mT8_P12ihipStream_tbDpT10_ENKUlT_T0_E_clISt17integral_constantIbLb1EES15_IbLb0EEEEDaS11_S12_EUlS11_E_NS1_11comp_targetILNS1_3genE2ELNS1_11target_archE906ELNS1_3gpuE6ELNS1_3repE0EEENS1_30default_config_static_selectorELNS0_4arch9wavefront6targetE1EEEvT1_.num_agpr, 0
	.set _ZN7rocprim17ROCPRIM_400000_NS6detail17trampoline_kernelINS0_14default_configENS1_25partition_config_selectorILNS1_17partition_subalgoE5ElNS0_10empty_typeEbEEZZNS1_14partition_implILS5_5ELb0ES3_mN6hipcub16HIPCUB_304000_NS21CountingInputIteratorIllEEPS6_NSA_22TransformInputIteratorIb7NonZeroIsEPslEENS0_5tupleIJPlS6_EEENSJ_IJSD_SD_EEES6_SK_JS6_EEE10hipError_tPvRmT3_T4_T5_T6_T7_T9_mT8_P12ihipStream_tbDpT10_ENKUlT_T0_E_clISt17integral_constantIbLb1EES15_IbLb0EEEEDaS11_S12_EUlS11_E_NS1_11comp_targetILNS1_3genE2ELNS1_11target_archE906ELNS1_3gpuE6ELNS1_3repE0EEENS1_30default_config_static_selectorELNS0_4arch9wavefront6targetE1EEEvT1_.numbered_sgpr, 0
	.set _ZN7rocprim17ROCPRIM_400000_NS6detail17trampoline_kernelINS0_14default_configENS1_25partition_config_selectorILNS1_17partition_subalgoE5ElNS0_10empty_typeEbEEZZNS1_14partition_implILS5_5ELb0ES3_mN6hipcub16HIPCUB_304000_NS21CountingInputIteratorIllEEPS6_NSA_22TransformInputIteratorIb7NonZeroIsEPslEENS0_5tupleIJPlS6_EEENSJ_IJSD_SD_EEES6_SK_JS6_EEE10hipError_tPvRmT3_T4_T5_T6_T7_T9_mT8_P12ihipStream_tbDpT10_ENKUlT_T0_E_clISt17integral_constantIbLb1EES15_IbLb0EEEEDaS11_S12_EUlS11_E_NS1_11comp_targetILNS1_3genE2ELNS1_11target_archE906ELNS1_3gpuE6ELNS1_3repE0EEENS1_30default_config_static_selectorELNS0_4arch9wavefront6targetE1EEEvT1_.num_named_barrier, 0
	.set _ZN7rocprim17ROCPRIM_400000_NS6detail17trampoline_kernelINS0_14default_configENS1_25partition_config_selectorILNS1_17partition_subalgoE5ElNS0_10empty_typeEbEEZZNS1_14partition_implILS5_5ELb0ES3_mN6hipcub16HIPCUB_304000_NS21CountingInputIteratorIllEEPS6_NSA_22TransformInputIteratorIb7NonZeroIsEPslEENS0_5tupleIJPlS6_EEENSJ_IJSD_SD_EEES6_SK_JS6_EEE10hipError_tPvRmT3_T4_T5_T6_T7_T9_mT8_P12ihipStream_tbDpT10_ENKUlT_T0_E_clISt17integral_constantIbLb1EES15_IbLb0EEEEDaS11_S12_EUlS11_E_NS1_11comp_targetILNS1_3genE2ELNS1_11target_archE906ELNS1_3gpuE6ELNS1_3repE0EEENS1_30default_config_static_selectorELNS0_4arch9wavefront6targetE1EEEvT1_.private_seg_size, 0
	.set _ZN7rocprim17ROCPRIM_400000_NS6detail17trampoline_kernelINS0_14default_configENS1_25partition_config_selectorILNS1_17partition_subalgoE5ElNS0_10empty_typeEbEEZZNS1_14partition_implILS5_5ELb0ES3_mN6hipcub16HIPCUB_304000_NS21CountingInputIteratorIllEEPS6_NSA_22TransformInputIteratorIb7NonZeroIsEPslEENS0_5tupleIJPlS6_EEENSJ_IJSD_SD_EEES6_SK_JS6_EEE10hipError_tPvRmT3_T4_T5_T6_T7_T9_mT8_P12ihipStream_tbDpT10_ENKUlT_T0_E_clISt17integral_constantIbLb1EES15_IbLb0EEEEDaS11_S12_EUlS11_E_NS1_11comp_targetILNS1_3genE2ELNS1_11target_archE906ELNS1_3gpuE6ELNS1_3repE0EEENS1_30default_config_static_selectorELNS0_4arch9wavefront6targetE1EEEvT1_.uses_vcc, 0
	.set _ZN7rocprim17ROCPRIM_400000_NS6detail17trampoline_kernelINS0_14default_configENS1_25partition_config_selectorILNS1_17partition_subalgoE5ElNS0_10empty_typeEbEEZZNS1_14partition_implILS5_5ELb0ES3_mN6hipcub16HIPCUB_304000_NS21CountingInputIteratorIllEEPS6_NSA_22TransformInputIteratorIb7NonZeroIsEPslEENS0_5tupleIJPlS6_EEENSJ_IJSD_SD_EEES6_SK_JS6_EEE10hipError_tPvRmT3_T4_T5_T6_T7_T9_mT8_P12ihipStream_tbDpT10_ENKUlT_T0_E_clISt17integral_constantIbLb1EES15_IbLb0EEEEDaS11_S12_EUlS11_E_NS1_11comp_targetILNS1_3genE2ELNS1_11target_archE906ELNS1_3gpuE6ELNS1_3repE0EEENS1_30default_config_static_selectorELNS0_4arch9wavefront6targetE1EEEvT1_.uses_flat_scratch, 0
	.set _ZN7rocprim17ROCPRIM_400000_NS6detail17trampoline_kernelINS0_14default_configENS1_25partition_config_selectorILNS1_17partition_subalgoE5ElNS0_10empty_typeEbEEZZNS1_14partition_implILS5_5ELb0ES3_mN6hipcub16HIPCUB_304000_NS21CountingInputIteratorIllEEPS6_NSA_22TransformInputIteratorIb7NonZeroIsEPslEENS0_5tupleIJPlS6_EEENSJ_IJSD_SD_EEES6_SK_JS6_EEE10hipError_tPvRmT3_T4_T5_T6_T7_T9_mT8_P12ihipStream_tbDpT10_ENKUlT_T0_E_clISt17integral_constantIbLb1EES15_IbLb0EEEEDaS11_S12_EUlS11_E_NS1_11comp_targetILNS1_3genE2ELNS1_11target_archE906ELNS1_3gpuE6ELNS1_3repE0EEENS1_30default_config_static_selectorELNS0_4arch9wavefront6targetE1EEEvT1_.has_dyn_sized_stack, 0
	.set _ZN7rocprim17ROCPRIM_400000_NS6detail17trampoline_kernelINS0_14default_configENS1_25partition_config_selectorILNS1_17partition_subalgoE5ElNS0_10empty_typeEbEEZZNS1_14partition_implILS5_5ELb0ES3_mN6hipcub16HIPCUB_304000_NS21CountingInputIteratorIllEEPS6_NSA_22TransformInputIteratorIb7NonZeroIsEPslEENS0_5tupleIJPlS6_EEENSJ_IJSD_SD_EEES6_SK_JS6_EEE10hipError_tPvRmT3_T4_T5_T6_T7_T9_mT8_P12ihipStream_tbDpT10_ENKUlT_T0_E_clISt17integral_constantIbLb1EES15_IbLb0EEEEDaS11_S12_EUlS11_E_NS1_11comp_targetILNS1_3genE2ELNS1_11target_archE906ELNS1_3gpuE6ELNS1_3repE0EEENS1_30default_config_static_selectorELNS0_4arch9wavefront6targetE1EEEvT1_.has_recursion, 0
	.set _ZN7rocprim17ROCPRIM_400000_NS6detail17trampoline_kernelINS0_14default_configENS1_25partition_config_selectorILNS1_17partition_subalgoE5ElNS0_10empty_typeEbEEZZNS1_14partition_implILS5_5ELb0ES3_mN6hipcub16HIPCUB_304000_NS21CountingInputIteratorIllEEPS6_NSA_22TransformInputIteratorIb7NonZeroIsEPslEENS0_5tupleIJPlS6_EEENSJ_IJSD_SD_EEES6_SK_JS6_EEE10hipError_tPvRmT3_T4_T5_T6_T7_T9_mT8_P12ihipStream_tbDpT10_ENKUlT_T0_E_clISt17integral_constantIbLb1EES15_IbLb0EEEEDaS11_S12_EUlS11_E_NS1_11comp_targetILNS1_3genE2ELNS1_11target_archE906ELNS1_3gpuE6ELNS1_3repE0EEENS1_30default_config_static_selectorELNS0_4arch9wavefront6targetE1EEEvT1_.has_indirect_call, 0
	.section	.AMDGPU.csdata,"",@progbits
; Kernel info:
; codeLenInByte = 4
; TotalNumSgprs: 4
; NumVgprs: 0
; ScratchSize: 0
; MemoryBound: 0
; FloatMode: 240
; IeeeMode: 1
; LDSByteSize: 0 bytes/workgroup (compile time only)
; SGPRBlocks: 0
; VGPRBlocks: 0
; NumSGPRsForWavesPerEU: 4
; NumVGPRsForWavesPerEU: 1
; Occupancy: 10
; WaveLimiterHint : 0
; COMPUTE_PGM_RSRC2:SCRATCH_EN: 0
; COMPUTE_PGM_RSRC2:USER_SGPR: 6
; COMPUTE_PGM_RSRC2:TRAP_HANDLER: 0
; COMPUTE_PGM_RSRC2:TGID_X_EN: 1
; COMPUTE_PGM_RSRC2:TGID_Y_EN: 0
; COMPUTE_PGM_RSRC2:TGID_Z_EN: 0
; COMPUTE_PGM_RSRC2:TIDIG_COMP_CNT: 0
	.section	.text._ZN7rocprim17ROCPRIM_400000_NS6detail17trampoline_kernelINS0_14default_configENS1_25partition_config_selectorILNS1_17partition_subalgoE5ElNS0_10empty_typeEbEEZZNS1_14partition_implILS5_5ELb0ES3_mN6hipcub16HIPCUB_304000_NS21CountingInputIteratorIllEEPS6_NSA_22TransformInputIteratorIb7NonZeroIsEPslEENS0_5tupleIJPlS6_EEENSJ_IJSD_SD_EEES6_SK_JS6_EEE10hipError_tPvRmT3_T4_T5_T6_T7_T9_mT8_P12ihipStream_tbDpT10_ENKUlT_T0_E_clISt17integral_constantIbLb1EES15_IbLb0EEEEDaS11_S12_EUlS11_E_NS1_11comp_targetILNS1_3genE10ELNS1_11target_archE1200ELNS1_3gpuE4ELNS1_3repE0EEENS1_30default_config_static_selectorELNS0_4arch9wavefront6targetE1EEEvT1_,"axG",@progbits,_ZN7rocprim17ROCPRIM_400000_NS6detail17trampoline_kernelINS0_14default_configENS1_25partition_config_selectorILNS1_17partition_subalgoE5ElNS0_10empty_typeEbEEZZNS1_14partition_implILS5_5ELb0ES3_mN6hipcub16HIPCUB_304000_NS21CountingInputIteratorIllEEPS6_NSA_22TransformInputIteratorIb7NonZeroIsEPslEENS0_5tupleIJPlS6_EEENSJ_IJSD_SD_EEES6_SK_JS6_EEE10hipError_tPvRmT3_T4_T5_T6_T7_T9_mT8_P12ihipStream_tbDpT10_ENKUlT_T0_E_clISt17integral_constantIbLb1EES15_IbLb0EEEEDaS11_S12_EUlS11_E_NS1_11comp_targetILNS1_3genE10ELNS1_11target_archE1200ELNS1_3gpuE4ELNS1_3repE0EEENS1_30default_config_static_selectorELNS0_4arch9wavefront6targetE1EEEvT1_,comdat
	.protected	_ZN7rocprim17ROCPRIM_400000_NS6detail17trampoline_kernelINS0_14default_configENS1_25partition_config_selectorILNS1_17partition_subalgoE5ElNS0_10empty_typeEbEEZZNS1_14partition_implILS5_5ELb0ES3_mN6hipcub16HIPCUB_304000_NS21CountingInputIteratorIllEEPS6_NSA_22TransformInputIteratorIb7NonZeroIsEPslEENS0_5tupleIJPlS6_EEENSJ_IJSD_SD_EEES6_SK_JS6_EEE10hipError_tPvRmT3_T4_T5_T6_T7_T9_mT8_P12ihipStream_tbDpT10_ENKUlT_T0_E_clISt17integral_constantIbLb1EES15_IbLb0EEEEDaS11_S12_EUlS11_E_NS1_11comp_targetILNS1_3genE10ELNS1_11target_archE1200ELNS1_3gpuE4ELNS1_3repE0EEENS1_30default_config_static_selectorELNS0_4arch9wavefront6targetE1EEEvT1_ ; -- Begin function _ZN7rocprim17ROCPRIM_400000_NS6detail17trampoline_kernelINS0_14default_configENS1_25partition_config_selectorILNS1_17partition_subalgoE5ElNS0_10empty_typeEbEEZZNS1_14partition_implILS5_5ELb0ES3_mN6hipcub16HIPCUB_304000_NS21CountingInputIteratorIllEEPS6_NSA_22TransformInputIteratorIb7NonZeroIsEPslEENS0_5tupleIJPlS6_EEENSJ_IJSD_SD_EEES6_SK_JS6_EEE10hipError_tPvRmT3_T4_T5_T6_T7_T9_mT8_P12ihipStream_tbDpT10_ENKUlT_T0_E_clISt17integral_constantIbLb1EES15_IbLb0EEEEDaS11_S12_EUlS11_E_NS1_11comp_targetILNS1_3genE10ELNS1_11target_archE1200ELNS1_3gpuE4ELNS1_3repE0EEENS1_30default_config_static_selectorELNS0_4arch9wavefront6targetE1EEEvT1_
	.globl	_ZN7rocprim17ROCPRIM_400000_NS6detail17trampoline_kernelINS0_14default_configENS1_25partition_config_selectorILNS1_17partition_subalgoE5ElNS0_10empty_typeEbEEZZNS1_14partition_implILS5_5ELb0ES3_mN6hipcub16HIPCUB_304000_NS21CountingInputIteratorIllEEPS6_NSA_22TransformInputIteratorIb7NonZeroIsEPslEENS0_5tupleIJPlS6_EEENSJ_IJSD_SD_EEES6_SK_JS6_EEE10hipError_tPvRmT3_T4_T5_T6_T7_T9_mT8_P12ihipStream_tbDpT10_ENKUlT_T0_E_clISt17integral_constantIbLb1EES15_IbLb0EEEEDaS11_S12_EUlS11_E_NS1_11comp_targetILNS1_3genE10ELNS1_11target_archE1200ELNS1_3gpuE4ELNS1_3repE0EEENS1_30default_config_static_selectorELNS0_4arch9wavefront6targetE1EEEvT1_
	.p2align	8
	.type	_ZN7rocprim17ROCPRIM_400000_NS6detail17trampoline_kernelINS0_14default_configENS1_25partition_config_selectorILNS1_17partition_subalgoE5ElNS0_10empty_typeEbEEZZNS1_14partition_implILS5_5ELb0ES3_mN6hipcub16HIPCUB_304000_NS21CountingInputIteratorIllEEPS6_NSA_22TransformInputIteratorIb7NonZeroIsEPslEENS0_5tupleIJPlS6_EEENSJ_IJSD_SD_EEES6_SK_JS6_EEE10hipError_tPvRmT3_T4_T5_T6_T7_T9_mT8_P12ihipStream_tbDpT10_ENKUlT_T0_E_clISt17integral_constantIbLb1EES15_IbLb0EEEEDaS11_S12_EUlS11_E_NS1_11comp_targetILNS1_3genE10ELNS1_11target_archE1200ELNS1_3gpuE4ELNS1_3repE0EEENS1_30default_config_static_selectorELNS0_4arch9wavefront6targetE1EEEvT1_,@function
_ZN7rocprim17ROCPRIM_400000_NS6detail17trampoline_kernelINS0_14default_configENS1_25partition_config_selectorILNS1_17partition_subalgoE5ElNS0_10empty_typeEbEEZZNS1_14partition_implILS5_5ELb0ES3_mN6hipcub16HIPCUB_304000_NS21CountingInputIteratorIllEEPS6_NSA_22TransformInputIteratorIb7NonZeroIsEPslEENS0_5tupleIJPlS6_EEENSJ_IJSD_SD_EEES6_SK_JS6_EEE10hipError_tPvRmT3_T4_T5_T6_T7_T9_mT8_P12ihipStream_tbDpT10_ENKUlT_T0_E_clISt17integral_constantIbLb1EES15_IbLb0EEEEDaS11_S12_EUlS11_E_NS1_11comp_targetILNS1_3genE10ELNS1_11target_archE1200ELNS1_3gpuE4ELNS1_3repE0EEENS1_30default_config_static_selectorELNS0_4arch9wavefront6targetE1EEEvT1_: ; @_ZN7rocprim17ROCPRIM_400000_NS6detail17trampoline_kernelINS0_14default_configENS1_25partition_config_selectorILNS1_17partition_subalgoE5ElNS0_10empty_typeEbEEZZNS1_14partition_implILS5_5ELb0ES3_mN6hipcub16HIPCUB_304000_NS21CountingInputIteratorIllEEPS6_NSA_22TransformInputIteratorIb7NonZeroIsEPslEENS0_5tupleIJPlS6_EEENSJ_IJSD_SD_EEES6_SK_JS6_EEE10hipError_tPvRmT3_T4_T5_T6_T7_T9_mT8_P12ihipStream_tbDpT10_ENKUlT_T0_E_clISt17integral_constantIbLb1EES15_IbLb0EEEEDaS11_S12_EUlS11_E_NS1_11comp_targetILNS1_3genE10ELNS1_11target_archE1200ELNS1_3gpuE4ELNS1_3repE0EEENS1_30default_config_static_selectorELNS0_4arch9wavefront6targetE1EEEvT1_
; %bb.0:
	.section	.rodata,"a",@progbits
	.p2align	6, 0x0
	.amdhsa_kernel _ZN7rocprim17ROCPRIM_400000_NS6detail17trampoline_kernelINS0_14default_configENS1_25partition_config_selectorILNS1_17partition_subalgoE5ElNS0_10empty_typeEbEEZZNS1_14partition_implILS5_5ELb0ES3_mN6hipcub16HIPCUB_304000_NS21CountingInputIteratorIllEEPS6_NSA_22TransformInputIteratorIb7NonZeroIsEPslEENS0_5tupleIJPlS6_EEENSJ_IJSD_SD_EEES6_SK_JS6_EEE10hipError_tPvRmT3_T4_T5_T6_T7_T9_mT8_P12ihipStream_tbDpT10_ENKUlT_T0_E_clISt17integral_constantIbLb1EES15_IbLb0EEEEDaS11_S12_EUlS11_E_NS1_11comp_targetILNS1_3genE10ELNS1_11target_archE1200ELNS1_3gpuE4ELNS1_3repE0EEENS1_30default_config_static_selectorELNS0_4arch9wavefront6targetE1EEEvT1_
		.amdhsa_group_segment_fixed_size 0
		.amdhsa_private_segment_fixed_size 0
		.amdhsa_kernarg_size 120
		.amdhsa_user_sgpr_count 6
		.amdhsa_user_sgpr_private_segment_buffer 1
		.amdhsa_user_sgpr_dispatch_ptr 0
		.amdhsa_user_sgpr_queue_ptr 0
		.amdhsa_user_sgpr_kernarg_segment_ptr 1
		.amdhsa_user_sgpr_dispatch_id 0
		.amdhsa_user_sgpr_flat_scratch_init 0
		.amdhsa_user_sgpr_private_segment_size 0
		.amdhsa_uses_dynamic_stack 0
		.amdhsa_system_sgpr_private_segment_wavefront_offset 0
		.amdhsa_system_sgpr_workgroup_id_x 1
		.amdhsa_system_sgpr_workgroup_id_y 0
		.amdhsa_system_sgpr_workgroup_id_z 0
		.amdhsa_system_sgpr_workgroup_info 0
		.amdhsa_system_vgpr_workitem_id 0
		.amdhsa_next_free_vgpr 1
		.amdhsa_next_free_sgpr 0
		.amdhsa_reserve_vcc 0
		.amdhsa_reserve_flat_scratch 0
		.amdhsa_float_round_mode_32 0
		.amdhsa_float_round_mode_16_64 0
		.amdhsa_float_denorm_mode_32 3
		.amdhsa_float_denorm_mode_16_64 3
		.amdhsa_dx10_clamp 1
		.amdhsa_ieee_mode 1
		.amdhsa_fp16_overflow 0
		.amdhsa_exception_fp_ieee_invalid_op 0
		.amdhsa_exception_fp_denorm_src 0
		.amdhsa_exception_fp_ieee_div_zero 0
		.amdhsa_exception_fp_ieee_overflow 0
		.amdhsa_exception_fp_ieee_underflow 0
		.amdhsa_exception_fp_ieee_inexact 0
		.amdhsa_exception_int_div_zero 0
	.end_amdhsa_kernel
	.section	.text._ZN7rocprim17ROCPRIM_400000_NS6detail17trampoline_kernelINS0_14default_configENS1_25partition_config_selectorILNS1_17partition_subalgoE5ElNS0_10empty_typeEbEEZZNS1_14partition_implILS5_5ELb0ES3_mN6hipcub16HIPCUB_304000_NS21CountingInputIteratorIllEEPS6_NSA_22TransformInputIteratorIb7NonZeroIsEPslEENS0_5tupleIJPlS6_EEENSJ_IJSD_SD_EEES6_SK_JS6_EEE10hipError_tPvRmT3_T4_T5_T6_T7_T9_mT8_P12ihipStream_tbDpT10_ENKUlT_T0_E_clISt17integral_constantIbLb1EES15_IbLb0EEEEDaS11_S12_EUlS11_E_NS1_11comp_targetILNS1_3genE10ELNS1_11target_archE1200ELNS1_3gpuE4ELNS1_3repE0EEENS1_30default_config_static_selectorELNS0_4arch9wavefront6targetE1EEEvT1_,"axG",@progbits,_ZN7rocprim17ROCPRIM_400000_NS6detail17trampoline_kernelINS0_14default_configENS1_25partition_config_selectorILNS1_17partition_subalgoE5ElNS0_10empty_typeEbEEZZNS1_14partition_implILS5_5ELb0ES3_mN6hipcub16HIPCUB_304000_NS21CountingInputIteratorIllEEPS6_NSA_22TransformInputIteratorIb7NonZeroIsEPslEENS0_5tupleIJPlS6_EEENSJ_IJSD_SD_EEES6_SK_JS6_EEE10hipError_tPvRmT3_T4_T5_T6_T7_T9_mT8_P12ihipStream_tbDpT10_ENKUlT_T0_E_clISt17integral_constantIbLb1EES15_IbLb0EEEEDaS11_S12_EUlS11_E_NS1_11comp_targetILNS1_3genE10ELNS1_11target_archE1200ELNS1_3gpuE4ELNS1_3repE0EEENS1_30default_config_static_selectorELNS0_4arch9wavefront6targetE1EEEvT1_,comdat
.Lfunc_end138:
	.size	_ZN7rocprim17ROCPRIM_400000_NS6detail17trampoline_kernelINS0_14default_configENS1_25partition_config_selectorILNS1_17partition_subalgoE5ElNS0_10empty_typeEbEEZZNS1_14partition_implILS5_5ELb0ES3_mN6hipcub16HIPCUB_304000_NS21CountingInputIteratorIllEEPS6_NSA_22TransformInputIteratorIb7NonZeroIsEPslEENS0_5tupleIJPlS6_EEENSJ_IJSD_SD_EEES6_SK_JS6_EEE10hipError_tPvRmT3_T4_T5_T6_T7_T9_mT8_P12ihipStream_tbDpT10_ENKUlT_T0_E_clISt17integral_constantIbLb1EES15_IbLb0EEEEDaS11_S12_EUlS11_E_NS1_11comp_targetILNS1_3genE10ELNS1_11target_archE1200ELNS1_3gpuE4ELNS1_3repE0EEENS1_30default_config_static_selectorELNS0_4arch9wavefront6targetE1EEEvT1_, .Lfunc_end138-_ZN7rocprim17ROCPRIM_400000_NS6detail17trampoline_kernelINS0_14default_configENS1_25partition_config_selectorILNS1_17partition_subalgoE5ElNS0_10empty_typeEbEEZZNS1_14partition_implILS5_5ELb0ES3_mN6hipcub16HIPCUB_304000_NS21CountingInputIteratorIllEEPS6_NSA_22TransformInputIteratorIb7NonZeroIsEPslEENS0_5tupleIJPlS6_EEENSJ_IJSD_SD_EEES6_SK_JS6_EEE10hipError_tPvRmT3_T4_T5_T6_T7_T9_mT8_P12ihipStream_tbDpT10_ENKUlT_T0_E_clISt17integral_constantIbLb1EES15_IbLb0EEEEDaS11_S12_EUlS11_E_NS1_11comp_targetILNS1_3genE10ELNS1_11target_archE1200ELNS1_3gpuE4ELNS1_3repE0EEENS1_30default_config_static_selectorELNS0_4arch9wavefront6targetE1EEEvT1_
                                        ; -- End function
	.set _ZN7rocprim17ROCPRIM_400000_NS6detail17trampoline_kernelINS0_14default_configENS1_25partition_config_selectorILNS1_17partition_subalgoE5ElNS0_10empty_typeEbEEZZNS1_14partition_implILS5_5ELb0ES3_mN6hipcub16HIPCUB_304000_NS21CountingInputIteratorIllEEPS6_NSA_22TransformInputIteratorIb7NonZeroIsEPslEENS0_5tupleIJPlS6_EEENSJ_IJSD_SD_EEES6_SK_JS6_EEE10hipError_tPvRmT3_T4_T5_T6_T7_T9_mT8_P12ihipStream_tbDpT10_ENKUlT_T0_E_clISt17integral_constantIbLb1EES15_IbLb0EEEEDaS11_S12_EUlS11_E_NS1_11comp_targetILNS1_3genE10ELNS1_11target_archE1200ELNS1_3gpuE4ELNS1_3repE0EEENS1_30default_config_static_selectorELNS0_4arch9wavefront6targetE1EEEvT1_.num_vgpr, 0
	.set _ZN7rocprim17ROCPRIM_400000_NS6detail17trampoline_kernelINS0_14default_configENS1_25partition_config_selectorILNS1_17partition_subalgoE5ElNS0_10empty_typeEbEEZZNS1_14partition_implILS5_5ELb0ES3_mN6hipcub16HIPCUB_304000_NS21CountingInputIteratorIllEEPS6_NSA_22TransformInputIteratorIb7NonZeroIsEPslEENS0_5tupleIJPlS6_EEENSJ_IJSD_SD_EEES6_SK_JS6_EEE10hipError_tPvRmT3_T4_T5_T6_T7_T9_mT8_P12ihipStream_tbDpT10_ENKUlT_T0_E_clISt17integral_constantIbLb1EES15_IbLb0EEEEDaS11_S12_EUlS11_E_NS1_11comp_targetILNS1_3genE10ELNS1_11target_archE1200ELNS1_3gpuE4ELNS1_3repE0EEENS1_30default_config_static_selectorELNS0_4arch9wavefront6targetE1EEEvT1_.num_agpr, 0
	.set _ZN7rocprim17ROCPRIM_400000_NS6detail17trampoline_kernelINS0_14default_configENS1_25partition_config_selectorILNS1_17partition_subalgoE5ElNS0_10empty_typeEbEEZZNS1_14partition_implILS5_5ELb0ES3_mN6hipcub16HIPCUB_304000_NS21CountingInputIteratorIllEEPS6_NSA_22TransformInputIteratorIb7NonZeroIsEPslEENS0_5tupleIJPlS6_EEENSJ_IJSD_SD_EEES6_SK_JS6_EEE10hipError_tPvRmT3_T4_T5_T6_T7_T9_mT8_P12ihipStream_tbDpT10_ENKUlT_T0_E_clISt17integral_constantIbLb1EES15_IbLb0EEEEDaS11_S12_EUlS11_E_NS1_11comp_targetILNS1_3genE10ELNS1_11target_archE1200ELNS1_3gpuE4ELNS1_3repE0EEENS1_30default_config_static_selectorELNS0_4arch9wavefront6targetE1EEEvT1_.numbered_sgpr, 0
	.set _ZN7rocprim17ROCPRIM_400000_NS6detail17trampoline_kernelINS0_14default_configENS1_25partition_config_selectorILNS1_17partition_subalgoE5ElNS0_10empty_typeEbEEZZNS1_14partition_implILS5_5ELb0ES3_mN6hipcub16HIPCUB_304000_NS21CountingInputIteratorIllEEPS6_NSA_22TransformInputIteratorIb7NonZeroIsEPslEENS0_5tupleIJPlS6_EEENSJ_IJSD_SD_EEES6_SK_JS6_EEE10hipError_tPvRmT3_T4_T5_T6_T7_T9_mT8_P12ihipStream_tbDpT10_ENKUlT_T0_E_clISt17integral_constantIbLb1EES15_IbLb0EEEEDaS11_S12_EUlS11_E_NS1_11comp_targetILNS1_3genE10ELNS1_11target_archE1200ELNS1_3gpuE4ELNS1_3repE0EEENS1_30default_config_static_selectorELNS0_4arch9wavefront6targetE1EEEvT1_.num_named_barrier, 0
	.set _ZN7rocprim17ROCPRIM_400000_NS6detail17trampoline_kernelINS0_14default_configENS1_25partition_config_selectorILNS1_17partition_subalgoE5ElNS0_10empty_typeEbEEZZNS1_14partition_implILS5_5ELb0ES3_mN6hipcub16HIPCUB_304000_NS21CountingInputIteratorIllEEPS6_NSA_22TransformInputIteratorIb7NonZeroIsEPslEENS0_5tupleIJPlS6_EEENSJ_IJSD_SD_EEES6_SK_JS6_EEE10hipError_tPvRmT3_T4_T5_T6_T7_T9_mT8_P12ihipStream_tbDpT10_ENKUlT_T0_E_clISt17integral_constantIbLb1EES15_IbLb0EEEEDaS11_S12_EUlS11_E_NS1_11comp_targetILNS1_3genE10ELNS1_11target_archE1200ELNS1_3gpuE4ELNS1_3repE0EEENS1_30default_config_static_selectorELNS0_4arch9wavefront6targetE1EEEvT1_.private_seg_size, 0
	.set _ZN7rocprim17ROCPRIM_400000_NS6detail17trampoline_kernelINS0_14default_configENS1_25partition_config_selectorILNS1_17partition_subalgoE5ElNS0_10empty_typeEbEEZZNS1_14partition_implILS5_5ELb0ES3_mN6hipcub16HIPCUB_304000_NS21CountingInputIteratorIllEEPS6_NSA_22TransformInputIteratorIb7NonZeroIsEPslEENS0_5tupleIJPlS6_EEENSJ_IJSD_SD_EEES6_SK_JS6_EEE10hipError_tPvRmT3_T4_T5_T6_T7_T9_mT8_P12ihipStream_tbDpT10_ENKUlT_T0_E_clISt17integral_constantIbLb1EES15_IbLb0EEEEDaS11_S12_EUlS11_E_NS1_11comp_targetILNS1_3genE10ELNS1_11target_archE1200ELNS1_3gpuE4ELNS1_3repE0EEENS1_30default_config_static_selectorELNS0_4arch9wavefront6targetE1EEEvT1_.uses_vcc, 0
	.set _ZN7rocprim17ROCPRIM_400000_NS6detail17trampoline_kernelINS0_14default_configENS1_25partition_config_selectorILNS1_17partition_subalgoE5ElNS0_10empty_typeEbEEZZNS1_14partition_implILS5_5ELb0ES3_mN6hipcub16HIPCUB_304000_NS21CountingInputIteratorIllEEPS6_NSA_22TransformInputIteratorIb7NonZeroIsEPslEENS0_5tupleIJPlS6_EEENSJ_IJSD_SD_EEES6_SK_JS6_EEE10hipError_tPvRmT3_T4_T5_T6_T7_T9_mT8_P12ihipStream_tbDpT10_ENKUlT_T0_E_clISt17integral_constantIbLb1EES15_IbLb0EEEEDaS11_S12_EUlS11_E_NS1_11comp_targetILNS1_3genE10ELNS1_11target_archE1200ELNS1_3gpuE4ELNS1_3repE0EEENS1_30default_config_static_selectorELNS0_4arch9wavefront6targetE1EEEvT1_.uses_flat_scratch, 0
	.set _ZN7rocprim17ROCPRIM_400000_NS6detail17trampoline_kernelINS0_14default_configENS1_25partition_config_selectorILNS1_17partition_subalgoE5ElNS0_10empty_typeEbEEZZNS1_14partition_implILS5_5ELb0ES3_mN6hipcub16HIPCUB_304000_NS21CountingInputIteratorIllEEPS6_NSA_22TransformInputIteratorIb7NonZeroIsEPslEENS0_5tupleIJPlS6_EEENSJ_IJSD_SD_EEES6_SK_JS6_EEE10hipError_tPvRmT3_T4_T5_T6_T7_T9_mT8_P12ihipStream_tbDpT10_ENKUlT_T0_E_clISt17integral_constantIbLb1EES15_IbLb0EEEEDaS11_S12_EUlS11_E_NS1_11comp_targetILNS1_3genE10ELNS1_11target_archE1200ELNS1_3gpuE4ELNS1_3repE0EEENS1_30default_config_static_selectorELNS0_4arch9wavefront6targetE1EEEvT1_.has_dyn_sized_stack, 0
	.set _ZN7rocprim17ROCPRIM_400000_NS6detail17trampoline_kernelINS0_14default_configENS1_25partition_config_selectorILNS1_17partition_subalgoE5ElNS0_10empty_typeEbEEZZNS1_14partition_implILS5_5ELb0ES3_mN6hipcub16HIPCUB_304000_NS21CountingInputIteratorIllEEPS6_NSA_22TransformInputIteratorIb7NonZeroIsEPslEENS0_5tupleIJPlS6_EEENSJ_IJSD_SD_EEES6_SK_JS6_EEE10hipError_tPvRmT3_T4_T5_T6_T7_T9_mT8_P12ihipStream_tbDpT10_ENKUlT_T0_E_clISt17integral_constantIbLb1EES15_IbLb0EEEEDaS11_S12_EUlS11_E_NS1_11comp_targetILNS1_3genE10ELNS1_11target_archE1200ELNS1_3gpuE4ELNS1_3repE0EEENS1_30default_config_static_selectorELNS0_4arch9wavefront6targetE1EEEvT1_.has_recursion, 0
	.set _ZN7rocprim17ROCPRIM_400000_NS6detail17trampoline_kernelINS0_14default_configENS1_25partition_config_selectorILNS1_17partition_subalgoE5ElNS0_10empty_typeEbEEZZNS1_14partition_implILS5_5ELb0ES3_mN6hipcub16HIPCUB_304000_NS21CountingInputIteratorIllEEPS6_NSA_22TransformInputIteratorIb7NonZeroIsEPslEENS0_5tupleIJPlS6_EEENSJ_IJSD_SD_EEES6_SK_JS6_EEE10hipError_tPvRmT3_T4_T5_T6_T7_T9_mT8_P12ihipStream_tbDpT10_ENKUlT_T0_E_clISt17integral_constantIbLb1EES15_IbLb0EEEEDaS11_S12_EUlS11_E_NS1_11comp_targetILNS1_3genE10ELNS1_11target_archE1200ELNS1_3gpuE4ELNS1_3repE0EEENS1_30default_config_static_selectorELNS0_4arch9wavefront6targetE1EEEvT1_.has_indirect_call, 0
	.section	.AMDGPU.csdata,"",@progbits
; Kernel info:
; codeLenInByte = 0
; TotalNumSgprs: 4
; NumVgprs: 0
; ScratchSize: 0
; MemoryBound: 0
; FloatMode: 240
; IeeeMode: 1
; LDSByteSize: 0 bytes/workgroup (compile time only)
; SGPRBlocks: 0
; VGPRBlocks: 0
; NumSGPRsForWavesPerEU: 4
; NumVGPRsForWavesPerEU: 1
; Occupancy: 10
; WaveLimiterHint : 0
; COMPUTE_PGM_RSRC2:SCRATCH_EN: 0
; COMPUTE_PGM_RSRC2:USER_SGPR: 6
; COMPUTE_PGM_RSRC2:TRAP_HANDLER: 0
; COMPUTE_PGM_RSRC2:TGID_X_EN: 1
; COMPUTE_PGM_RSRC2:TGID_Y_EN: 0
; COMPUTE_PGM_RSRC2:TGID_Z_EN: 0
; COMPUTE_PGM_RSRC2:TIDIG_COMP_CNT: 0
	.section	.text._ZN7rocprim17ROCPRIM_400000_NS6detail17trampoline_kernelINS0_14default_configENS1_25partition_config_selectorILNS1_17partition_subalgoE5ElNS0_10empty_typeEbEEZZNS1_14partition_implILS5_5ELb0ES3_mN6hipcub16HIPCUB_304000_NS21CountingInputIteratorIllEEPS6_NSA_22TransformInputIteratorIb7NonZeroIsEPslEENS0_5tupleIJPlS6_EEENSJ_IJSD_SD_EEES6_SK_JS6_EEE10hipError_tPvRmT3_T4_T5_T6_T7_T9_mT8_P12ihipStream_tbDpT10_ENKUlT_T0_E_clISt17integral_constantIbLb1EES15_IbLb0EEEEDaS11_S12_EUlS11_E_NS1_11comp_targetILNS1_3genE9ELNS1_11target_archE1100ELNS1_3gpuE3ELNS1_3repE0EEENS1_30default_config_static_selectorELNS0_4arch9wavefront6targetE1EEEvT1_,"axG",@progbits,_ZN7rocprim17ROCPRIM_400000_NS6detail17trampoline_kernelINS0_14default_configENS1_25partition_config_selectorILNS1_17partition_subalgoE5ElNS0_10empty_typeEbEEZZNS1_14partition_implILS5_5ELb0ES3_mN6hipcub16HIPCUB_304000_NS21CountingInputIteratorIllEEPS6_NSA_22TransformInputIteratorIb7NonZeroIsEPslEENS0_5tupleIJPlS6_EEENSJ_IJSD_SD_EEES6_SK_JS6_EEE10hipError_tPvRmT3_T4_T5_T6_T7_T9_mT8_P12ihipStream_tbDpT10_ENKUlT_T0_E_clISt17integral_constantIbLb1EES15_IbLb0EEEEDaS11_S12_EUlS11_E_NS1_11comp_targetILNS1_3genE9ELNS1_11target_archE1100ELNS1_3gpuE3ELNS1_3repE0EEENS1_30default_config_static_selectorELNS0_4arch9wavefront6targetE1EEEvT1_,comdat
	.protected	_ZN7rocprim17ROCPRIM_400000_NS6detail17trampoline_kernelINS0_14default_configENS1_25partition_config_selectorILNS1_17partition_subalgoE5ElNS0_10empty_typeEbEEZZNS1_14partition_implILS5_5ELb0ES3_mN6hipcub16HIPCUB_304000_NS21CountingInputIteratorIllEEPS6_NSA_22TransformInputIteratorIb7NonZeroIsEPslEENS0_5tupleIJPlS6_EEENSJ_IJSD_SD_EEES6_SK_JS6_EEE10hipError_tPvRmT3_T4_T5_T6_T7_T9_mT8_P12ihipStream_tbDpT10_ENKUlT_T0_E_clISt17integral_constantIbLb1EES15_IbLb0EEEEDaS11_S12_EUlS11_E_NS1_11comp_targetILNS1_3genE9ELNS1_11target_archE1100ELNS1_3gpuE3ELNS1_3repE0EEENS1_30default_config_static_selectorELNS0_4arch9wavefront6targetE1EEEvT1_ ; -- Begin function _ZN7rocprim17ROCPRIM_400000_NS6detail17trampoline_kernelINS0_14default_configENS1_25partition_config_selectorILNS1_17partition_subalgoE5ElNS0_10empty_typeEbEEZZNS1_14partition_implILS5_5ELb0ES3_mN6hipcub16HIPCUB_304000_NS21CountingInputIteratorIllEEPS6_NSA_22TransformInputIteratorIb7NonZeroIsEPslEENS0_5tupleIJPlS6_EEENSJ_IJSD_SD_EEES6_SK_JS6_EEE10hipError_tPvRmT3_T4_T5_T6_T7_T9_mT8_P12ihipStream_tbDpT10_ENKUlT_T0_E_clISt17integral_constantIbLb1EES15_IbLb0EEEEDaS11_S12_EUlS11_E_NS1_11comp_targetILNS1_3genE9ELNS1_11target_archE1100ELNS1_3gpuE3ELNS1_3repE0EEENS1_30default_config_static_selectorELNS0_4arch9wavefront6targetE1EEEvT1_
	.globl	_ZN7rocprim17ROCPRIM_400000_NS6detail17trampoline_kernelINS0_14default_configENS1_25partition_config_selectorILNS1_17partition_subalgoE5ElNS0_10empty_typeEbEEZZNS1_14partition_implILS5_5ELb0ES3_mN6hipcub16HIPCUB_304000_NS21CountingInputIteratorIllEEPS6_NSA_22TransformInputIteratorIb7NonZeroIsEPslEENS0_5tupleIJPlS6_EEENSJ_IJSD_SD_EEES6_SK_JS6_EEE10hipError_tPvRmT3_T4_T5_T6_T7_T9_mT8_P12ihipStream_tbDpT10_ENKUlT_T0_E_clISt17integral_constantIbLb1EES15_IbLb0EEEEDaS11_S12_EUlS11_E_NS1_11comp_targetILNS1_3genE9ELNS1_11target_archE1100ELNS1_3gpuE3ELNS1_3repE0EEENS1_30default_config_static_selectorELNS0_4arch9wavefront6targetE1EEEvT1_
	.p2align	8
	.type	_ZN7rocprim17ROCPRIM_400000_NS6detail17trampoline_kernelINS0_14default_configENS1_25partition_config_selectorILNS1_17partition_subalgoE5ElNS0_10empty_typeEbEEZZNS1_14partition_implILS5_5ELb0ES3_mN6hipcub16HIPCUB_304000_NS21CountingInputIteratorIllEEPS6_NSA_22TransformInputIteratorIb7NonZeroIsEPslEENS0_5tupleIJPlS6_EEENSJ_IJSD_SD_EEES6_SK_JS6_EEE10hipError_tPvRmT3_T4_T5_T6_T7_T9_mT8_P12ihipStream_tbDpT10_ENKUlT_T0_E_clISt17integral_constantIbLb1EES15_IbLb0EEEEDaS11_S12_EUlS11_E_NS1_11comp_targetILNS1_3genE9ELNS1_11target_archE1100ELNS1_3gpuE3ELNS1_3repE0EEENS1_30default_config_static_selectorELNS0_4arch9wavefront6targetE1EEEvT1_,@function
_ZN7rocprim17ROCPRIM_400000_NS6detail17trampoline_kernelINS0_14default_configENS1_25partition_config_selectorILNS1_17partition_subalgoE5ElNS0_10empty_typeEbEEZZNS1_14partition_implILS5_5ELb0ES3_mN6hipcub16HIPCUB_304000_NS21CountingInputIteratorIllEEPS6_NSA_22TransformInputIteratorIb7NonZeroIsEPslEENS0_5tupleIJPlS6_EEENSJ_IJSD_SD_EEES6_SK_JS6_EEE10hipError_tPvRmT3_T4_T5_T6_T7_T9_mT8_P12ihipStream_tbDpT10_ENKUlT_T0_E_clISt17integral_constantIbLb1EES15_IbLb0EEEEDaS11_S12_EUlS11_E_NS1_11comp_targetILNS1_3genE9ELNS1_11target_archE1100ELNS1_3gpuE3ELNS1_3repE0EEENS1_30default_config_static_selectorELNS0_4arch9wavefront6targetE1EEEvT1_: ; @_ZN7rocprim17ROCPRIM_400000_NS6detail17trampoline_kernelINS0_14default_configENS1_25partition_config_selectorILNS1_17partition_subalgoE5ElNS0_10empty_typeEbEEZZNS1_14partition_implILS5_5ELb0ES3_mN6hipcub16HIPCUB_304000_NS21CountingInputIteratorIllEEPS6_NSA_22TransformInputIteratorIb7NonZeroIsEPslEENS0_5tupleIJPlS6_EEENSJ_IJSD_SD_EEES6_SK_JS6_EEE10hipError_tPvRmT3_T4_T5_T6_T7_T9_mT8_P12ihipStream_tbDpT10_ENKUlT_T0_E_clISt17integral_constantIbLb1EES15_IbLb0EEEEDaS11_S12_EUlS11_E_NS1_11comp_targetILNS1_3genE9ELNS1_11target_archE1100ELNS1_3gpuE3ELNS1_3repE0EEENS1_30default_config_static_selectorELNS0_4arch9wavefront6targetE1EEEvT1_
; %bb.0:
	.section	.rodata,"a",@progbits
	.p2align	6, 0x0
	.amdhsa_kernel _ZN7rocprim17ROCPRIM_400000_NS6detail17trampoline_kernelINS0_14default_configENS1_25partition_config_selectorILNS1_17partition_subalgoE5ElNS0_10empty_typeEbEEZZNS1_14partition_implILS5_5ELb0ES3_mN6hipcub16HIPCUB_304000_NS21CountingInputIteratorIllEEPS6_NSA_22TransformInputIteratorIb7NonZeroIsEPslEENS0_5tupleIJPlS6_EEENSJ_IJSD_SD_EEES6_SK_JS6_EEE10hipError_tPvRmT3_T4_T5_T6_T7_T9_mT8_P12ihipStream_tbDpT10_ENKUlT_T0_E_clISt17integral_constantIbLb1EES15_IbLb0EEEEDaS11_S12_EUlS11_E_NS1_11comp_targetILNS1_3genE9ELNS1_11target_archE1100ELNS1_3gpuE3ELNS1_3repE0EEENS1_30default_config_static_selectorELNS0_4arch9wavefront6targetE1EEEvT1_
		.amdhsa_group_segment_fixed_size 0
		.amdhsa_private_segment_fixed_size 0
		.amdhsa_kernarg_size 120
		.amdhsa_user_sgpr_count 6
		.amdhsa_user_sgpr_private_segment_buffer 1
		.amdhsa_user_sgpr_dispatch_ptr 0
		.amdhsa_user_sgpr_queue_ptr 0
		.amdhsa_user_sgpr_kernarg_segment_ptr 1
		.amdhsa_user_sgpr_dispatch_id 0
		.amdhsa_user_sgpr_flat_scratch_init 0
		.amdhsa_user_sgpr_private_segment_size 0
		.amdhsa_uses_dynamic_stack 0
		.amdhsa_system_sgpr_private_segment_wavefront_offset 0
		.amdhsa_system_sgpr_workgroup_id_x 1
		.amdhsa_system_sgpr_workgroup_id_y 0
		.amdhsa_system_sgpr_workgroup_id_z 0
		.amdhsa_system_sgpr_workgroup_info 0
		.amdhsa_system_vgpr_workitem_id 0
		.amdhsa_next_free_vgpr 1
		.amdhsa_next_free_sgpr 0
		.amdhsa_reserve_vcc 0
		.amdhsa_reserve_flat_scratch 0
		.amdhsa_float_round_mode_32 0
		.amdhsa_float_round_mode_16_64 0
		.amdhsa_float_denorm_mode_32 3
		.amdhsa_float_denorm_mode_16_64 3
		.amdhsa_dx10_clamp 1
		.amdhsa_ieee_mode 1
		.amdhsa_fp16_overflow 0
		.amdhsa_exception_fp_ieee_invalid_op 0
		.amdhsa_exception_fp_denorm_src 0
		.amdhsa_exception_fp_ieee_div_zero 0
		.amdhsa_exception_fp_ieee_overflow 0
		.amdhsa_exception_fp_ieee_underflow 0
		.amdhsa_exception_fp_ieee_inexact 0
		.amdhsa_exception_int_div_zero 0
	.end_amdhsa_kernel
	.section	.text._ZN7rocprim17ROCPRIM_400000_NS6detail17trampoline_kernelINS0_14default_configENS1_25partition_config_selectorILNS1_17partition_subalgoE5ElNS0_10empty_typeEbEEZZNS1_14partition_implILS5_5ELb0ES3_mN6hipcub16HIPCUB_304000_NS21CountingInputIteratorIllEEPS6_NSA_22TransformInputIteratorIb7NonZeroIsEPslEENS0_5tupleIJPlS6_EEENSJ_IJSD_SD_EEES6_SK_JS6_EEE10hipError_tPvRmT3_T4_T5_T6_T7_T9_mT8_P12ihipStream_tbDpT10_ENKUlT_T0_E_clISt17integral_constantIbLb1EES15_IbLb0EEEEDaS11_S12_EUlS11_E_NS1_11comp_targetILNS1_3genE9ELNS1_11target_archE1100ELNS1_3gpuE3ELNS1_3repE0EEENS1_30default_config_static_selectorELNS0_4arch9wavefront6targetE1EEEvT1_,"axG",@progbits,_ZN7rocprim17ROCPRIM_400000_NS6detail17trampoline_kernelINS0_14default_configENS1_25partition_config_selectorILNS1_17partition_subalgoE5ElNS0_10empty_typeEbEEZZNS1_14partition_implILS5_5ELb0ES3_mN6hipcub16HIPCUB_304000_NS21CountingInputIteratorIllEEPS6_NSA_22TransformInputIteratorIb7NonZeroIsEPslEENS0_5tupleIJPlS6_EEENSJ_IJSD_SD_EEES6_SK_JS6_EEE10hipError_tPvRmT3_T4_T5_T6_T7_T9_mT8_P12ihipStream_tbDpT10_ENKUlT_T0_E_clISt17integral_constantIbLb1EES15_IbLb0EEEEDaS11_S12_EUlS11_E_NS1_11comp_targetILNS1_3genE9ELNS1_11target_archE1100ELNS1_3gpuE3ELNS1_3repE0EEENS1_30default_config_static_selectorELNS0_4arch9wavefront6targetE1EEEvT1_,comdat
.Lfunc_end139:
	.size	_ZN7rocprim17ROCPRIM_400000_NS6detail17trampoline_kernelINS0_14default_configENS1_25partition_config_selectorILNS1_17partition_subalgoE5ElNS0_10empty_typeEbEEZZNS1_14partition_implILS5_5ELb0ES3_mN6hipcub16HIPCUB_304000_NS21CountingInputIteratorIllEEPS6_NSA_22TransformInputIteratorIb7NonZeroIsEPslEENS0_5tupleIJPlS6_EEENSJ_IJSD_SD_EEES6_SK_JS6_EEE10hipError_tPvRmT3_T4_T5_T6_T7_T9_mT8_P12ihipStream_tbDpT10_ENKUlT_T0_E_clISt17integral_constantIbLb1EES15_IbLb0EEEEDaS11_S12_EUlS11_E_NS1_11comp_targetILNS1_3genE9ELNS1_11target_archE1100ELNS1_3gpuE3ELNS1_3repE0EEENS1_30default_config_static_selectorELNS0_4arch9wavefront6targetE1EEEvT1_, .Lfunc_end139-_ZN7rocprim17ROCPRIM_400000_NS6detail17trampoline_kernelINS0_14default_configENS1_25partition_config_selectorILNS1_17partition_subalgoE5ElNS0_10empty_typeEbEEZZNS1_14partition_implILS5_5ELb0ES3_mN6hipcub16HIPCUB_304000_NS21CountingInputIteratorIllEEPS6_NSA_22TransformInputIteratorIb7NonZeroIsEPslEENS0_5tupleIJPlS6_EEENSJ_IJSD_SD_EEES6_SK_JS6_EEE10hipError_tPvRmT3_T4_T5_T6_T7_T9_mT8_P12ihipStream_tbDpT10_ENKUlT_T0_E_clISt17integral_constantIbLb1EES15_IbLb0EEEEDaS11_S12_EUlS11_E_NS1_11comp_targetILNS1_3genE9ELNS1_11target_archE1100ELNS1_3gpuE3ELNS1_3repE0EEENS1_30default_config_static_selectorELNS0_4arch9wavefront6targetE1EEEvT1_
                                        ; -- End function
	.set _ZN7rocprim17ROCPRIM_400000_NS6detail17trampoline_kernelINS0_14default_configENS1_25partition_config_selectorILNS1_17partition_subalgoE5ElNS0_10empty_typeEbEEZZNS1_14partition_implILS5_5ELb0ES3_mN6hipcub16HIPCUB_304000_NS21CountingInputIteratorIllEEPS6_NSA_22TransformInputIteratorIb7NonZeroIsEPslEENS0_5tupleIJPlS6_EEENSJ_IJSD_SD_EEES6_SK_JS6_EEE10hipError_tPvRmT3_T4_T5_T6_T7_T9_mT8_P12ihipStream_tbDpT10_ENKUlT_T0_E_clISt17integral_constantIbLb1EES15_IbLb0EEEEDaS11_S12_EUlS11_E_NS1_11comp_targetILNS1_3genE9ELNS1_11target_archE1100ELNS1_3gpuE3ELNS1_3repE0EEENS1_30default_config_static_selectorELNS0_4arch9wavefront6targetE1EEEvT1_.num_vgpr, 0
	.set _ZN7rocprim17ROCPRIM_400000_NS6detail17trampoline_kernelINS0_14default_configENS1_25partition_config_selectorILNS1_17partition_subalgoE5ElNS0_10empty_typeEbEEZZNS1_14partition_implILS5_5ELb0ES3_mN6hipcub16HIPCUB_304000_NS21CountingInputIteratorIllEEPS6_NSA_22TransformInputIteratorIb7NonZeroIsEPslEENS0_5tupleIJPlS6_EEENSJ_IJSD_SD_EEES6_SK_JS6_EEE10hipError_tPvRmT3_T4_T5_T6_T7_T9_mT8_P12ihipStream_tbDpT10_ENKUlT_T0_E_clISt17integral_constantIbLb1EES15_IbLb0EEEEDaS11_S12_EUlS11_E_NS1_11comp_targetILNS1_3genE9ELNS1_11target_archE1100ELNS1_3gpuE3ELNS1_3repE0EEENS1_30default_config_static_selectorELNS0_4arch9wavefront6targetE1EEEvT1_.num_agpr, 0
	.set _ZN7rocprim17ROCPRIM_400000_NS6detail17trampoline_kernelINS0_14default_configENS1_25partition_config_selectorILNS1_17partition_subalgoE5ElNS0_10empty_typeEbEEZZNS1_14partition_implILS5_5ELb0ES3_mN6hipcub16HIPCUB_304000_NS21CountingInputIteratorIllEEPS6_NSA_22TransformInputIteratorIb7NonZeroIsEPslEENS0_5tupleIJPlS6_EEENSJ_IJSD_SD_EEES6_SK_JS6_EEE10hipError_tPvRmT3_T4_T5_T6_T7_T9_mT8_P12ihipStream_tbDpT10_ENKUlT_T0_E_clISt17integral_constantIbLb1EES15_IbLb0EEEEDaS11_S12_EUlS11_E_NS1_11comp_targetILNS1_3genE9ELNS1_11target_archE1100ELNS1_3gpuE3ELNS1_3repE0EEENS1_30default_config_static_selectorELNS0_4arch9wavefront6targetE1EEEvT1_.numbered_sgpr, 0
	.set _ZN7rocprim17ROCPRIM_400000_NS6detail17trampoline_kernelINS0_14default_configENS1_25partition_config_selectorILNS1_17partition_subalgoE5ElNS0_10empty_typeEbEEZZNS1_14partition_implILS5_5ELb0ES3_mN6hipcub16HIPCUB_304000_NS21CountingInputIteratorIllEEPS6_NSA_22TransformInputIteratorIb7NonZeroIsEPslEENS0_5tupleIJPlS6_EEENSJ_IJSD_SD_EEES6_SK_JS6_EEE10hipError_tPvRmT3_T4_T5_T6_T7_T9_mT8_P12ihipStream_tbDpT10_ENKUlT_T0_E_clISt17integral_constantIbLb1EES15_IbLb0EEEEDaS11_S12_EUlS11_E_NS1_11comp_targetILNS1_3genE9ELNS1_11target_archE1100ELNS1_3gpuE3ELNS1_3repE0EEENS1_30default_config_static_selectorELNS0_4arch9wavefront6targetE1EEEvT1_.num_named_barrier, 0
	.set _ZN7rocprim17ROCPRIM_400000_NS6detail17trampoline_kernelINS0_14default_configENS1_25partition_config_selectorILNS1_17partition_subalgoE5ElNS0_10empty_typeEbEEZZNS1_14partition_implILS5_5ELb0ES3_mN6hipcub16HIPCUB_304000_NS21CountingInputIteratorIllEEPS6_NSA_22TransformInputIteratorIb7NonZeroIsEPslEENS0_5tupleIJPlS6_EEENSJ_IJSD_SD_EEES6_SK_JS6_EEE10hipError_tPvRmT3_T4_T5_T6_T7_T9_mT8_P12ihipStream_tbDpT10_ENKUlT_T0_E_clISt17integral_constantIbLb1EES15_IbLb0EEEEDaS11_S12_EUlS11_E_NS1_11comp_targetILNS1_3genE9ELNS1_11target_archE1100ELNS1_3gpuE3ELNS1_3repE0EEENS1_30default_config_static_selectorELNS0_4arch9wavefront6targetE1EEEvT1_.private_seg_size, 0
	.set _ZN7rocprim17ROCPRIM_400000_NS6detail17trampoline_kernelINS0_14default_configENS1_25partition_config_selectorILNS1_17partition_subalgoE5ElNS0_10empty_typeEbEEZZNS1_14partition_implILS5_5ELb0ES3_mN6hipcub16HIPCUB_304000_NS21CountingInputIteratorIllEEPS6_NSA_22TransformInputIteratorIb7NonZeroIsEPslEENS0_5tupleIJPlS6_EEENSJ_IJSD_SD_EEES6_SK_JS6_EEE10hipError_tPvRmT3_T4_T5_T6_T7_T9_mT8_P12ihipStream_tbDpT10_ENKUlT_T0_E_clISt17integral_constantIbLb1EES15_IbLb0EEEEDaS11_S12_EUlS11_E_NS1_11comp_targetILNS1_3genE9ELNS1_11target_archE1100ELNS1_3gpuE3ELNS1_3repE0EEENS1_30default_config_static_selectorELNS0_4arch9wavefront6targetE1EEEvT1_.uses_vcc, 0
	.set _ZN7rocprim17ROCPRIM_400000_NS6detail17trampoline_kernelINS0_14default_configENS1_25partition_config_selectorILNS1_17partition_subalgoE5ElNS0_10empty_typeEbEEZZNS1_14partition_implILS5_5ELb0ES3_mN6hipcub16HIPCUB_304000_NS21CountingInputIteratorIllEEPS6_NSA_22TransformInputIteratorIb7NonZeroIsEPslEENS0_5tupleIJPlS6_EEENSJ_IJSD_SD_EEES6_SK_JS6_EEE10hipError_tPvRmT3_T4_T5_T6_T7_T9_mT8_P12ihipStream_tbDpT10_ENKUlT_T0_E_clISt17integral_constantIbLb1EES15_IbLb0EEEEDaS11_S12_EUlS11_E_NS1_11comp_targetILNS1_3genE9ELNS1_11target_archE1100ELNS1_3gpuE3ELNS1_3repE0EEENS1_30default_config_static_selectorELNS0_4arch9wavefront6targetE1EEEvT1_.uses_flat_scratch, 0
	.set _ZN7rocprim17ROCPRIM_400000_NS6detail17trampoline_kernelINS0_14default_configENS1_25partition_config_selectorILNS1_17partition_subalgoE5ElNS0_10empty_typeEbEEZZNS1_14partition_implILS5_5ELb0ES3_mN6hipcub16HIPCUB_304000_NS21CountingInputIteratorIllEEPS6_NSA_22TransformInputIteratorIb7NonZeroIsEPslEENS0_5tupleIJPlS6_EEENSJ_IJSD_SD_EEES6_SK_JS6_EEE10hipError_tPvRmT3_T4_T5_T6_T7_T9_mT8_P12ihipStream_tbDpT10_ENKUlT_T0_E_clISt17integral_constantIbLb1EES15_IbLb0EEEEDaS11_S12_EUlS11_E_NS1_11comp_targetILNS1_3genE9ELNS1_11target_archE1100ELNS1_3gpuE3ELNS1_3repE0EEENS1_30default_config_static_selectorELNS0_4arch9wavefront6targetE1EEEvT1_.has_dyn_sized_stack, 0
	.set _ZN7rocprim17ROCPRIM_400000_NS6detail17trampoline_kernelINS0_14default_configENS1_25partition_config_selectorILNS1_17partition_subalgoE5ElNS0_10empty_typeEbEEZZNS1_14partition_implILS5_5ELb0ES3_mN6hipcub16HIPCUB_304000_NS21CountingInputIteratorIllEEPS6_NSA_22TransformInputIteratorIb7NonZeroIsEPslEENS0_5tupleIJPlS6_EEENSJ_IJSD_SD_EEES6_SK_JS6_EEE10hipError_tPvRmT3_T4_T5_T6_T7_T9_mT8_P12ihipStream_tbDpT10_ENKUlT_T0_E_clISt17integral_constantIbLb1EES15_IbLb0EEEEDaS11_S12_EUlS11_E_NS1_11comp_targetILNS1_3genE9ELNS1_11target_archE1100ELNS1_3gpuE3ELNS1_3repE0EEENS1_30default_config_static_selectorELNS0_4arch9wavefront6targetE1EEEvT1_.has_recursion, 0
	.set _ZN7rocprim17ROCPRIM_400000_NS6detail17trampoline_kernelINS0_14default_configENS1_25partition_config_selectorILNS1_17partition_subalgoE5ElNS0_10empty_typeEbEEZZNS1_14partition_implILS5_5ELb0ES3_mN6hipcub16HIPCUB_304000_NS21CountingInputIteratorIllEEPS6_NSA_22TransformInputIteratorIb7NonZeroIsEPslEENS0_5tupleIJPlS6_EEENSJ_IJSD_SD_EEES6_SK_JS6_EEE10hipError_tPvRmT3_T4_T5_T6_T7_T9_mT8_P12ihipStream_tbDpT10_ENKUlT_T0_E_clISt17integral_constantIbLb1EES15_IbLb0EEEEDaS11_S12_EUlS11_E_NS1_11comp_targetILNS1_3genE9ELNS1_11target_archE1100ELNS1_3gpuE3ELNS1_3repE0EEENS1_30default_config_static_selectorELNS0_4arch9wavefront6targetE1EEEvT1_.has_indirect_call, 0
	.section	.AMDGPU.csdata,"",@progbits
; Kernel info:
; codeLenInByte = 0
; TotalNumSgprs: 4
; NumVgprs: 0
; ScratchSize: 0
; MemoryBound: 0
; FloatMode: 240
; IeeeMode: 1
; LDSByteSize: 0 bytes/workgroup (compile time only)
; SGPRBlocks: 0
; VGPRBlocks: 0
; NumSGPRsForWavesPerEU: 4
; NumVGPRsForWavesPerEU: 1
; Occupancy: 10
; WaveLimiterHint : 0
; COMPUTE_PGM_RSRC2:SCRATCH_EN: 0
; COMPUTE_PGM_RSRC2:USER_SGPR: 6
; COMPUTE_PGM_RSRC2:TRAP_HANDLER: 0
; COMPUTE_PGM_RSRC2:TGID_X_EN: 1
; COMPUTE_PGM_RSRC2:TGID_Y_EN: 0
; COMPUTE_PGM_RSRC2:TGID_Z_EN: 0
; COMPUTE_PGM_RSRC2:TIDIG_COMP_CNT: 0
	.section	.text._ZN7rocprim17ROCPRIM_400000_NS6detail17trampoline_kernelINS0_14default_configENS1_25partition_config_selectorILNS1_17partition_subalgoE5ElNS0_10empty_typeEbEEZZNS1_14partition_implILS5_5ELb0ES3_mN6hipcub16HIPCUB_304000_NS21CountingInputIteratorIllEEPS6_NSA_22TransformInputIteratorIb7NonZeroIsEPslEENS0_5tupleIJPlS6_EEENSJ_IJSD_SD_EEES6_SK_JS6_EEE10hipError_tPvRmT3_T4_T5_T6_T7_T9_mT8_P12ihipStream_tbDpT10_ENKUlT_T0_E_clISt17integral_constantIbLb1EES15_IbLb0EEEEDaS11_S12_EUlS11_E_NS1_11comp_targetILNS1_3genE8ELNS1_11target_archE1030ELNS1_3gpuE2ELNS1_3repE0EEENS1_30default_config_static_selectorELNS0_4arch9wavefront6targetE1EEEvT1_,"axG",@progbits,_ZN7rocprim17ROCPRIM_400000_NS6detail17trampoline_kernelINS0_14default_configENS1_25partition_config_selectorILNS1_17partition_subalgoE5ElNS0_10empty_typeEbEEZZNS1_14partition_implILS5_5ELb0ES3_mN6hipcub16HIPCUB_304000_NS21CountingInputIteratorIllEEPS6_NSA_22TransformInputIteratorIb7NonZeroIsEPslEENS0_5tupleIJPlS6_EEENSJ_IJSD_SD_EEES6_SK_JS6_EEE10hipError_tPvRmT3_T4_T5_T6_T7_T9_mT8_P12ihipStream_tbDpT10_ENKUlT_T0_E_clISt17integral_constantIbLb1EES15_IbLb0EEEEDaS11_S12_EUlS11_E_NS1_11comp_targetILNS1_3genE8ELNS1_11target_archE1030ELNS1_3gpuE2ELNS1_3repE0EEENS1_30default_config_static_selectorELNS0_4arch9wavefront6targetE1EEEvT1_,comdat
	.protected	_ZN7rocprim17ROCPRIM_400000_NS6detail17trampoline_kernelINS0_14default_configENS1_25partition_config_selectorILNS1_17partition_subalgoE5ElNS0_10empty_typeEbEEZZNS1_14partition_implILS5_5ELb0ES3_mN6hipcub16HIPCUB_304000_NS21CountingInputIteratorIllEEPS6_NSA_22TransformInputIteratorIb7NonZeroIsEPslEENS0_5tupleIJPlS6_EEENSJ_IJSD_SD_EEES6_SK_JS6_EEE10hipError_tPvRmT3_T4_T5_T6_T7_T9_mT8_P12ihipStream_tbDpT10_ENKUlT_T0_E_clISt17integral_constantIbLb1EES15_IbLb0EEEEDaS11_S12_EUlS11_E_NS1_11comp_targetILNS1_3genE8ELNS1_11target_archE1030ELNS1_3gpuE2ELNS1_3repE0EEENS1_30default_config_static_selectorELNS0_4arch9wavefront6targetE1EEEvT1_ ; -- Begin function _ZN7rocprim17ROCPRIM_400000_NS6detail17trampoline_kernelINS0_14default_configENS1_25partition_config_selectorILNS1_17partition_subalgoE5ElNS0_10empty_typeEbEEZZNS1_14partition_implILS5_5ELb0ES3_mN6hipcub16HIPCUB_304000_NS21CountingInputIteratorIllEEPS6_NSA_22TransformInputIteratorIb7NonZeroIsEPslEENS0_5tupleIJPlS6_EEENSJ_IJSD_SD_EEES6_SK_JS6_EEE10hipError_tPvRmT3_T4_T5_T6_T7_T9_mT8_P12ihipStream_tbDpT10_ENKUlT_T0_E_clISt17integral_constantIbLb1EES15_IbLb0EEEEDaS11_S12_EUlS11_E_NS1_11comp_targetILNS1_3genE8ELNS1_11target_archE1030ELNS1_3gpuE2ELNS1_3repE0EEENS1_30default_config_static_selectorELNS0_4arch9wavefront6targetE1EEEvT1_
	.globl	_ZN7rocprim17ROCPRIM_400000_NS6detail17trampoline_kernelINS0_14default_configENS1_25partition_config_selectorILNS1_17partition_subalgoE5ElNS0_10empty_typeEbEEZZNS1_14partition_implILS5_5ELb0ES3_mN6hipcub16HIPCUB_304000_NS21CountingInputIteratorIllEEPS6_NSA_22TransformInputIteratorIb7NonZeroIsEPslEENS0_5tupleIJPlS6_EEENSJ_IJSD_SD_EEES6_SK_JS6_EEE10hipError_tPvRmT3_T4_T5_T6_T7_T9_mT8_P12ihipStream_tbDpT10_ENKUlT_T0_E_clISt17integral_constantIbLb1EES15_IbLb0EEEEDaS11_S12_EUlS11_E_NS1_11comp_targetILNS1_3genE8ELNS1_11target_archE1030ELNS1_3gpuE2ELNS1_3repE0EEENS1_30default_config_static_selectorELNS0_4arch9wavefront6targetE1EEEvT1_
	.p2align	8
	.type	_ZN7rocprim17ROCPRIM_400000_NS6detail17trampoline_kernelINS0_14default_configENS1_25partition_config_selectorILNS1_17partition_subalgoE5ElNS0_10empty_typeEbEEZZNS1_14partition_implILS5_5ELb0ES3_mN6hipcub16HIPCUB_304000_NS21CountingInputIteratorIllEEPS6_NSA_22TransformInputIteratorIb7NonZeroIsEPslEENS0_5tupleIJPlS6_EEENSJ_IJSD_SD_EEES6_SK_JS6_EEE10hipError_tPvRmT3_T4_T5_T6_T7_T9_mT8_P12ihipStream_tbDpT10_ENKUlT_T0_E_clISt17integral_constantIbLb1EES15_IbLb0EEEEDaS11_S12_EUlS11_E_NS1_11comp_targetILNS1_3genE8ELNS1_11target_archE1030ELNS1_3gpuE2ELNS1_3repE0EEENS1_30default_config_static_selectorELNS0_4arch9wavefront6targetE1EEEvT1_,@function
_ZN7rocprim17ROCPRIM_400000_NS6detail17trampoline_kernelINS0_14default_configENS1_25partition_config_selectorILNS1_17partition_subalgoE5ElNS0_10empty_typeEbEEZZNS1_14partition_implILS5_5ELb0ES3_mN6hipcub16HIPCUB_304000_NS21CountingInputIteratorIllEEPS6_NSA_22TransformInputIteratorIb7NonZeroIsEPslEENS0_5tupleIJPlS6_EEENSJ_IJSD_SD_EEES6_SK_JS6_EEE10hipError_tPvRmT3_T4_T5_T6_T7_T9_mT8_P12ihipStream_tbDpT10_ENKUlT_T0_E_clISt17integral_constantIbLb1EES15_IbLb0EEEEDaS11_S12_EUlS11_E_NS1_11comp_targetILNS1_3genE8ELNS1_11target_archE1030ELNS1_3gpuE2ELNS1_3repE0EEENS1_30default_config_static_selectorELNS0_4arch9wavefront6targetE1EEEvT1_: ; @_ZN7rocprim17ROCPRIM_400000_NS6detail17trampoline_kernelINS0_14default_configENS1_25partition_config_selectorILNS1_17partition_subalgoE5ElNS0_10empty_typeEbEEZZNS1_14partition_implILS5_5ELb0ES3_mN6hipcub16HIPCUB_304000_NS21CountingInputIteratorIllEEPS6_NSA_22TransformInputIteratorIb7NonZeroIsEPslEENS0_5tupleIJPlS6_EEENSJ_IJSD_SD_EEES6_SK_JS6_EEE10hipError_tPvRmT3_T4_T5_T6_T7_T9_mT8_P12ihipStream_tbDpT10_ENKUlT_T0_E_clISt17integral_constantIbLb1EES15_IbLb0EEEEDaS11_S12_EUlS11_E_NS1_11comp_targetILNS1_3genE8ELNS1_11target_archE1030ELNS1_3gpuE2ELNS1_3repE0EEENS1_30default_config_static_selectorELNS0_4arch9wavefront6targetE1EEEvT1_
; %bb.0:
	.section	.rodata,"a",@progbits
	.p2align	6, 0x0
	.amdhsa_kernel _ZN7rocprim17ROCPRIM_400000_NS6detail17trampoline_kernelINS0_14default_configENS1_25partition_config_selectorILNS1_17partition_subalgoE5ElNS0_10empty_typeEbEEZZNS1_14partition_implILS5_5ELb0ES3_mN6hipcub16HIPCUB_304000_NS21CountingInputIteratorIllEEPS6_NSA_22TransformInputIteratorIb7NonZeroIsEPslEENS0_5tupleIJPlS6_EEENSJ_IJSD_SD_EEES6_SK_JS6_EEE10hipError_tPvRmT3_T4_T5_T6_T7_T9_mT8_P12ihipStream_tbDpT10_ENKUlT_T0_E_clISt17integral_constantIbLb1EES15_IbLb0EEEEDaS11_S12_EUlS11_E_NS1_11comp_targetILNS1_3genE8ELNS1_11target_archE1030ELNS1_3gpuE2ELNS1_3repE0EEENS1_30default_config_static_selectorELNS0_4arch9wavefront6targetE1EEEvT1_
		.amdhsa_group_segment_fixed_size 0
		.amdhsa_private_segment_fixed_size 0
		.amdhsa_kernarg_size 120
		.amdhsa_user_sgpr_count 6
		.amdhsa_user_sgpr_private_segment_buffer 1
		.amdhsa_user_sgpr_dispatch_ptr 0
		.amdhsa_user_sgpr_queue_ptr 0
		.amdhsa_user_sgpr_kernarg_segment_ptr 1
		.amdhsa_user_sgpr_dispatch_id 0
		.amdhsa_user_sgpr_flat_scratch_init 0
		.amdhsa_user_sgpr_private_segment_size 0
		.amdhsa_uses_dynamic_stack 0
		.amdhsa_system_sgpr_private_segment_wavefront_offset 0
		.amdhsa_system_sgpr_workgroup_id_x 1
		.amdhsa_system_sgpr_workgroup_id_y 0
		.amdhsa_system_sgpr_workgroup_id_z 0
		.amdhsa_system_sgpr_workgroup_info 0
		.amdhsa_system_vgpr_workitem_id 0
		.amdhsa_next_free_vgpr 1
		.amdhsa_next_free_sgpr 0
		.amdhsa_reserve_vcc 0
		.amdhsa_reserve_flat_scratch 0
		.amdhsa_float_round_mode_32 0
		.amdhsa_float_round_mode_16_64 0
		.amdhsa_float_denorm_mode_32 3
		.amdhsa_float_denorm_mode_16_64 3
		.amdhsa_dx10_clamp 1
		.amdhsa_ieee_mode 1
		.amdhsa_fp16_overflow 0
		.amdhsa_exception_fp_ieee_invalid_op 0
		.amdhsa_exception_fp_denorm_src 0
		.amdhsa_exception_fp_ieee_div_zero 0
		.amdhsa_exception_fp_ieee_overflow 0
		.amdhsa_exception_fp_ieee_underflow 0
		.amdhsa_exception_fp_ieee_inexact 0
		.amdhsa_exception_int_div_zero 0
	.end_amdhsa_kernel
	.section	.text._ZN7rocprim17ROCPRIM_400000_NS6detail17trampoline_kernelINS0_14default_configENS1_25partition_config_selectorILNS1_17partition_subalgoE5ElNS0_10empty_typeEbEEZZNS1_14partition_implILS5_5ELb0ES3_mN6hipcub16HIPCUB_304000_NS21CountingInputIteratorIllEEPS6_NSA_22TransformInputIteratorIb7NonZeroIsEPslEENS0_5tupleIJPlS6_EEENSJ_IJSD_SD_EEES6_SK_JS6_EEE10hipError_tPvRmT3_T4_T5_T6_T7_T9_mT8_P12ihipStream_tbDpT10_ENKUlT_T0_E_clISt17integral_constantIbLb1EES15_IbLb0EEEEDaS11_S12_EUlS11_E_NS1_11comp_targetILNS1_3genE8ELNS1_11target_archE1030ELNS1_3gpuE2ELNS1_3repE0EEENS1_30default_config_static_selectorELNS0_4arch9wavefront6targetE1EEEvT1_,"axG",@progbits,_ZN7rocprim17ROCPRIM_400000_NS6detail17trampoline_kernelINS0_14default_configENS1_25partition_config_selectorILNS1_17partition_subalgoE5ElNS0_10empty_typeEbEEZZNS1_14partition_implILS5_5ELb0ES3_mN6hipcub16HIPCUB_304000_NS21CountingInputIteratorIllEEPS6_NSA_22TransformInputIteratorIb7NonZeroIsEPslEENS0_5tupleIJPlS6_EEENSJ_IJSD_SD_EEES6_SK_JS6_EEE10hipError_tPvRmT3_T4_T5_T6_T7_T9_mT8_P12ihipStream_tbDpT10_ENKUlT_T0_E_clISt17integral_constantIbLb1EES15_IbLb0EEEEDaS11_S12_EUlS11_E_NS1_11comp_targetILNS1_3genE8ELNS1_11target_archE1030ELNS1_3gpuE2ELNS1_3repE0EEENS1_30default_config_static_selectorELNS0_4arch9wavefront6targetE1EEEvT1_,comdat
.Lfunc_end140:
	.size	_ZN7rocprim17ROCPRIM_400000_NS6detail17trampoline_kernelINS0_14default_configENS1_25partition_config_selectorILNS1_17partition_subalgoE5ElNS0_10empty_typeEbEEZZNS1_14partition_implILS5_5ELb0ES3_mN6hipcub16HIPCUB_304000_NS21CountingInputIteratorIllEEPS6_NSA_22TransformInputIteratorIb7NonZeroIsEPslEENS0_5tupleIJPlS6_EEENSJ_IJSD_SD_EEES6_SK_JS6_EEE10hipError_tPvRmT3_T4_T5_T6_T7_T9_mT8_P12ihipStream_tbDpT10_ENKUlT_T0_E_clISt17integral_constantIbLb1EES15_IbLb0EEEEDaS11_S12_EUlS11_E_NS1_11comp_targetILNS1_3genE8ELNS1_11target_archE1030ELNS1_3gpuE2ELNS1_3repE0EEENS1_30default_config_static_selectorELNS0_4arch9wavefront6targetE1EEEvT1_, .Lfunc_end140-_ZN7rocprim17ROCPRIM_400000_NS6detail17trampoline_kernelINS0_14default_configENS1_25partition_config_selectorILNS1_17partition_subalgoE5ElNS0_10empty_typeEbEEZZNS1_14partition_implILS5_5ELb0ES3_mN6hipcub16HIPCUB_304000_NS21CountingInputIteratorIllEEPS6_NSA_22TransformInputIteratorIb7NonZeroIsEPslEENS0_5tupleIJPlS6_EEENSJ_IJSD_SD_EEES6_SK_JS6_EEE10hipError_tPvRmT3_T4_T5_T6_T7_T9_mT8_P12ihipStream_tbDpT10_ENKUlT_T0_E_clISt17integral_constantIbLb1EES15_IbLb0EEEEDaS11_S12_EUlS11_E_NS1_11comp_targetILNS1_3genE8ELNS1_11target_archE1030ELNS1_3gpuE2ELNS1_3repE0EEENS1_30default_config_static_selectorELNS0_4arch9wavefront6targetE1EEEvT1_
                                        ; -- End function
	.set _ZN7rocprim17ROCPRIM_400000_NS6detail17trampoline_kernelINS0_14default_configENS1_25partition_config_selectorILNS1_17partition_subalgoE5ElNS0_10empty_typeEbEEZZNS1_14partition_implILS5_5ELb0ES3_mN6hipcub16HIPCUB_304000_NS21CountingInputIteratorIllEEPS6_NSA_22TransformInputIteratorIb7NonZeroIsEPslEENS0_5tupleIJPlS6_EEENSJ_IJSD_SD_EEES6_SK_JS6_EEE10hipError_tPvRmT3_T4_T5_T6_T7_T9_mT8_P12ihipStream_tbDpT10_ENKUlT_T0_E_clISt17integral_constantIbLb1EES15_IbLb0EEEEDaS11_S12_EUlS11_E_NS1_11comp_targetILNS1_3genE8ELNS1_11target_archE1030ELNS1_3gpuE2ELNS1_3repE0EEENS1_30default_config_static_selectorELNS0_4arch9wavefront6targetE1EEEvT1_.num_vgpr, 0
	.set _ZN7rocprim17ROCPRIM_400000_NS6detail17trampoline_kernelINS0_14default_configENS1_25partition_config_selectorILNS1_17partition_subalgoE5ElNS0_10empty_typeEbEEZZNS1_14partition_implILS5_5ELb0ES3_mN6hipcub16HIPCUB_304000_NS21CountingInputIteratorIllEEPS6_NSA_22TransformInputIteratorIb7NonZeroIsEPslEENS0_5tupleIJPlS6_EEENSJ_IJSD_SD_EEES6_SK_JS6_EEE10hipError_tPvRmT3_T4_T5_T6_T7_T9_mT8_P12ihipStream_tbDpT10_ENKUlT_T0_E_clISt17integral_constantIbLb1EES15_IbLb0EEEEDaS11_S12_EUlS11_E_NS1_11comp_targetILNS1_3genE8ELNS1_11target_archE1030ELNS1_3gpuE2ELNS1_3repE0EEENS1_30default_config_static_selectorELNS0_4arch9wavefront6targetE1EEEvT1_.num_agpr, 0
	.set _ZN7rocprim17ROCPRIM_400000_NS6detail17trampoline_kernelINS0_14default_configENS1_25partition_config_selectorILNS1_17partition_subalgoE5ElNS0_10empty_typeEbEEZZNS1_14partition_implILS5_5ELb0ES3_mN6hipcub16HIPCUB_304000_NS21CountingInputIteratorIllEEPS6_NSA_22TransformInputIteratorIb7NonZeroIsEPslEENS0_5tupleIJPlS6_EEENSJ_IJSD_SD_EEES6_SK_JS6_EEE10hipError_tPvRmT3_T4_T5_T6_T7_T9_mT8_P12ihipStream_tbDpT10_ENKUlT_T0_E_clISt17integral_constantIbLb1EES15_IbLb0EEEEDaS11_S12_EUlS11_E_NS1_11comp_targetILNS1_3genE8ELNS1_11target_archE1030ELNS1_3gpuE2ELNS1_3repE0EEENS1_30default_config_static_selectorELNS0_4arch9wavefront6targetE1EEEvT1_.numbered_sgpr, 0
	.set _ZN7rocprim17ROCPRIM_400000_NS6detail17trampoline_kernelINS0_14default_configENS1_25partition_config_selectorILNS1_17partition_subalgoE5ElNS0_10empty_typeEbEEZZNS1_14partition_implILS5_5ELb0ES3_mN6hipcub16HIPCUB_304000_NS21CountingInputIteratorIllEEPS6_NSA_22TransformInputIteratorIb7NonZeroIsEPslEENS0_5tupleIJPlS6_EEENSJ_IJSD_SD_EEES6_SK_JS6_EEE10hipError_tPvRmT3_T4_T5_T6_T7_T9_mT8_P12ihipStream_tbDpT10_ENKUlT_T0_E_clISt17integral_constantIbLb1EES15_IbLb0EEEEDaS11_S12_EUlS11_E_NS1_11comp_targetILNS1_3genE8ELNS1_11target_archE1030ELNS1_3gpuE2ELNS1_3repE0EEENS1_30default_config_static_selectorELNS0_4arch9wavefront6targetE1EEEvT1_.num_named_barrier, 0
	.set _ZN7rocprim17ROCPRIM_400000_NS6detail17trampoline_kernelINS0_14default_configENS1_25partition_config_selectorILNS1_17partition_subalgoE5ElNS0_10empty_typeEbEEZZNS1_14partition_implILS5_5ELb0ES3_mN6hipcub16HIPCUB_304000_NS21CountingInputIteratorIllEEPS6_NSA_22TransformInputIteratorIb7NonZeroIsEPslEENS0_5tupleIJPlS6_EEENSJ_IJSD_SD_EEES6_SK_JS6_EEE10hipError_tPvRmT3_T4_T5_T6_T7_T9_mT8_P12ihipStream_tbDpT10_ENKUlT_T0_E_clISt17integral_constantIbLb1EES15_IbLb0EEEEDaS11_S12_EUlS11_E_NS1_11comp_targetILNS1_3genE8ELNS1_11target_archE1030ELNS1_3gpuE2ELNS1_3repE0EEENS1_30default_config_static_selectorELNS0_4arch9wavefront6targetE1EEEvT1_.private_seg_size, 0
	.set _ZN7rocprim17ROCPRIM_400000_NS6detail17trampoline_kernelINS0_14default_configENS1_25partition_config_selectorILNS1_17partition_subalgoE5ElNS0_10empty_typeEbEEZZNS1_14partition_implILS5_5ELb0ES3_mN6hipcub16HIPCUB_304000_NS21CountingInputIteratorIllEEPS6_NSA_22TransformInputIteratorIb7NonZeroIsEPslEENS0_5tupleIJPlS6_EEENSJ_IJSD_SD_EEES6_SK_JS6_EEE10hipError_tPvRmT3_T4_T5_T6_T7_T9_mT8_P12ihipStream_tbDpT10_ENKUlT_T0_E_clISt17integral_constantIbLb1EES15_IbLb0EEEEDaS11_S12_EUlS11_E_NS1_11comp_targetILNS1_3genE8ELNS1_11target_archE1030ELNS1_3gpuE2ELNS1_3repE0EEENS1_30default_config_static_selectorELNS0_4arch9wavefront6targetE1EEEvT1_.uses_vcc, 0
	.set _ZN7rocprim17ROCPRIM_400000_NS6detail17trampoline_kernelINS0_14default_configENS1_25partition_config_selectorILNS1_17partition_subalgoE5ElNS0_10empty_typeEbEEZZNS1_14partition_implILS5_5ELb0ES3_mN6hipcub16HIPCUB_304000_NS21CountingInputIteratorIllEEPS6_NSA_22TransformInputIteratorIb7NonZeroIsEPslEENS0_5tupleIJPlS6_EEENSJ_IJSD_SD_EEES6_SK_JS6_EEE10hipError_tPvRmT3_T4_T5_T6_T7_T9_mT8_P12ihipStream_tbDpT10_ENKUlT_T0_E_clISt17integral_constantIbLb1EES15_IbLb0EEEEDaS11_S12_EUlS11_E_NS1_11comp_targetILNS1_3genE8ELNS1_11target_archE1030ELNS1_3gpuE2ELNS1_3repE0EEENS1_30default_config_static_selectorELNS0_4arch9wavefront6targetE1EEEvT1_.uses_flat_scratch, 0
	.set _ZN7rocprim17ROCPRIM_400000_NS6detail17trampoline_kernelINS0_14default_configENS1_25partition_config_selectorILNS1_17partition_subalgoE5ElNS0_10empty_typeEbEEZZNS1_14partition_implILS5_5ELb0ES3_mN6hipcub16HIPCUB_304000_NS21CountingInputIteratorIllEEPS6_NSA_22TransformInputIteratorIb7NonZeroIsEPslEENS0_5tupleIJPlS6_EEENSJ_IJSD_SD_EEES6_SK_JS6_EEE10hipError_tPvRmT3_T4_T5_T6_T7_T9_mT8_P12ihipStream_tbDpT10_ENKUlT_T0_E_clISt17integral_constantIbLb1EES15_IbLb0EEEEDaS11_S12_EUlS11_E_NS1_11comp_targetILNS1_3genE8ELNS1_11target_archE1030ELNS1_3gpuE2ELNS1_3repE0EEENS1_30default_config_static_selectorELNS0_4arch9wavefront6targetE1EEEvT1_.has_dyn_sized_stack, 0
	.set _ZN7rocprim17ROCPRIM_400000_NS6detail17trampoline_kernelINS0_14default_configENS1_25partition_config_selectorILNS1_17partition_subalgoE5ElNS0_10empty_typeEbEEZZNS1_14partition_implILS5_5ELb0ES3_mN6hipcub16HIPCUB_304000_NS21CountingInputIteratorIllEEPS6_NSA_22TransformInputIteratorIb7NonZeroIsEPslEENS0_5tupleIJPlS6_EEENSJ_IJSD_SD_EEES6_SK_JS6_EEE10hipError_tPvRmT3_T4_T5_T6_T7_T9_mT8_P12ihipStream_tbDpT10_ENKUlT_T0_E_clISt17integral_constantIbLb1EES15_IbLb0EEEEDaS11_S12_EUlS11_E_NS1_11comp_targetILNS1_3genE8ELNS1_11target_archE1030ELNS1_3gpuE2ELNS1_3repE0EEENS1_30default_config_static_selectorELNS0_4arch9wavefront6targetE1EEEvT1_.has_recursion, 0
	.set _ZN7rocprim17ROCPRIM_400000_NS6detail17trampoline_kernelINS0_14default_configENS1_25partition_config_selectorILNS1_17partition_subalgoE5ElNS0_10empty_typeEbEEZZNS1_14partition_implILS5_5ELb0ES3_mN6hipcub16HIPCUB_304000_NS21CountingInputIteratorIllEEPS6_NSA_22TransformInputIteratorIb7NonZeroIsEPslEENS0_5tupleIJPlS6_EEENSJ_IJSD_SD_EEES6_SK_JS6_EEE10hipError_tPvRmT3_T4_T5_T6_T7_T9_mT8_P12ihipStream_tbDpT10_ENKUlT_T0_E_clISt17integral_constantIbLb1EES15_IbLb0EEEEDaS11_S12_EUlS11_E_NS1_11comp_targetILNS1_3genE8ELNS1_11target_archE1030ELNS1_3gpuE2ELNS1_3repE0EEENS1_30default_config_static_selectorELNS0_4arch9wavefront6targetE1EEEvT1_.has_indirect_call, 0
	.section	.AMDGPU.csdata,"",@progbits
; Kernel info:
; codeLenInByte = 0
; TotalNumSgprs: 4
; NumVgprs: 0
; ScratchSize: 0
; MemoryBound: 0
; FloatMode: 240
; IeeeMode: 1
; LDSByteSize: 0 bytes/workgroup (compile time only)
; SGPRBlocks: 0
; VGPRBlocks: 0
; NumSGPRsForWavesPerEU: 4
; NumVGPRsForWavesPerEU: 1
; Occupancy: 10
; WaveLimiterHint : 0
; COMPUTE_PGM_RSRC2:SCRATCH_EN: 0
; COMPUTE_PGM_RSRC2:USER_SGPR: 6
; COMPUTE_PGM_RSRC2:TRAP_HANDLER: 0
; COMPUTE_PGM_RSRC2:TGID_X_EN: 1
; COMPUTE_PGM_RSRC2:TGID_Y_EN: 0
; COMPUTE_PGM_RSRC2:TGID_Z_EN: 0
; COMPUTE_PGM_RSRC2:TIDIG_COMP_CNT: 0
	.section	.text._ZN7rocprim17ROCPRIM_400000_NS6detail17trampoline_kernelINS0_14default_configENS1_25partition_config_selectorILNS1_17partition_subalgoE5ElNS0_10empty_typeEbEEZZNS1_14partition_implILS5_5ELb0ES3_mN6hipcub16HIPCUB_304000_NS21CountingInputIteratorIllEEPS6_NSA_22TransformInputIteratorIb7NonZeroIsEPslEENS0_5tupleIJPlS6_EEENSJ_IJSD_SD_EEES6_SK_JS6_EEE10hipError_tPvRmT3_T4_T5_T6_T7_T9_mT8_P12ihipStream_tbDpT10_ENKUlT_T0_E_clISt17integral_constantIbLb0EES15_IbLb1EEEEDaS11_S12_EUlS11_E_NS1_11comp_targetILNS1_3genE0ELNS1_11target_archE4294967295ELNS1_3gpuE0ELNS1_3repE0EEENS1_30default_config_static_selectorELNS0_4arch9wavefront6targetE1EEEvT1_,"axG",@progbits,_ZN7rocprim17ROCPRIM_400000_NS6detail17trampoline_kernelINS0_14default_configENS1_25partition_config_selectorILNS1_17partition_subalgoE5ElNS0_10empty_typeEbEEZZNS1_14partition_implILS5_5ELb0ES3_mN6hipcub16HIPCUB_304000_NS21CountingInputIteratorIllEEPS6_NSA_22TransformInputIteratorIb7NonZeroIsEPslEENS0_5tupleIJPlS6_EEENSJ_IJSD_SD_EEES6_SK_JS6_EEE10hipError_tPvRmT3_T4_T5_T6_T7_T9_mT8_P12ihipStream_tbDpT10_ENKUlT_T0_E_clISt17integral_constantIbLb0EES15_IbLb1EEEEDaS11_S12_EUlS11_E_NS1_11comp_targetILNS1_3genE0ELNS1_11target_archE4294967295ELNS1_3gpuE0ELNS1_3repE0EEENS1_30default_config_static_selectorELNS0_4arch9wavefront6targetE1EEEvT1_,comdat
	.protected	_ZN7rocprim17ROCPRIM_400000_NS6detail17trampoline_kernelINS0_14default_configENS1_25partition_config_selectorILNS1_17partition_subalgoE5ElNS0_10empty_typeEbEEZZNS1_14partition_implILS5_5ELb0ES3_mN6hipcub16HIPCUB_304000_NS21CountingInputIteratorIllEEPS6_NSA_22TransformInputIteratorIb7NonZeroIsEPslEENS0_5tupleIJPlS6_EEENSJ_IJSD_SD_EEES6_SK_JS6_EEE10hipError_tPvRmT3_T4_T5_T6_T7_T9_mT8_P12ihipStream_tbDpT10_ENKUlT_T0_E_clISt17integral_constantIbLb0EES15_IbLb1EEEEDaS11_S12_EUlS11_E_NS1_11comp_targetILNS1_3genE0ELNS1_11target_archE4294967295ELNS1_3gpuE0ELNS1_3repE0EEENS1_30default_config_static_selectorELNS0_4arch9wavefront6targetE1EEEvT1_ ; -- Begin function _ZN7rocprim17ROCPRIM_400000_NS6detail17trampoline_kernelINS0_14default_configENS1_25partition_config_selectorILNS1_17partition_subalgoE5ElNS0_10empty_typeEbEEZZNS1_14partition_implILS5_5ELb0ES3_mN6hipcub16HIPCUB_304000_NS21CountingInputIteratorIllEEPS6_NSA_22TransformInputIteratorIb7NonZeroIsEPslEENS0_5tupleIJPlS6_EEENSJ_IJSD_SD_EEES6_SK_JS6_EEE10hipError_tPvRmT3_T4_T5_T6_T7_T9_mT8_P12ihipStream_tbDpT10_ENKUlT_T0_E_clISt17integral_constantIbLb0EES15_IbLb1EEEEDaS11_S12_EUlS11_E_NS1_11comp_targetILNS1_3genE0ELNS1_11target_archE4294967295ELNS1_3gpuE0ELNS1_3repE0EEENS1_30default_config_static_selectorELNS0_4arch9wavefront6targetE1EEEvT1_
	.globl	_ZN7rocprim17ROCPRIM_400000_NS6detail17trampoline_kernelINS0_14default_configENS1_25partition_config_selectorILNS1_17partition_subalgoE5ElNS0_10empty_typeEbEEZZNS1_14partition_implILS5_5ELb0ES3_mN6hipcub16HIPCUB_304000_NS21CountingInputIteratorIllEEPS6_NSA_22TransformInputIteratorIb7NonZeroIsEPslEENS0_5tupleIJPlS6_EEENSJ_IJSD_SD_EEES6_SK_JS6_EEE10hipError_tPvRmT3_T4_T5_T6_T7_T9_mT8_P12ihipStream_tbDpT10_ENKUlT_T0_E_clISt17integral_constantIbLb0EES15_IbLb1EEEEDaS11_S12_EUlS11_E_NS1_11comp_targetILNS1_3genE0ELNS1_11target_archE4294967295ELNS1_3gpuE0ELNS1_3repE0EEENS1_30default_config_static_selectorELNS0_4arch9wavefront6targetE1EEEvT1_
	.p2align	8
	.type	_ZN7rocprim17ROCPRIM_400000_NS6detail17trampoline_kernelINS0_14default_configENS1_25partition_config_selectorILNS1_17partition_subalgoE5ElNS0_10empty_typeEbEEZZNS1_14partition_implILS5_5ELb0ES3_mN6hipcub16HIPCUB_304000_NS21CountingInputIteratorIllEEPS6_NSA_22TransformInputIteratorIb7NonZeroIsEPslEENS0_5tupleIJPlS6_EEENSJ_IJSD_SD_EEES6_SK_JS6_EEE10hipError_tPvRmT3_T4_T5_T6_T7_T9_mT8_P12ihipStream_tbDpT10_ENKUlT_T0_E_clISt17integral_constantIbLb0EES15_IbLb1EEEEDaS11_S12_EUlS11_E_NS1_11comp_targetILNS1_3genE0ELNS1_11target_archE4294967295ELNS1_3gpuE0ELNS1_3repE0EEENS1_30default_config_static_selectorELNS0_4arch9wavefront6targetE1EEEvT1_,@function
_ZN7rocprim17ROCPRIM_400000_NS6detail17trampoline_kernelINS0_14default_configENS1_25partition_config_selectorILNS1_17partition_subalgoE5ElNS0_10empty_typeEbEEZZNS1_14partition_implILS5_5ELb0ES3_mN6hipcub16HIPCUB_304000_NS21CountingInputIteratorIllEEPS6_NSA_22TransformInputIteratorIb7NonZeroIsEPslEENS0_5tupleIJPlS6_EEENSJ_IJSD_SD_EEES6_SK_JS6_EEE10hipError_tPvRmT3_T4_T5_T6_T7_T9_mT8_P12ihipStream_tbDpT10_ENKUlT_T0_E_clISt17integral_constantIbLb0EES15_IbLb1EEEEDaS11_S12_EUlS11_E_NS1_11comp_targetILNS1_3genE0ELNS1_11target_archE4294967295ELNS1_3gpuE0ELNS1_3repE0EEENS1_30default_config_static_selectorELNS0_4arch9wavefront6targetE1EEEvT1_: ; @_ZN7rocprim17ROCPRIM_400000_NS6detail17trampoline_kernelINS0_14default_configENS1_25partition_config_selectorILNS1_17partition_subalgoE5ElNS0_10empty_typeEbEEZZNS1_14partition_implILS5_5ELb0ES3_mN6hipcub16HIPCUB_304000_NS21CountingInputIteratorIllEEPS6_NSA_22TransformInputIteratorIb7NonZeroIsEPslEENS0_5tupleIJPlS6_EEENSJ_IJSD_SD_EEES6_SK_JS6_EEE10hipError_tPvRmT3_T4_T5_T6_T7_T9_mT8_P12ihipStream_tbDpT10_ENKUlT_T0_E_clISt17integral_constantIbLb0EES15_IbLb1EEEEDaS11_S12_EUlS11_E_NS1_11comp_targetILNS1_3genE0ELNS1_11target_archE4294967295ELNS1_3gpuE0ELNS1_3repE0EEENS1_30default_config_static_selectorELNS0_4arch9wavefront6targetE1EEEvT1_
; %bb.0:
	.section	.rodata,"a",@progbits
	.p2align	6, 0x0
	.amdhsa_kernel _ZN7rocprim17ROCPRIM_400000_NS6detail17trampoline_kernelINS0_14default_configENS1_25partition_config_selectorILNS1_17partition_subalgoE5ElNS0_10empty_typeEbEEZZNS1_14partition_implILS5_5ELb0ES3_mN6hipcub16HIPCUB_304000_NS21CountingInputIteratorIllEEPS6_NSA_22TransformInputIteratorIb7NonZeroIsEPslEENS0_5tupleIJPlS6_EEENSJ_IJSD_SD_EEES6_SK_JS6_EEE10hipError_tPvRmT3_T4_T5_T6_T7_T9_mT8_P12ihipStream_tbDpT10_ENKUlT_T0_E_clISt17integral_constantIbLb0EES15_IbLb1EEEEDaS11_S12_EUlS11_E_NS1_11comp_targetILNS1_3genE0ELNS1_11target_archE4294967295ELNS1_3gpuE0ELNS1_3repE0EEENS1_30default_config_static_selectorELNS0_4arch9wavefront6targetE1EEEvT1_
		.amdhsa_group_segment_fixed_size 0
		.amdhsa_private_segment_fixed_size 0
		.amdhsa_kernarg_size 136
		.amdhsa_user_sgpr_count 6
		.amdhsa_user_sgpr_private_segment_buffer 1
		.amdhsa_user_sgpr_dispatch_ptr 0
		.amdhsa_user_sgpr_queue_ptr 0
		.amdhsa_user_sgpr_kernarg_segment_ptr 1
		.amdhsa_user_sgpr_dispatch_id 0
		.amdhsa_user_sgpr_flat_scratch_init 0
		.amdhsa_user_sgpr_private_segment_size 0
		.amdhsa_uses_dynamic_stack 0
		.amdhsa_system_sgpr_private_segment_wavefront_offset 0
		.amdhsa_system_sgpr_workgroup_id_x 1
		.amdhsa_system_sgpr_workgroup_id_y 0
		.amdhsa_system_sgpr_workgroup_id_z 0
		.amdhsa_system_sgpr_workgroup_info 0
		.amdhsa_system_vgpr_workitem_id 0
		.amdhsa_next_free_vgpr 1
		.amdhsa_next_free_sgpr 0
		.amdhsa_reserve_vcc 0
		.amdhsa_reserve_flat_scratch 0
		.amdhsa_float_round_mode_32 0
		.amdhsa_float_round_mode_16_64 0
		.amdhsa_float_denorm_mode_32 3
		.amdhsa_float_denorm_mode_16_64 3
		.amdhsa_dx10_clamp 1
		.amdhsa_ieee_mode 1
		.amdhsa_fp16_overflow 0
		.amdhsa_exception_fp_ieee_invalid_op 0
		.amdhsa_exception_fp_denorm_src 0
		.amdhsa_exception_fp_ieee_div_zero 0
		.amdhsa_exception_fp_ieee_overflow 0
		.amdhsa_exception_fp_ieee_underflow 0
		.amdhsa_exception_fp_ieee_inexact 0
		.amdhsa_exception_int_div_zero 0
	.end_amdhsa_kernel
	.section	.text._ZN7rocprim17ROCPRIM_400000_NS6detail17trampoline_kernelINS0_14default_configENS1_25partition_config_selectorILNS1_17partition_subalgoE5ElNS0_10empty_typeEbEEZZNS1_14partition_implILS5_5ELb0ES3_mN6hipcub16HIPCUB_304000_NS21CountingInputIteratorIllEEPS6_NSA_22TransformInputIteratorIb7NonZeroIsEPslEENS0_5tupleIJPlS6_EEENSJ_IJSD_SD_EEES6_SK_JS6_EEE10hipError_tPvRmT3_T4_T5_T6_T7_T9_mT8_P12ihipStream_tbDpT10_ENKUlT_T0_E_clISt17integral_constantIbLb0EES15_IbLb1EEEEDaS11_S12_EUlS11_E_NS1_11comp_targetILNS1_3genE0ELNS1_11target_archE4294967295ELNS1_3gpuE0ELNS1_3repE0EEENS1_30default_config_static_selectorELNS0_4arch9wavefront6targetE1EEEvT1_,"axG",@progbits,_ZN7rocprim17ROCPRIM_400000_NS6detail17trampoline_kernelINS0_14default_configENS1_25partition_config_selectorILNS1_17partition_subalgoE5ElNS0_10empty_typeEbEEZZNS1_14partition_implILS5_5ELb0ES3_mN6hipcub16HIPCUB_304000_NS21CountingInputIteratorIllEEPS6_NSA_22TransformInputIteratorIb7NonZeroIsEPslEENS0_5tupleIJPlS6_EEENSJ_IJSD_SD_EEES6_SK_JS6_EEE10hipError_tPvRmT3_T4_T5_T6_T7_T9_mT8_P12ihipStream_tbDpT10_ENKUlT_T0_E_clISt17integral_constantIbLb0EES15_IbLb1EEEEDaS11_S12_EUlS11_E_NS1_11comp_targetILNS1_3genE0ELNS1_11target_archE4294967295ELNS1_3gpuE0ELNS1_3repE0EEENS1_30default_config_static_selectorELNS0_4arch9wavefront6targetE1EEEvT1_,comdat
.Lfunc_end141:
	.size	_ZN7rocprim17ROCPRIM_400000_NS6detail17trampoline_kernelINS0_14default_configENS1_25partition_config_selectorILNS1_17partition_subalgoE5ElNS0_10empty_typeEbEEZZNS1_14partition_implILS5_5ELb0ES3_mN6hipcub16HIPCUB_304000_NS21CountingInputIteratorIllEEPS6_NSA_22TransformInputIteratorIb7NonZeroIsEPslEENS0_5tupleIJPlS6_EEENSJ_IJSD_SD_EEES6_SK_JS6_EEE10hipError_tPvRmT3_T4_T5_T6_T7_T9_mT8_P12ihipStream_tbDpT10_ENKUlT_T0_E_clISt17integral_constantIbLb0EES15_IbLb1EEEEDaS11_S12_EUlS11_E_NS1_11comp_targetILNS1_3genE0ELNS1_11target_archE4294967295ELNS1_3gpuE0ELNS1_3repE0EEENS1_30default_config_static_selectorELNS0_4arch9wavefront6targetE1EEEvT1_, .Lfunc_end141-_ZN7rocprim17ROCPRIM_400000_NS6detail17trampoline_kernelINS0_14default_configENS1_25partition_config_selectorILNS1_17partition_subalgoE5ElNS0_10empty_typeEbEEZZNS1_14partition_implILS5_5ELb0ES3_mN6hipcub16HIPCUB_304000_NS21CountingInputIteratorIllEEPS6_NSA_22TransformInputIteratorIb7NonZeroIsEPslEENS0_5tupleIJPlS6_EEENSJ_IJSD_SD_EEES6_SK_JS6_EEE10hipError_tPvRmT3_T4_T5_T6_T7_T9_mT8_P12ihipStream_tbDpT10_ENKUlT_T0_E_clISt17integral_constantIbLb0EES15_IbLb1EEEEDaS11_S12_EUlS11_E_NS1_11comp_targetILNS1_3genE0ELNS1_11target_archE4294967295ELNS1_3gpuE0ELNS1_3repE0EEENS1_30default_config_static_selectorELNS0_4arch9wavefront6targetE1EEEvT1_
                                        ; -- End function
	.set _ZN7rocprim17ROCPRIM_400000_NS6detail17trampoline_kernelINS0_14default_configENS1_25partition_config_selectorILNS1_17partition_subalgoE5ElNS0_10empty_typeEbEEZZNS1_14partition_implILS5_5ELb0ES3_mN6hipcub16HIPCUB_304000_NS21CountingInputIteratorIllEEPS6_NSA_22TransformInputIteratorIb7NonZeroIsEPslEENS0_5tupleIJPlS6_EEENSJ_IJSD_SD_EEES6_SK_JS6_EEE10hipError_tPvRmT3_T4_T5_T6_T7_T9_mT8_P12ihipStream_tbDpT10_ENKUlT_T0_E_clISt17integral_constantIbLb0EES15_IbLb1EEEEDaS11_S12_EUlS11_E_NS1_11comp_targetILNS1_3genE0ELNS1_11target_archE4294967295ELNS1_3gpuE0ELNS1_3repE0EEENS1_30default_config_static_selectorELNS0_4arch9wavefront6targetE1EEEvT1_.num_vgpr, 0
	.set _ZN7rocprim17ROCPRIM_400000_NS6detail17trampoline_kernelINS0_14default_configENS1_25partition_config_selectorILNS1_17partition_subalgoE5ElNS0_10empty_typeEbEEZZNS1_14partition_implILS5_5ELb0ES3_mN6hipcub16HIPCUB_304000_NS21CountingInputIteratorIllEEPS6_NSA_22TransformInputIteratorIb7NonZeroIsEPslEENS0_5tupleIJPlS6_EEENSJ_IJSD_SD_EEES6_SK_JS6_EEE10hipError_tPvRmT3_T4_T5_T6_T7_T9_mT8_P12ihipStream_tbDpT10_ENKUlT_T0_E_clISt17integral_constantIbLb0EES15_IbLb1EEEEDaS11_S12_EUlS11_E_NS1_11comp_targetILNS1_3genE0ELNS1_11target_archE4294967295ELNS1_3gpuE0ELNS1_3repE0EEENS1_30default_config_static_selectorELNS0_4arch9wavefront6targetE1EEEvT1_.num_agpr, 0
	.set _ZN7rocprim17ROCPRIM_400000_NS6detail17trampoline_kernelINS0_14default_configENS1_25partition_config_selectorILNS1_17partition_subalgoE5ElNS0_10empty_typeEbEEZZNS1_14partition_implILS5_5ELb0ES3_mN6hipcub16HIPCUB_304000_NS21CountingInputIteratorIllEEPS6_NSA_22TransformInputIteratorIb7NonZeroIsEPslEENS0_5tupleIJPlS6_EEENSJ_IJSD_SD_EEES6_SK_JS6_EEE10hipError_tPvRmT3_T4_T5_T6_T7_T9_mT8_P12ihipStream_tbDpT10_ENKUlT_T0_E_clISt17integral_constantIbLb0EES15_IbLb1EEEEDaS11_S12_EUlS11_E_NS1_11comp_targetILNS1_3genE0ELNS1_11target_archE4294967295ELNS1_3gpuE0ELNS1_3repE0EEENS1_30default_config_static_selectorELNS0_4arch9wavefront6targetE1EEEvT1_.numbered_sgpr, 0
	.set _ZN7rocprim17ROCPRIM_400000_NS6detail17trampoline_kernelINS0_14default_configENS1_25partition_config_selectorILNS1_17partition_subalgoE5ElNS0_10empty_typeEbEEZZNS1_14partition_implILS5_5ELb0ES3_mN6hipcub16HIPCUB_304000_NS21CountingInputIteratorIllEEPS6_NSA_22TransformInputIteratorIb7NonZeroIsEPslEENS0_5tupleIJPlS6_EEENSJ_IJSD_SD_EEES6_SK_JS6_EEE10hipError_tPvRmT3_T4_T5_T6_T7_T9_mT8_P12ihipStream_tbDpT10_ENKUlT_T0_E_clISt17integral_constantIbLb0EES15_IbLb1EEEEDaS11_S12_EUlS11_E_NS1_11comp_targetILNS1_3genE0ELNS1_11target_archE4294967295ELNS1_3gpuE0ELNS1_3repE0EEENS1_30default_config_static_selectorELNS0_4arch9wavefront6targetE1EEEvT1_.num_named_barrier, 0
	.set _ZN7rocprim17ROCPRIM_400000_NS6detail17trampoline_kernelINS0_14default_configENS1_25partition_config_selectorILNS1_17partition_subalgoE5ElNS0_10empty_typeEbEEZZNS1_14partition_implILS5_5ELb0ES3_mN6hipcub16HIPCUB_304000_NS21CountingInputIteratorIllEEPS6_NSA_22TransformInputIteratorIb7NonZeroIsEPslEENS0_5tupleIJPlS6_EEENSJ_IJSD_SD_EEES6_SK_JS6_EEE10hipError_tPvRmT3_T4_T5_T6_T7_T9_mT8_P12ihipStream_tbDpT10_ENKUlT_T0_E_clISt17integral_constantIbLb0EES15_IbLb1EEEEDaS11_S12_EUlS11_E_NS1_11comp_targetILNS1_3genE0ELNS1_11target_archE4294967295ELNS1_3gpuE0ELNS1_3repE0EEENS1_30default_config_static_selectorELNS0_4arch9wavefront6targetE1EEEvT1_.private_seg_size, 0
	.set _ZN7rocprim17ROCPRIM_400000_NS6detail17trampoline_kernelINS0_14default_configENS1_25partition_config_selectorILNS1_17partition_subalgoE5ElNS0_10empty_typeEbEEZZNS1_14partition_implILS5_5ELb0ES3_mN6hipcub16HIPCUB_304000_NS21CountingInputIteratorIllEEPS6_NSA_22TransformInputIteratorIb7NonZeroIsEPslEENS0_5tupleIJPlS6_EEENSJ_IJSD_SD_EEES6_SK_JS6_EEE10hipError_tPvRmT3_T4_T5_T6_T7_T9_mT8_P12ihipStream_tbDpT10_ENKUlT_T0_E_clISt17integral_constantIbLb0EES15_IbLb1EEEEDaS11_S12_EUlS11_E_NS1_11comp_targetILNS1_3genE0ELNS1_11target_archE4294967295ELNS1_3gpuE0ELNS1_3repE0EEENS1_30default_config_static_selectorELNS0_4arch9wavefront6targetE1EEEvT1_.uses_vcc, 0
	.set _ZN7rocprim17ROCPRIM_400000_NS6detail17trampoline_kernelINS0_14default_configENS1_25partition_config_selectorILNS1_17partition_subalgoE5ElNS0_10empty_typeEbEEZZNS1_14partition_implILS5_5ELb0ES3_mN6hipcub16HIPCUB_304000_NS21CountingInputIteratorIllEEPS6_NSA_22TransformInputIteratorIb7NonZeroIsEPslEENS0_5tupleIJPlS6_EEENSJ_IJSD_SD_EEES6_SK_JS6_EEE10hipError_tPvRmT3_T4_T5_T6_T7_T9_mT8_P12ihipStream_tbDpT10_ENKUlT_T0_E_clISt17integral_constantIbLb0EES15_IbLb1EEEEDaS11_S12_EUlS11_E_NS1_11comp_targetILNS1_3genE0ELNS1_11target_archE4294967295ELNS1_3gpuE0ELNS1_3repE0EEENS1_30default_config_static_selectorELNS0_4arch9wavefront6targetE1EEEvT1_.uses_flat_scratch, 0
	.set _ZN7rocprim17ROCPRIM_400000_NS6detail17trampoline_kernelINS0_14default_configENS1_25partition_config_selectorILNS1_17partition_subalgoE5ElNS0_10empty_typeEbEEZZNS1_14partition_implILS5_5ELb0ES3_mN6hipcub16HIPCUB_304000_NS21CountingInputIteratorIllEEPS6_NSA_22TransformInputIteratorIb7NonZeroIsEPslEENS0_5tupleIJPlS6_EEENSJ_IJSD_SD_EEES6_SK_JS6_EEE10hipError_tPvRmT3_T4_T5_T6_T7_T9_mT8_P12ihipStream_tbDpT10_ENKUlT_T0_E_clISt17integral_constantIbLb0EES15_IbLb1EEEEDaS11_S12_EUlS11_E_NS1_11comp_targetILNS1_3genE0ELNS1_11target_archE4294967295ELNS1_3gpuE0ELNS1_3repE0EEENS1_30default_config_static_selectorELNS0_4arch9wavefront6targetE1EEEvT1_.has_dyn_sized_stack, 0
	.set _ZN7rocprim17ROCPRIM_400000_NS6detail17trampoline_kernelINS0_14default_configENS1_25partition_config_selectorILNS1_17partition_subalgoE5ElNS0_10empty_typeEbEEZZNS1_14partition_implILS5_5ELb0ES3_mN6hipcub16HIPCUB_304000_NS21CountingInputIteratorIllEEPS6_NSA_22TransformInputIteratorIb7NonZeroIsEPslEENS0_5tupleIJPlS6_EEENSJ_IJSD_SD_EEES6_SK_JS6_EEE10hipError_tPvRmT3_T4_T5_T6_T7_T9_mT8_P12ihipStream_tbDpT10_ENKUlT_T0_E_clISt17integral_constantIbLb0EES15_IbLb1EEEEDaS11_S12_EUlS11_E_NS1_11comp_targetILNS1_3genE0ELNS1_11target_archE4294967295ELNS1_3gpuE0ELNS1_3repE0EEENS1_30default_config_static_selectorELNS0_4arch9wavefront6targetE1EEEvT1_.has_recursion, 0
	.set _ZN7rocprim17ROCPRIM_400000_NS6detail17trampoline_kernelINS0_14default_configENS1_25partition_config_selectorILNS1_17partition_subalgoE5ElNS0_10empty_typeEbEEZZNS1_14partition_implILS5_5ELb0ES3_mN6hipcub16HIPCUB_304000_NS21CountingInputIteratorIllEEPS6_NSA_22TransformInputIteratorIb7NonZeroIsEPslEENS0_5tupleIJPlS6_EEENSJ_IJSD_SD_EEES6_SK_JS6_EEE10hipError_tPvRmT3_T4_T5_T6_T7_T9_mT8_P12ihipStream_tbDpT10_ENKUlT_T0_E_clISt17integral_constantIbLb0EES15_IbLb1EEEEDaS11_S12_EUlS11_E_NS1_11comp_targetILNS1_3genE0ELNS1_11target_archE4294967295ELNS1_3gpuE0ELNS1_3repE0EEENS1_30default_config_static_selectorELNS0_4arch9wavefront6targetE1EEEvT1_.has_indirect_call, 0
	.section	.AMDGPU.csdata,"",@progbits
; Kernel info:
; codeLenInByte = 0
; TotalNumSgprs: 4
; NumVgprs: 0
; ScratchSize: 0
; MemoryBound: 0
; FloatMode: 240
; IeeeMode: 1
; LDSByteSize: 0 bytes/workgroup (compile time only)
; SGPRBlocks: 0
; VGPRBlocks: 0
; NumSGPRsForWavesPerEU: 4
; NumVGPRsForWavesPerEU: 1
; Occupancy: 10
; WaveLimiterHint : 0
; COMPUTE_PGM_RSRC2:SCRATCH_EN: 0
; COMPUTE_PGM_RSRC2:USER_SGPR: 6
; COMPUTE_PGM_RSRC2:TRAP_HANDLER: 0
; COMPUTE_PGM_RSRC2:TGID_X_EN: 1
; COMPUTE_PGM_RSRC2:TGID_Y_EN: 0
; COMPUTE_PGM_RSRC2:TGID_Z_EN: 0
; COMPUTE_PGM_RSRC2:TIDIG_COMP_CNT: 0
	.section	.text._ZN7rocprim17ROCPRIM_400000_NS6detail17trampoline_kernelINS0_14default_configENS1_25partition_config_selectorILNS1_17partition_subalgoE5ElNS0_10empty_typeEbEEZZNS1_14partition_implILS5_5ELb0ES3_mN6hipcub16HIPCUB_304000_NS21CountingInputIteratorIllEEPS6_NSA_22TransformInputIteratorIb7NonZeroIsEPslEENS0_5tupleIJPlS6_EEENSJ_IJSD_SD_EEES6_SK_JS6_EEE10hipError_tPvRmT3_T4_T5_T6_T7_T9_mT8_P12ihipStream_tbDpT10_ENKUlT_T0_E_clISt17integral_constantIbLb0EES15_IbLb1EEEEDaS11_S12_EUlS11_E_NS1_11comp_targetILNS1_3genE5ELNS1_11target_archE942ELNS1_3gpuE9ELNS1_3repE0EEENS1_30default_config_static_selectorELNS0_4arch9wavefront6targetE1EEEvT1_,"axG",@progbits,_ZN7rocprim17ROCPRIM_400000_NS6detail17trampoline_kernelINS0_14default_configENS1_25partition_config_selectorILNS1_17partition_subalgoE5ElNS0_10empty_typeEbEEZZNS1_14partition_implILS5_5ELb0ES3_mN6hipcub16HIPCUB_304000_NS21CountingInputIteratorIllEEPS6_NSA_22TransformInputIteratorIb7NonZeroIsEPslEENS0_5tupleIJPlS6_EEENSJ_IJSD_SD_EEES6_SK_JS6_EEE10hipError_tPvRmT3_T4_T5_T6_T7_T9_mT8_P12ihipStream_tbDpT10_ENKUlT_T0_E_clISt17integral_constantIbLb0EES15_IbLb1EEEEDaS11_S12_EUlS11_E_NS1_11comp_targetILNS1_3genE5ELNS1_11target_archE942ELNS1_3gpuE9ELNS1_3repE0EEENS1_30default_config_static_selectorELNS0_4arch9wavefront6targetE1EEEvT1_,comdat
	.protected	_ZN7rocprim17ROCPRIM_400000_NS6detail17trampoline_kernelINS0_14default_configENS1_25partition_config_selectorILNS1_17partition_subalgoE5ElNS0_10empty_typeEbEEZZNS1_14partition_implILS5_5ELb0ES3_mN6hipcub16HIPCUB_304000_NS21CountingInputIteratorIllEEPS6_NSA_22TransformInputIteratorIb7NonZeroIsEPslEENS0_5tupleIJPlS6_EEENSJ_IJSD_SD_EEES6_SK_JS6_EEE10hipError_tPvRmT3_T4_T5_T6_T7_T9_mT8_P12ihipStream_tbDpT10_ENKUlT_T0_E_clISt17integral_constantIbLb0EES15_IbLb1EEEEDaS11_S12_EUlS11_E_NS1_11comp_targetILNS1_3genE5ELNS1_11target_archE942ELNS1_3gpuE9ELNS1_3repE0EEENS1_30default_config_static_selectorELNS0_4arch9wavefront6targetE1EEEvT1_ ; -- Begin function _ZN7rocprim17ROCPRIM_400000_NS6detail17trampoline_kernelINS0_14default_configENS1_25partition_config_selectorILNS1_17partition_subalgoE5ElNS0_10empty_typeEbEEZZNS1_14partition_implILS5_5ELb0ES3_mN6hipcub16HIPCUB_304000_NS21CountingInputIteratorIllEEPS6_NSA_22TransformInputIteratorIb7NonZeroIsEPslEENS0_5tupleIJPlS6_EEENSJ_IJSD_SD_EEES6_SK_JS6_EEE10hipError_tPvRmT3_T4_T5_T6_T7_T9_mT8_P12ihipStream_tbDpT10_ENKUlT_T0_E_clISt17integral_constantIbLb0EES15_IbLb1EEEEDaS11_S12_EUlS11_E_NS1_11comp_targetILNS1_3genE5ELNS1_11target_archE942ELNS1_3gpuE9ELNS1_3repE0EEENS1_30default_config_static_selectorELNS0_4arch9wavefront6targetE1EEEvT1_
	.globl	_ZN7rocprim17ROCPRIM_400000_NS6detail17trampoline_kernelINS0_14default_configENS1_25partition_config_selectorILNS1_17partition_subalgoE5ElNS0_10empty_typeEbEEZZNS1_14partition_implILS5_5ELb0ES3_mN6hipcub16HIPCUB_304000_NS21CountingInputIteratorIllEEPS6_NSA_22TransformInputIteratorIb7NonZeroIsEPslEENS0_5tupleIJPlS6_EEENSJ_IJSD_SD_EEES6_SK_JS6_EEE10hipError_tPvRmT3_T4_T5_T6_T7_T9_mT8_P12ihipStream_tbDpT10_ENKUlT_T0_E_clISt17integral_constantIbLb0EES15_IbLb1EEEEDaS11_S12_EUlS11_E_NS1_11comp_targetILNS1_3genE5ELNS1_11target_archE942ELNS1_3gpuE9ELNS1_3repE0EEENS1_30default_config_static_selectorELNS0_4arch9wavefront6targetE1EEEvT1_
	.p2align	8
	.type	_ZN7rocprim17ROCPRIM_400000_NS6detail17trampoline_kernelINS0_14default_configENS1_25partition_config_selectorILNS1_17partition_subalgoE5ElNS0_10empty_typeEbEEZZNS1_14partition_implILS5_5ELb0ES3_mN6hipcub16HIPCUB_304000_NS21CountingInputIteratorIllEEPS6_NSA_22TransformInputIteratorIb7NonZeroIsEPslEENS0_5tupleIJPlS6_EEENSJ_IJSD_SD_EEES6_SK_JS6_EEE10hipError_tPvRmT3_T4_T5_T6_T7_T9_mT8_P12ihipStream_tbDpT10_ENKUlT_T0_E_clISt17integral_constantIbLb0EES15_IbLb1EEEEDaS11_S12_EUlS11_E_NS1_11comp_targetILNS1_3genE5ELNS1_11target_archE942ELNS1_3gpuE9ELNS1_3repE0EEENS1_30default_config_static_selectorELNS0_4arch9wavefront6targetE1EEEvT1_,@function
_ZN7rocprim17ROCPRIM_400000_NS6detail17trampoline_kernelINS0_14default_configENS1_25partition_config_selectorILNS1_17partition_subalgoE5ElNS0_10empty_typeEbEEZZNS1_14partition_implILS5_5ELb0ES3_mN6hipcub16HIPCUB_304000_NS21CountingInputIteratorIllEEPS6_NSA_22TransformInputIteratorIb7NonZeroIsEPslEENS0_5tupleIJPlS6_EEENSJ_IJSD_SD_EEES6_SK_JS6_EEE10hipError_tPvRmT3_T4_T5_T6_T7_T9_mT8_P12ihipStream_tbDpT10_ENKUlT_T0_E_clISt17integral_constantIbLb0EES15_IbLb1EEEEDaS11_S12_EUlS11_E_NS1_11comp_targetILNS1_3genE5ELNS1_11target_archE942ELNS1_3gpuE9ELNS1_3repE0EEENS1_30default_config_static_selectorELNS0_4arch9wavefront6targetE1EEEvT1_: ; @_ZN7rocprim17ROCPRIM_400000_NS6detail17trampoline_kernelINS0_14default_configENS1_25partition_config_selectorILNS1_17partition_subalgoE5ElNS0_10empty_typeEbEEZZNS1_14partition_implILS5_5ELb0ES3_mN6hipcub16HIPCUB_304000_NS21CountingInputIteratorIllEEPS6_NSA_22TransformInputIteratorIb7NonZeroIsEPslEENS0_5tupleIJPlS6_EEENSJ_IJSD_SD_EEES6_SK_JS6_EEE10hipError_tPvRmT3_T4_T5_T6_T7_T9_mT8_P12ihipStream_tbDpT10_ENKUlT_T0_E_clISt17integral_constantIbLb0EES15_IbLb1EEEEDaS11_S12_EUlS11_E_NS1_11comp_targetILNS1_3genE5ELNS1_11target_archE942ELNS1_3gpuE9ELNS1_3repE0EEENS1_30default_config_static_selectorELNS0_4arch9wavefront6targetE1EEEvT1_
; %bb.0:
	.section	.rodata,"a",@progbits
	.p2align	6, 0x0
	.amdhsa_kernel _ZN7rocprim17ROCPRIM_400000_NS6detail17trampoline_kernelINS0_14default_configENS1_25partition_config_selectorILNS1_17partition_subalgoE5ElNS0_10empty_typeEbEEZZNS1_14partition_implILS5_5ELb0ES3_mN6hipcub16HIPCUB_304000_NS21CountingInputIteratorIllEEPS6_NSA_22TransformInputIteratorIb7NonZeroIsEPslEENS0_5tupleIJPlS6_EEENSJ_IJSD_SD_EEES6_SK_JS6_EEE10hipError_tPvRmT3_T4_T5_T6_T7_T9_mT8_P12ihipStream_tbDpT10_ENKUlT_T0_E_clISt17integral_constantIbLb0EES15_IbLb1EEEEDaS11_S12_EUlS11_E_NS1_11comp_targetILNS1_3genE5ELNS1_11target_archE942ELNS1_3gpuE9ELNS1_3repE0EEENS1_30default_config_static_selectorELNS0_4arch9wavefront6targetE1EEEvT1_
		.amdhsa_group_segment_fixed_size 0
		.amdhsa_private_segment_fixed_size 0
		.amdhsa_kernarg_size 136
		.amdhsa_user_sgpr_count 6
		.amdhsa_user_sgpr_private_segment_buffer 1
		.amdhsa_user_sgpr_dispatch_ptr 0
		.amdhsa_user_sgpr_queue_ptr 0
		.amdhsa_user_sgpr_kernarg_segment_ptr 1
		.amdhsa_user_sgpr_dispatch_id 0
		.amdhsa_user_sgpr_flat_scratch_init 0
		.amdhsa_user_sgpr_private_segment_size 0
		.amdhsa_uses_dynamic_stack 0
		.amdhsa_system_sgpr_private_segment_wavefront_offset 0
		.amdhsa_system_sgpr_workgroup_id_x 1
		.amdhsa_system_sgpr_workgroup_id_y 0
		.amdhsa_system_sgpr_workgroup_id_z 0
		.amdhsa_system_sgpr_workgroup_info 0
		.amdhsa_system_vgpr_workitem_id 0
		.amdhsa_next_free_vgpr 1
		.amdhsa_next_free_sgpr 0
		.amdhsa_reserve_vcc 0
		.amdhsa_reserve_flat_scratch 0
		.amdhsa_float_round_mode_32 0
		.amdhsa_float_round_mode_16_64 0
		.amdhsa_float_denorm_mode_32 3
		.amdhsa_float_denorm_mode_16_64 3
		.amdhsa_dx10_clamp 1
		.amdhsa_ieee_mode 1
		.amdhsa_fp16_overflow 0
		.amdhsa_exception_fp_ieee_invalid_op 0
		.amdhsa_exception_fp_denorm_src 0
		.amdhsa_exception_fp_ieee_div_zero 0
		.amdhsa_exception_fp_ieee_overflow 0
		.amdhsa_exception_fp_ieee_underflow 0
		.amdhsa_exception_fp_ieee_inexact 0
		.amdhsa_exception_int_div_zero 0
	.end_amdhsa_kernel
	.section	.text._ZN7rocprim17ROCPRIM_400000_NS6detail17trampoline_kernelINS0_14default_configENS1_25partition_config_selectorILNS1_17partition_subalgoE5ElNS0_10empty_typeEbEEZZNS1_14partition_implILS5_5ELb0ES3_mN6hipcub16HIPCUB_304000_NS21CountingInputIteratorIllEEPS6_NSA_22TransformInputIteratorIb7NonZeroIsEPslEENS0_5tupleIJPlS6_EEENSJ_IJSD_SD_EEES6_SK_JS6_EEE10hipError_tPvRmT3_T4_T5_T6_T7_T9_mT8_P12ihipStream_tbDpT10_ENKUlT_T0_E_clISt17integral_constantIbLb0EES15_IbLb1EEEEDaS11_S12_EUlS11_E_NS1_11comp_targetILNS1_3genE5ELNS1_11target_archE942ELNS1_3gpuE9ELNS1_3repE0EEENS1_30default_config_static_selectorELNS0_4arch9wavefront6targetE1EEEvT1_,"axG",@progbits,_ZN7rocprim17ROCPRIM_400000_NS6detail17trampoline_kernelINS0_14default_configENS1_25partition_config_selectorILNS1_17partition_subalgoE5ElNS0_10empty_typeEbEEZZNS1_14partition_implILS5_5ELb0ES3_mN6hipcub16HIPCUB_304000_NS21CountingInputIteratorIllEEPS6_NSA_22TransformInputIteratorIb7NonZeroIsEPslEENS0_5tupleIJPlS6_EEENSJ_IJSD_SD_EEES6_SK_JS6_EEE10hipError_tPvRmT3_T4_T5_T6_T7_T9_mT8_P12ihipStream_tbDpT10_ENKUlT_T0_E_clISt17integral_constantIbLb0EES15_IbLb1EEEEDaS11_S12_EUlS11_E_NS1_11comp_targetILNS1_3genE5ELNS1_11target_archE942ELNS1_3gpuE9ELNS1_3repE0EEENS1_30default_config_static_selectorELNS0_4arch9wavefront6targetE1EEEvT1_,comdat
.Lfunc_end142:
	.size	_ZN7rocprim17ROCPRIM_400000_NS6detail17trampoline_kernelINS0_14default_configENS1_25partition_config_selectorILNS1_17partition_subalgoE5ElNS0_10empty_typeEbEEZZNS1_14partition_implILS5_5ELb0ES3_mN6hipcub16HIPCUB_304000_NS21CountingInputIteratorIllEEPS6_NSA_22TransformInputIteratorIb7NonZeroIsEPslEENS0_5tupleIJPlS6_EEENSJ_IJSD_SD_EEES6_SK_JS6_EEE10hipError_tPvRmT3_T4_T5_T6_T7_T9_mT8_P12ihipStream_tbDpT10_ENKUlT_T0_E_clISt17integral_constantIbLb0EES15_IbLb1EEEEDaS11_S12_EUlS11_E_NS1_11comp_targetILNS1_3genE5ELNS1_11target_archE942ELNS1_3gpuE9ELNS1_3repE0EEENS1_30default_config_static_selectorELNS0_4arch9wavefront6targetE1EEEvT1_, .Lfunc_end142-_ZN7rocprim17ROCPRIM_400000_NS6detail17trampoline_kernelINS0_14default_configENS1_25partition_config_selectorILNS1_17partition_subalgoE5ElNS0_10empty_typeEbEEZZNS1_14partition_implILS5_5ELb0ES3_mN6hipcub16HIPCUB_304000_NS21CountingInputIteratorIllEEPS6_NSA_22TransformInputIteratorIb7NonZeroIsEPslEENS0_5tupleIJPlS6_EEENSJ_IJSD_SD_EEES6_SK_JS6_EEE10hipError_tPvRmT3_T4_T5_T6_T7_T9_mT8_P12ihipStream_tbDpT10_ENKUlT_T0_E_clISt17integral_constantIbLb0EES15_IbLb1EEEEDaS11_S12_EUlS11_E_NS1_11comp_targetILNS1_3genE5ELNS1_11target_archE942ELNS1_3gpuE9ELNS1_3repE0EEENS1_30default_config_static_selectorELNS0_4arch9wavefront6targetE1EEEvT1_
                                        ; -- End function
	.set _ZN7rocprim17ROCPRIM_400000_NS6detail17trampoline_kernelINS0_14default_configENS1_25partition_config_selectorILNS1_17partition_subalgoE5ElNS0_10empty_typeEbEEZZNS1_14partition_implILS5_5ELb0ES3_mN6hipcub16HIPCUB_304000_NS21CountingInputIteratorIllEEPS6_NSA_22TransformInputIteratorIb7NonZeroIsEPslEENS0_5tupleIJPlS6_EEENSJ_IJSD_SD_EEES6_SK_JS6_EEE10hipError_tPvRmT3_T4_T5_T6_T7_T9_mT8_P12ihipStream_tbDpT10_ENKUlT_T0_E_clISt17integral_constantIbLb0EES15_IbLb1EEEEDaS11_S12_EUlS11_E_NS1_11comp_targetILNS1_3genE5ELNS1_11target_archE942ELNS1_3gpuE9ELNS1_3repE0EEENS1_30default_config_static_selectorELNS0_4arch9wavefront6targetE1EEEvT1_.num_vgpr, 0
	.set _ZN7rocprim17ROCPRIM_400000_NS6detail17trampoline_kernelINS0_14default_configENS1_25partition_config_selectorILNS1_17partition_subalgoE5ElNS0_10empty_typeEbEEZZNS1_14partition_implILS5_5ELb0ES3_mN6hipcub16HIPCUB_304000_NS21CountingInputIteratorIllEEPS6_NSA_22TransformInputIteratorIb7NonZeroIsEPslEENS0_5tupleIJPlS6_EEENSJ_IJSD_SD_EEES6_SK_JS6_EEE10hipError_tPvRmT3_T4_T5_T6_T7_T9_mT8_P12ihipStream_tbDpT10_ENKUlT_T0_E_clISt17integral_constantIbLb0EES15_IbLb1EEEEDaS11_S12_EUlS11_E_NS1_11comp_targetILNS1_3genE5ELNS1_11target_archE942ELNS1_3gpuE9ELNS1_3repE0EEENS1_30default_config_static_selectorELNS0_4arch9wavefront6targetE1EEEvT1_.num_agpr, 0
	.set _ZN7rocprim17ROCPRIM_400000_NS6detail17trampoline_kernelINS0_14default_configENS1_25partition_config_selectorILNS1_17partition_subalgoE5ElNS0_10empty_typeEbEEZZNS1_14partition_implILS5_5ELb0ES3_mN6hipcub16HIPCUB_304000_NS21CountingInputIteratorIllEEPS6_NSA_22TransformInputIteratorIb7NonZeroIsEPslEENS0_5tupleIJPlS6_EEENSJ_IJSD_SD_EEES6_SK_JS6_EEE10hipError_tPvRmT3_T4_T5_T6_T7_T9_mT8_P12ihipStream_tbDpT10_ENKUlT_T0_E_clISt17integral_constantIbLb0EES15_IbLb1EEEEDaS11_S12_EUlS11_E_NS1_11comp_targetILNS1_3genE5ELNS1_11target_archE942ELNS1_3gpuE9ELNS1_3repE0EEENS1_30default_config_static_selectorELNS0_4arch9wavefront6targetE1EEEvT1_.numbered_sgpr, 0
	.set _ZN7rocprim17ROCPRIM_400000_NS6detail17trampoline_kernelINS0_14default_configENS1_25partition_config_selectorILNS1_17partition_subalgoE5ElNS0_10empty_typeEbEEZZNS1_14partition_implILS5_5ELb0ES3_mN6hipcub16HIPCUB_304000_NS21CountingInputIteratorIllEEPS6_NSA_22TransformInputIteratorIb7NonZeroIsEPslEENS0_5tupleIJPlS6_EEENSJ_IJSD_SD_EEES6_SK_JS6_EEE10hipError_tPvRmT3_T4_T5_T6_T7_T9_mT8_P12ihipStream_tbDpT10_ENKUlT_T0_E_clISt17integral_constantIbLb0EES15_IbLb1EEEEDaS11_S12_EUlS11_E_NS1_11comp_targetILNS1_3genE5ELNS1_11target_archE942ELNS1_3gpuE9ELNS1_3repE0EEENS1_30default_config_static_selectorELNS0_4arch9wavefront6targetE1EEEvT1_.num_named_barrier, 0
	.set _ZN7rocprim17ROCPRIM_400000_NS6detail17trampoline_kernelINS0_14default_configENS1_25partition_config_selectorILNS1_17partition_subalgoE5ElNS0_10empty_typeEbEEZZNS1_14partition_implILS5_5ELb0ES3_mN6hipcub16HIPCUB_304000_NS21CountingInputIteratorIllEEPS6_NSA_22TransformInputIteratorIb7NonZeroIsEPslEENS0_5tupleIJPlS6_EEENSJ_IJSD_SD_EEES6_SK_JS6_EEE10hipError_tPvRmT3_T4_T5_T6_T7_T9_mT8_P12ihipStream_tbDpT10_ENKUlT_T0_E_clISt17integral_constantIbLb0EES15_IbLb1EEEEDaS11_S12_EUlS11_E_NS1_11comp_targetILNS1_3genE5ELNS1_11target_archE942ELNS1_3gpuE9ELNS1_3repE0EEENS1_30default_config_static_selectorELNS0_4arch9wavefront6targetE1EEEvT1_.private_seg_size, 0
	.set _ZN7rocprim17ROCPRIM_400000_NS6detail17trampoline_kernelINS0_14default_configENS1_25partition_config_selectorILNS1_17partition_subalgoE5ElNS0_10empty_typeEbEEZZNS1_14partition_implILS5_5ELb0ES3_mN6hipcub16HIPCUB_304000_NS21CountingInputIteratorIllEEPS6_NSA_22TransformInputIteratorIb7NonZeroIsEPslEENS0_5tupleIJPlS6_EEENSJ_IJSD_SD_EEES6_SK_JS6_EEE10hipError_tPvRmT3_T4_T5_T6_T7_T9_mT8_P12ihipStream_tbDpT10_ENKUlT_T0_E_clISt17integral_constantIbLb0EES15_IbLb1EEEEDaS11_S12_EUlS11_E_NS1_11comp_targetILNS1_3genE5ELNS1_11target_archE942ELNS1_3gpuE9ELNS1_3repE0EEENS1_30default_config_static_selectorELNS0_4arch9wavefront6targetE1EEEvT1_.uses_vcc, 0
	.set _ZN7rocprim17ROCPRIM_400000_NS6detail17trampoline_kernelINS0_14default_configENS1_25partition_config_selectorILNS1_17partition_subalgoE5ElNS0_10empty_typeEbEEZZNS1_14partition_implILS5_5ELb0ES3_mN6hipcub16HIPCUB_304000_NS21CountingInputIteratorIllEEPS6_NSA_22TransformInputIteratorIb7NonZeroIsEPslEENS0_5tupleIJPlS6_EEENSJ_IJSD_SD_EEES6_SK_JS6_EEE10hipError_tPvRmT3_T4_T5_T6_T7_T9_mT8_P12ihipStream_tbDpT10_ENKUlT_T0_E_clISt17integral_constantIbLb0EES15_IbLb1EEEEDaS11_S12_EUlS11_E_NS1_11comp_targetILNS1_3genE5ELNS1_11target_archE942ELNS1_3gpuE9ELNS1_3repE0EEENS1_30default_config_static_selectorELNS0_4arch9wavefront6targetE1EEEvT1_.uses_flat_scratch, 0
	.set _ZN7rocprim17ROCPRIM_400000_NS6detail17trampoline_kernelINS0_14default_configENS1_25partition_config_selectorILNS1_17partition_subalgoE5ElNS0_10empty_typeEbEEZZNS1_14partition_implILS5_5ELb0ES3_mN6hipcub16HIPCUB_304000_NS21CountingInputIteratorIllEEPS6_NSA_22TransformInputIteratorIb7NonZeroIsEPslEENS0_5tupleIJPlS6_EEENSJ_IJSD_SD_EEES6_SK_JS6_EEE10hipError_tPvRmT3_T4_T5_T6_T7_T9_mT8_P12ihipStream_tbDpT10_ENKUlT_T0_E_clISt17integral_constantIbLb0EES15_IbLb1EEEEDaS11_S12_EUlS11_E_NS1_11comp_targetILNS1_3genE5ELNS1_11target_archE942ELNS1_3gpuE9ELNS1_3repE0EEENS1_30default_config_static_selectorELNS0_4arch9wavefront6targetE1EEEvT1_.has_dyn_sized_stack, 0
	.set _ZN7rocprim17ROCPRIM_400000_NS6detail17trampoline_kernelINS0_14default_configENS1_25partition_config_selectorILNS1_17partition_subalgoE5ElNS0_10empty_typeEbEEZZNS1_14partition_implILS5_5ELb0ES3_mN6hipcub16HIPCUB_304000_NS21CountingInputIteratorIllEEPS6_NSA_22TransformInputIteratorIb7NonZeroIsEPslEENS0_5tupleIJPlS6_EEENSJ_IJSD_SD_EEES6_SK_JS6_EEE10hipError_tPvRmT3_T4_T5_T6_T7_T9_mT8_P12ihipStream_tbDpT10_ENKUlT_T0_E_clISt17integral_constantIbLb0EES15_IbLb1EEEEDaS11_S12_EUlS11_E_NS1_11comp_targetILNS1_3genE5ELNS1_11target_archE942ELNS1_3gpuE9ELNS1_3repE0EEENS1_30default_config_static_selectorELNS0_4arch9wavefront6targetE1EEEvT1_.has_recursion, 0
	.set _ZN7rocprim17ROCPRIM_400000_NS6detail17trampoline_kernelINS0_14default_configENS1_25partition_config_selectorILNS1_17partition_subalgoE5ElNS0_10empty_typeEbEEZZNS1_14partition_implILS5_5ELb0ES3_mN6hipcub16HIPCUB_304000_NS21CountingInputIteratorIllEEPS6_NSA_22TransformInputIteratorIb7NonZeroIsEPslEENS0_5tupleIJPlS6_EEENSJ_IJSD_SD_EEES6_SK_JS6_EEE10hipError_tPvRmT3_T4_T5_T6_T7_T9_mT8_P12ihipStream_tbDpT10_ENKUlT_T0_E_clISt17integral_constantIbLb0EES15_IbLb1EEEEDaS11_S12_EUlS11_E_NS1_11comp_targetILNS1_3genE5ELNS1_11target_archE942ELNS1_3gpuE9ELNS1_3repE0EEENS1_30default_config_static_selectorELNS0_4arch9wavefront6targetE1EEEvT1_.has_indirect_call, 0
	.section	.AMDGPU.csdata,"",@progbits
; Kernel info:
; codeLenInByte = 0
; TotalNumSgprs: 4
; NumVgprs: 0
; ScratchSize: 0
; MemoryBound: 0
; FloatMode: 240
; IeeeMode: 1
; LDSByteSize: 0 bytes/workgroup (compile time only)
; SGPRBlocks: 0
; VGPRBlocks: 0
; NumSGPRsForWavesPerEU: 4
; NumVGPRsForWavesPerEU: 1
; Occupancy: 10
; WaveLimiterHint : 0
; COMPUTE_PGM_RSRC2:SCRATCH_EN: 0
; COMPUTE_PGM_RSRC2:USER_SGPR: 6
; COMPUTE_PGM_RSRC2:TRAP_HANDLER: 0
; COMPUTE_PGM_RSRC2:TGID_X_EN: 1
; COMPUTE_PGM_RSRC2:TGID_Y_EN: 0
; COMPUTE_PGM_RSRC2:TGID_Z_EN: 0
; COMPUTE_PGM_RSRC2:TIDIG_COMP_CNT: 0
	.section	.text._ZN7rocprim17ROCPRIM_400000_NS6detail17trampoline_kernelINS0_14default_configENS1_25partition_config_selectorILNS1_17partition_subalgoE5ElNS0_10empty_typeEbEEZZNS1_14partition_implILS5_5ELb0ES3_mN6hipcub16HIPCUB_304000_NS21CountingInputIteratorIllEEPS6_NSA_22TransformInputIteratorIb7NonZeroIsEPslEENS0_5tupleIJPlS6_EEENSJ_IJSD_SD_EEES6_SK_JS6_EEE10hipError_tPvRmT3_T4_T5_T6_T7_T9_mT8_P12ihipStream_tbDpT10_ENKUlT_T0_E_clISt17integral_constantIbLb0EES15_IbLb1EEEEDaS11_S12_EUlS11_E_NS1_11comp_targetILNS1_3genE4ELNS1_11target_archE910ELNS1_3gpuE8ELNS1_3repE0EEENS1_30default_config_static_selectorELNS0_4arch9wavefront6targetE1EEEvT1_,"axG",@progbits,_ZN7rocprim17ROCPRIM_400000_NS6detail17trampoline_kernelINS0_14default_configENS1_25partition_config_selectorILNS1_17partition_subalgoE5ElNS0_10empty_typeEbEEZZNS1_14partition_implILS5_5ELb0ES3_mN6hipcub16HIPCUB_304000_NS21CountingInputIteratorIllEEPS6_NSA_22TransformInputIteratorIb7NonZeroIsEPslEENS0_5tupleIJPlS6_EEENSJ_IJSD_SD_EEES6_SK_JS6_EEE10hipError_tPvRmT3_T4_T5_T6_T7_T9_mT8_P12ihipStream_tbDpT10_ENKUlT_T0_E_clISt17integral_constantIbLb0EES15_IbLb1EEEEDaS11_S12_EUlS11_E_NS1_11comp_targetILNS1_3genE4ELNS1_11target_archE910ELNS1_3gpuE8ELNS1_3repE0EEENS1_30default_config_static_selectorELNS0_4arch9wavefront6targetE1EEEvT1_,comdat
	.protected	_ZN7rocprim17ROCPRIM_400000_NS6detail17trampoline_kernelINS0_14default_configENS1_25partition_config_selectorILNS1_17partition_subalgoE5ElNS0_10empty_typeEbEEZZNS1_14partition_implILS5_5ELb0ES3_mN6hipcub16HIPCUB_304000_NS21CountingInputIteratorIllEEPS6_NSA_22TransformInputIteratorIb7NonZeroIsEPslEENS0_5tupleIJPlS6_EEENSJ_IJSD_SD_EEES6_SK_JS6_EEE10hipError_tPvRmT3_T4_T5_T6_T7_T9_mT8_P12ihipStream_tbDpT10_ENKUlT_T0_E_clISt17integral_constantIbLb0EES15_IbLb1EEEEDaS11_S12_EUlS11_E_NS1_11comp_targetILNS1_3genE4ELNS1_11target_archE910ELNS1_3gpuE8ELNS1_3repE0EEENS1_30default_config_static_selectorELNS0_4arch9wavefront6targetE1EEEvT1_ ; -- Begin function _ZN7rocprim17ROCPRIM_400000_NS6detail17trampoline_kernelINS0_14default_configENS1_25partition_config_selectorILNS1_17partition_subalgoE5ElNS0_10empty_typeEbEEZZNS1_14partition_implILS5_5ELb0ES3_mN6hipcub16HIPCUB_304000_NS21CountingInputIteratorIllEEPS6_NSA_22TransformInputIteratorIb7NonZeroIsEPslEENS0_5tupleIJPlS6_EEENSJ_IJSD_SD_EEES6_SK_JS6_EEE10hipError_tPvRmT3_T4_T5_T6_T7_T9_mT8_P12ihipStream_tbDpT10_ENKUlT_T0_E_clISt17integral_constantIbLb0EES15_IbLb1EEEEDaS11_S12_EUlS11_E_NS1_11comp_targetILNS1_3genE4ELNS1_11target_archE910ELNS1_3gpuE8ELNS1_3repE0EEENS1_30default_config_static_selectorELNS0_4arch9wavefront6targetE1EEEvT1_
	.globl	_ZN7rocprim17ROCPRIM_400000_NS6detail17trampoline_kernelINS0_14default_configENS1_25partition_config_selectorILNS1_17partition_subalgoE5ElNS0_10empty_typeEbEEZZNS1_14partition_implILS5_5ELb0ES3_mN6hipcub16HIPCUB_304000_NS21CountingInputIteratorIllEEPS6_NSA_22TransformInputIteratorIb7NonZeroIsEPslEENS0_5tupleIJPlS6_EEENSJ_IJSD_SD_EEES6_SK_JS6_EEE10hipError_tPvRmT3_T4_T5_T6_T7_T9_mT8_P12ihipStream_tbDpT10_ENKUlT_T0_E_clISt17integral_constantIbLb0EES15_IbLb1EEEEDaS11_S12_EUlS11_E_NS1_11comp_targetILNS1_3genE4ELNS1_11target_archE910ELNS1_3gpuE8ELNS1_3repE0EEENS1_30default_config_static_selectorELNS0_4arch9wavefront6targetE1EEEvT1_
	.p2align	8
	.type	_ZN7rocprim17ROCPRIM_400000_NS6detail17trampoline_kernelINS0_14default_configENS1_25partition_config_selectorILNS1_17partition_subalgoE5ElNS0_10empty_typeEbEEZZNS1_14partition_implILS5_5ELb0ES3_mN6hipcub16HIPCUB_304000_NS21CountingInputIteratorIllEEPS6_NSA_22TransformInputIteratorIb7NonZeroIsEPslEENS0_5tupleIJPlS6_EEENSJ_IJSD_SD_EEES6_SK_JS6_EEE10hipError_tPvRmT3_T4_T5_T6_T7_T9_mT8_P12ihipStream_tbDpT10_ENKUlT_T0_E_clISt17integral_constantIbLb0EES15_IbLb1EEEEDaS11_S12_EUlS11_E_NS1_11comp_targetILNS1_3genE4ELNS1_11target_archE910ELNS1_3gpuE8ELNS1_3repE0EEENS1_30default_config_static_selectorELNS0_4arch9wavefront6targetE1EEEvT1_,@function
_ZN7rocprim17ROCPRIM_400000_NS6detail17trampoline_kernelINS0_14default_configENS1_25partition_config_selectorILNS1_17partition_subalgoE5ElNS0_10empty_typeEbEEZZNS1_14partition_implILS5_5ELb0ES3_mN6hipcub16HIPCUB_304000_NS21CountingInputIteratorIllEEPS6_NSA_22TransformInputIteratorIb7NonZeroIsEPslEENS0_5tupleIJPlS6_EEENSJ_IJSD_SD_EEES6_SK_JS6_EEE10hipError_tPvRmT3_T4_T5_T6_T7_T9_mT8_P12ihipStream_tbDpT10_ENKUlT_T0_E_clISt17integral_constantIbLb0EES15_IbLb1EEEEDaS11_S12_EUlS11_E_NS1_11comp_targetILNS1_3genE4ELNS1_11target_archE910ELNS1_3gpuE8ELNS1_3repE0EEENS1_30default_config_static_selectorELNS0_4arch9wavefront6targetE1EEEvT1_: ; @_ZN7rocprim17ROCPRIM_400000_NS6detail17trampoline_kernelINS0_14default_configENS1_25partition_config_selectorILNS1_17partition_subalgoE5ElNS0_10empty_typeEbEEZZNS1_14partition_implILS5_5ELb0ES3_mN6hipcub16HIPCUB_304000_NS21CountingInputIteratorIllEEPS6_NSA_22TransformInputIteratorIb7NonZeroIsEPslEENS0_5tupleIJPlS6_EEENSJ_IJSD_SD_EEES6_SK_JS6_EEE10hipError_tPvRmT3_T4_T5_T6_T7_T9_mT8_P12ihipStream_tbDpT10_ENKUlT_T0_E_clISt17integral_constantIbLb0EES15_IbLb1EEEEDaS11_S12_EUlS11_E_NS1_11comp_targetILNS1_3genE4ELNS1_11target_archE910ELNS1_3gpuE8ELNS1_3repE0EEENS1_30default_config_static_selectorELNS0_4arch9wavefront6targetE1EEEvT1_
; %bb.0:
	.section	.rodata,"a",@progbits
	.p2align	6, 0x0
	.amdhsa_kernel _ZN7rocprim17ROCPRIM_400000_NS6detail17trampoline_kernelINS0_14default_configENS1_25partition_config_selectorILNS1_17partition_subalgoE5ElNS0_10empty_typeEbEEZZNS1_14partition_implILS5_5ELb0ES3_mN6hipcub16HIPCUB_304000_NS21CountingInputIteratorIllEEPS6_NSA_22TransformInputIteratorIb7NonZeroIsEPslEENS0_5tupleIJPlS6_EEENSJ_IJSD_SD_EEES6_SK_JS6_EEE10hipError_tPvRmT3_T4_T5_T6_T7_T9_mT8_P12ihipStream_tbDpT10_ENKUlT_T0_E_clISt17integral_constantIbLb0EES15_IbLb1EEEEDaS11_S12_EUlS11_E_NS1_11comp_targetILNS1_3genE4ELNS1_11target_archE910ELNS1_3gpuE8ELNS1_3repE0EEENS1_30default_config_static_selectorELNS0_4arch9wavefront6targetE1EEEvT1_
		.amdhsa_group_segment_fixed_size 0
		.amdhsa_private_segment_fixed_size 0
		.amdhsa_kernarg_size 136
		.amdhsa_user_sgpr_count 6
		.amdhsa_user_sgpr_private_segment_buffer 1
		.amdhsa_user_sgpr_dispatch_ptr 0
		.amdhsa_user_sgpr_queue_ptr 0
		.amdhsa_user_sgpr_kernarg_segment_ptr 1
		.amdhsa_user_sgpr_dispatch_id 0
		.amdhsa_user_sgpr_flat_scratch_init 0
		.amdhsa_user_sgpr_private_segment_size 0
		.amdhsa_uses_dynamic_stack 0
		.amdhsa_system_sgpr_private_segment_wavefront_offset 0
		.amdhsa_system_sgpr_workgroup_id_x 1
		.amdhsa_system_sgpr_workgroup_id_y 0
		.amdhsa_system_sgpr_workgroup_id_z 0
		.amdhsa_system_sgpr_workgroup_info 0
		.amdhsa_system_vgpr_workitem_id 0
		.amdhsa_next_free_vgpr 1
		.amdhsa_next_free_sgpr 0
		.amdhsa_reserve_vcc 0
		.amdhsa_reserve_flat_scratch 0
		.amdhsa_float_round_mode_32 0
		.amdhsa_float_round_mode_16_64 0
		.amdhsa_float_denorm_mode_32 3
		.amdhsa_float_denorm_mode_16_64 3
		.amdhsa_dx10_clamp 1
		.amdhsa_ieee_mode 1
		.amdhsa_fp16_overflow 0
		.amdhsa_exception_fp_ieee_invalid_op 0
		.amdhsa_exception_fp_denorm_src 0
		.amdhsa_exception_fp_ieee_div_zero 0
		.amdhsa_exception_fp_ieee_overflow 0
		.amdhsa_exception_fp_ieee_underflow 0
		.amdhsa_exception_fp_ieee_inexact 0
		.amdhsa_exception_int_div_zero 0
	.end_amdhsa_kernel
	.section	.text._ZN7rocprim17ROCPRIM_400000_NS6detail17trampoline_kernelINS0_14default_configENS1_25partition_config_selectorILNS1_17partition_subalgoE5ElNS0_10empty_typeEbEEZZNS1_14partition_implILS5_5ELb0ES3_mN6hipcub16HIPCUB_304000_NS21CountingInputIteratorIllEEPS6_NSA_22TransformInputIteratorIb7NonZeroIsEPslEENS0_5tupleIJPlS6_EEENSJ_IJSD_SD_EEES6_SK_JS6_EEE10hipError_tPvRmT3_T4_T5_T6_T7_T9_mT8_P12ihipStream_tbDpT10_ENKUlT_T0_E_clISt17integral_constantIbLb0EES15_IbLb1EEEEDaS11_S12_EUlS11_E_NS1_11comp_targetILNS1_3genE4ELNS1_11target_archE910ELNS1_3gpuE8ELNS1_3repE0EEENS1_30default_config_static_selectorELNS0_4arch9wavefront6targetE1EEEvT1_,"axG",@progbits,_ZN7rocprim17ROCPRIM_400000_NS6detail17trampoline_kernelINS0_14default_configENS1_25partition_config_selectorILNS1_17partition_subalgoE5ElNS0_10empty_typeEbEEZZNS1_14partition_implILS5_5ELb0ES3_mN6hipcub16HIPCUB_304000_NS21CountingInputIteratorIllEEPS6_NSA_22TransformInputIteratorIb7NonZeroIsEPslEENS0_5tupleIJPlS6_EEENSJ_IJSD_SD_EEES6_SK_JS6_EEE10hipError_tPvRmT3_T4_T5_T6_T7_T9_mT8_P12ihipStream_tbDpT10_ENKUlT_T0_E_clISt17integral_constantIbLb0EES15_IbLb1EEEEDaS11_S12_EUlS11_E_NS1_11comp_targetILNS1_3genE4ELNS1_11target_archE910ELNS1_3gpuE8ELNS1_3repE0EEENS1_30default_config_static_selectorELNS0_4arch9wavefront6targetE1EEEvT1_,comdat
.Lfunc_end143:
	.size	_ZN7rocprim17ROCPRIM_400000_NS6detail17trampoline_kernelINS0_14default_configENS1_25partition_config_selectorILNS1_17partition_subalgoE5ElNS0_10empty_typeEbEEZZNS1_14partition_implILS5_5ELb0ES3_mN6hipcub16HIPCUB_304000_NS21CountingInputIteratorIllEEPS6_NSA_22TransformInputIteratorIb7NonZeroIsEPslEENS0_5tupleIJPlS6_EEENSJ_IJSD_SD_EEES6_SK_JS6_EEE10hipError_tPvRmT3_T4_T5_T6_T7_T9_mT8_P12ihipStream_tbDpT10_ENKUlT_T0_E_clISt17integral_constantIbLb0EES15_IbLb1EEEEDaS11_S12_EUlS11_E_NS1_11comp_targetILNS1_3genE4ELNS1_11target_archE910ELNS1_3gpuE8ELNS1_3repE0EEENS1_30default_config_static_selectorELNS0_4arch9wavefront6targetE1EEEvT1_, .Lfunc_end143-_ZN7rocprim17ROCPRIM_400000_NS6detail17trampoline_kernelINS0_14default_configENS1_25partition_config_selectorILNS1_17partition_subalgoE5ElNS0_10empty_typeEbEEZZNS1_14partition_implILS5_5ELb0ES3_mN6hipcub16HIPCUB_304000_NS21CountingInputIteratorIllEEPS6_NSA_22TransformInputIteratorIb7NonZeroIsEPslEENS0_5tupleIJPlS6_EEENSJ_IJSD_SD_EEES6_SK_JS6_EEE10hipError_tPvRmT3_T4_T5_T6_T7_T9_mT8_P12ihipStream_tbDpT10_ENKUlT_T0_E_clISt17integral_constantIbLb0EES15_IbLb1EEEEDaS11_S12_EUlS11_E_NS1_11comp_targetILNS1_3genE4ELNS1_11target_archE910ELNS1_3gpuE8ELNS1_3repE0EEENS1_30default_config_static_selectorELNS0_4arch9wavefront6targetE1EEEvT1_
                                        ; -- End function
	.set _ZN7rocprim17ROCPRIM_400000_NS6detail17trampoline_kernelINS0_14default_configENS1_25partition_config_selectorILNS1_17partition_subalgoE5ElNS0_10empty_typeEbEEZZNS1_14partition_implILS5_5ELb0ES3_mN6hipcub16HIPCUB_304000_NS21CountingInputIteratorIllEEPS6_NSA_22TransformInputIteratorIb7NonZeroIsEPslEENS0_5tupleIJPlS6_EEENSJ_IJSD_SD_EEES6_SK_JS6_EEE10hipError_tPvRmT3_T4_T5_T6_T7_T9_mT8_P12ihipStream_tbDpT10_ENKUlT_T0_E_clISt17integral_constantIbLb0EES15_IbLb1EEEEDaS11_S12_EUlS11_E_NS1_11comp_targetILNS1_3genE4ELNS1_11target_archE910ELNS1_3gpuE8ELNS1_3repE0EEENS1_30default_config_static_selectorELNS0_4arch9wavefront6targetE1EEEvT1_.num_vgpr, 0
	.set _ZN7rocprim17ROCPRIM_400000_NS6detail17trampoline_kernelINS0_14default_configENS1_25partition_config_selectorILNS1_17partition_subalgoE5ElNS0_10empty_typeEbEEZZNS1_14partition_implILS5_5ELb0ES3_mN6hipcub16HIPCUB_304000_NS21CountingInputIteratorIllEEPS6_NSA_22TransformInputIteratorIb7NonZeroIsEPslEENS0_5tupleIJPlS6_EEENSJ_IJSD_SD_EEES6_SK_JS6_EEE10hipError_tPvRmT3_T4_T5_T6_T7_T9_mT8_P12ihipStream_tbDpT10_ENKUlT_T0_E_clISt17integral_constantIbLb0EES15_IbLb1EEEEDaS11_S12_EUlS11_E_NS1_11comp_targetILNS1_3genE4ELNS1_11target_archE910ELNS1_3gpuE8ELNS1_3repE0EEENS1_30default_config_static_selectorELNS0_4arch9wavefront6targetE1EEEvT1_.num_agpr, 0
	.set _ZN7rocprim17ROCPRIM_400000_NS6detail17trampoline_kernelINS0_14default_configENS1_25partition_config_selectorILNS1_17partition_subalgoE5ElNS0_10empty_typeEbEEZZNS1_14partition_implILS5_5ELb0ES3_mN6hipcub16HIPCUB_304000_NS21CountingInputIteratorIllEEPS6_NSA_22TransformInputIteratorIb7NonZeroIsEPslEENS0_5tupleIJPlS6_EEENSJ_IJSD_SD_EEES6_SK_JS6_EEE10hipError_tPvRmT3_T4_T5_T6_T7_T9_mT8_P12ihipStream_tbDpT10_ENKUlT_T0_E_clISt17integral_constantIbLb0EES15_IbLb1EEEEDaS11_S12_EUlS11_E_NS1_11comp_targetILNS1_3genE4ELNS1_11target_archE910ELNS1_3gpuE8ELNS1_3repE0EEENS1_30default_config_static_selectorELNS0_4arch9wavefront6targetE1EEEvT1_.numbered_sgpr, 0
	.set _ZN7rocprim17ROCPRIM_400000_NS6detail17trampoline_kernelINS0_14default_configENS1_25partition_config_selectorILNS1_17partition_subalgoE5ElNS0_10empty_typeEbEEZZNS1_14partition_implILS5_5ELb0ES3_mN6hipcub16HIPCUB_304000_NS21CountingInputIteratorIllEEPS6_NSA_22TransformInputIteratorIb7NonZeroIsEPslEENS0_5tupleIJPlS6_EEENSJ_IJSD_SD_EEES6_SK_JS6_EEE10hipError_tPvRmT3_T4_T5_T6_T7_T9_mT8_P12ihipStream_tbDpT10_ENKUlT_T0_E_clISt17integral_constantIbLb0EES15_IbLb1EEEEDaS11_S12_EUlS11_E_NS1_11comp_targetILNS1_3genE4ELNS1_11target_archE910ELNS1_3gpuE8ELNS1_3repE0EEENS1_30default_config_static_selectorELNS0_4arch9wavefront6targetE1EEEvT1_.num_named_barrier, 0
	.set _ZN7rocprim17ROCPRIM_400000_NS6detail17trampoline_kernelINS0_14default_configENS1_25partition_config_selectorILNS1_17partition_subalgoE5ElNS0_10empty_typeEbEEZZNS1_14partition_implILS5_5ELb0ES3_mN6hipcub16HIPCUB_304000_NS21CountingInputIteratorIllEEPS6_NSA_22TransformInputIteratorIb7NonZeroIsEPslEENS0_5tupleIJPlS6_EEENSJ_IJSD_SD_EEES6_SK_JS6_EEE10hipError_tPvRmT3_T4_T5_T6_T7_T9_mT8_P12ihipStream_tbDpT10_ENKUlT_T0_E_clISt17integral_constantIbLb0EES15_IbLb1EEEEDaS11_S12_EUlS11_E_NS1_11comp_targetILNS1_3genE4ELNS1_11target_archE910ELNS1_3gpuE8ELNS1_3repE0EEENS1_30default_config_static_selectorELNS0_4arch9wavefront6targetE1EEEvT1_.private_seg_size, 0
	.set _ZN7rocprim17ROCPRIM_400000_NS6detail17trampoline_kernelINS0_14default_configENS1_25partition_config_selectorILNS1_17partition_subalgoE5ElNS0_10empty_typeEbEEZZNS1_14partition_implILS5_5ELb0ES3_mN6hipcub16HIPCUB_304000_NS21CountingInputIteratorIllEEPS6_NSA_22TransformInputIteratorIb7NonZeroIsEPslEENS0_5tupleIJPlS6_EEENSJ_IJSD_SD_EEES6_SK_JS6_EEE10hipError_tPvRmT3_T4_T5_T6_T7_T9_mT8_P12ihipStream_tbDpT10_ENKUlT_T0_E_clISt17integral_constantIbLb0EES15_IbLb1EEEEDaS11_S12_EUlS11_E_NS1_11comp_targetILNS1_3genE4ELNS1_11target_archE910ELNS1_3gpuE8ELNS1_3repE0EEENS1_30default_config_static_selectorELNS0_4arch9wavefront6targetE1EEEvT1_.uses_vcc, 0
	.set _ZN7rocprim17ROCPRIM_400000_NS6detail17trampoline_kernelINS0_14default_configENS1_25partition_config_selectorILNS1_17partition_subalgoE5ElNS0_10empty_typeEbEEZZNS1_14partition_implILS5_5ELb0ES3_mN6hipcub16HIPCUB_304000_NS21CountingInputIteratorIllEEPS6_NSA_22TransformInputIteratorIb7NonZeroIsEPslEENS0_5tupleIJPlS6_EEENSJ_IJSD_SD_EEES6_SK_JS6_EEE10hipError_tPvRmT3_T4_T5_T6_T7_T9_mT8_P12ihipStream_tbDpT10_ENKUlT_T0_E_clISt17integral_constantIbLb0EES15_IbLb1EEEEDaS11_S12_EUlS11_E_NS1_11comp_targetILNS1_3genE4ELNS1_11target_archE910ELNS1_3gpuE8ELNS1_3repE0EEENS1_30default_config_static_selectorELNS0_4arch9wavefront6targetE1EEEvT1_.uses_flat_scratch, 0
	.set _ZN7rocprim17ROCPRIM_400000_NS6detail17trampoline_kernelINS0_14default_configENS1_25partition_config_selectorILNS1_17partition_subalgoE5ElNS0_10empty_typeEbEEZZNS1_14partition_implILS5_5ELb0ES3_mN6hipcub16HIPCUB_304000_NS21CountingInputIteratorIllEEPS6_NSA_22TransformInputIteratorIb7NonZeroIsEPslEENS0_5tupleIJPlS6_EEENSJ_IJSD_SD_EEES6_SK_JS6_EEE10hipError_tPvRmT3_T4_T5_T6_T7_T9_mT8_P12ihipStream_tbDpT10_ENKUlT_T0_E_clISt17integral_constantIbLb0EES15_IbLb1EEEEDaS11_S12_EUlS11_E_NS1_11comp_targetILNS1_3genE4ELNS1_11target_archE910ELNS1_3gpuE8ELNS1_3repE0EEENS1_30default_config_static_selectorELNS0_4arch9wavefront6targetE1EEEvT1_.has_dyn_sized_stack, 0
	.set _ZN7rocprim17ROCPRIM_400000_NS6detail17trampoline_kernelINS0_14default_configENS1_25partition_config_selectorILNS1_17partition_subalgoE5ElNS0_10empty_typeEbEEZZNS1_14partition_implILS5_5ELb0ES3_mN6hipcub16HIPCUB_304000_NS21CountingInputIteratorIllEEPS6_NSA_22TransformInputIteratorIb7NonZeroIsEPslEENS0_5tupleIJPlS6_EEENSJ_IJSD_SD_EEES6_SK_JS6_EEE10hipError_tPvRmT3_T4_T5_T6_T7_T9_mT8_P12ihipStream_tbDpT10_ENKUlT_T0_E_clISt17integral_constantIbLb0EES15_IbLb1EEEEDaS11_S12_EUlS11_E_NS1_11comp_targetILNS1_3genE4ELNS1_11target_archE910ELNS1_3gpuE8ELNS1_3repE0EEENS1_30default_config_static_selectorELNS0_4arch9wavefront6targetE1EEEvT1_.has_recursion, 0
	.set _ZN7rocprim17ROCPRIM_400000_NS6detail17trampoline_kernelINS0_14default_configENS1_25partition_config_selectorILNS1_17partition_subalgoE5ElNS0_10empty_typeEbEEZZNS1_14partition_implILS5_5ELb0ES3_mN6hipcub16HIPCUB_304000_NS21CountingInputIteratorIllEEPS6_NSA_22TransformInputIteratorIb7NonZeroIsEPslEENS0_5tupleIJPlS6_EEENSJ_IJSD_SD_EEES6_SK_JS6_EEE10hipError_tPvRmT3_T4_T5_T6_T7_T9_mT8_P12ihipStream_tbDpT10_ENKUlT_T0_E_clISt17integral_constantIbLb0EES15_IbLb1EEEEDaS11_S12_EUlS11_E_NS1_11comp_targetILNS1_3genE4ELNS1_11target_archE910ELNS1_3gpuE8ELNS1_3repE0EEENS1_30default_config_static_selectorELNS0_4arch9wavefront6targetE1EEEvT1_.has_indirect_call, 0
	.section	.AMDGPU.csdata,"",@progbits
; Kernel info:
; codeLenInByte = 0
; TotalNumSgprs: 4
; NumVgprs: 0
; ScratchSize: 0
; MemoryBound: 0
; FloatMode: 240
; IeeeMode: 1
; LDSByteSize: 0 bytes/workgroup (compile time only)
; SGPRBlocks: 0
; VGPRBlocks: 0
; NumSGPRsForWavesPerEU: 4
; NumVGPRsForWavesPerEU: 1
; Occupancy: 10
; WaveLimiterHint : 0
; COMPUTE_PGM_RSRC2:SCRATCH_EN: 0
; COMPUTE_PGM_RSRC2:USER_SGPR: 6
; COMPUTE_PGM_RSRC2:TRAP_HANDLER: 0
; COMPUTE_PGM_RSRC2:TGID_X_EN: 1
; COMPUTE_PGM_RSRC2:TGID_Y_EN: 0
; COMPUTE_PGM_RSRC2:TGID_Z_EN: 0
; COMPUTE_PGM_RSRC2:TIDIG_COMP_CNT: 0
	.section	.text._ZN7rocprim17ROCPRIM_400000_NS6detail17trampoline_kernelINS0_14default_configENS1_25partition_config_selectorILNS1_17partition_subalgoE5ElNS0_10empty_typeEbEEZZNS1_14partition_implILS5_5ELb0ES3_mN6hipcub16HIPCUB_304000_NS21CountingInputIteratorIllEEPS6_NSA_22TransformInputIteratorIb7NonZeroIsEPslEENS0_5tupleIJPlS6_EEENSJ_IJSD_SD_EEES6_SK_JS6_EEE10hipError_tPvRmT3_T4_T5_T6_T7_T9_mT8_P12ihipStream_tbDpT10_ENKUlT_T0_E_clISt17integral_constantIbLb0EES15_IbLb1EEEEDaS11_S12_EUlS11_E_NS1_11comp_targetILNS1_3genE3ELNS1_11target_archE908ELNS1_3gpuE7ELNS1_3repE0EEENS1_30default_config_static_selectorELNS0_4arch9wavefront6targetE1EEEvT1_,"axG",@progbits,_ZN7rocprim17ROCPRIM_400000_NS6detail17trampoline_kernelINS0_14default_configENS1_25partition_config_selectorILNS1_17partition_subalgoE5ElNS0_10empty_typeEbEEZZNS1_14partition_implILS5_5ELb0ES3_mN6hipcub16HIPCUB_304000_NS21CountingInputIteratorIllEEPS6_NSA_22TransformInputIteratorIb7NonZeroIsEPslEENS0_5tupleIJPlS6_EEENSJ_IJSD_SD_EEES6_SK_JS6_EEE10hipError_tPvRmT3_T4_T5_T6_T7_T9_mT8_P12ihipStream_tbDpT10_ENKUlT_T0_E_clISt17integral_constantIbLb0EES15_IbLb1EEEEDaS11_S12_EUlS11_E_NS1_11comp_targetILNS1_3genE3ELNS1_11target_archE908ELNS1_3gpuE7ELNS1_3repE0EEENS1_30default_config_static_selectorELNS0_4arch9wavefront6targetE1EEEvT1_,comdat
	.protected	_ZN7rocprim17ROCPRIM_400000_NS6detail17trampoline_kernelINS0_14default_configENS1_25partition_config_selectorILNS1_17partition_subalgoE5ElNS0_10empty_typeEbEEZZNS1_14partition_implILS5_5ELb0ES3_mN6hipcub16HIPCUB_304000_NS21CountingInputIteratorIllEEPS6_NSA_22TransformInputIteratorIb7NonZeroIsEPslEENS0_5tupleIJPlS6_EEENSJ_IJSD_SD_EEES6_SK_JS6_EEE10hipError_tPvRmT3_T4_T5_T6_T7_T9_mT8_P12ihipStream_tbDpT10_ENKUlT_T0_E_clISt17integral_constantIbLb0EES15_IbLb1EEEEDaS11_S12_EUlS11_E_NS1_11comp_targetILNS1_3genE3ELNS1_11target_archE908ELNS1_3gpuE7ELNS1_3repE0EEENS1_30default_config_static_selectorELNS0_4arch9wavefront6targetE1EEEvT1_ ; -- Begin function _ZN7rocprim17ROCPRIM_400000_NS6detail17trampoline_kernelINS0_14default_configENS1_25partition_config_selectorILNS1_17partition_subalgoE5ElNS0_10empty_typeEbEEZZNS1_14partition_implILS5_5ELb0ES3_mN6hipcub16HIPCUB_304000_NS21CountingInputIteratorIllEEPS6_NSA_22TransformInputIteratorIb7NonZeroIsEPslEENS0_5tupleIJPlS6_EEENSJ_IJSD_SD_EEES6_SK_JS6_EEE10hipError_tPvRmT3_T4_T5_T6_T7_T9_mT8_P12ihipStream_tbDpT10_ENKUlT_T0_E_clISt17integral_constantIbLb0EES15_IbLb1EEEEDaS11_S12_EUlS11_E_NS1_11comp_targetILNS1_3genE3ELNS1_11target_archE908ELNS1_3gpuE7ELNS1_3repE0EEENS1_30default_config_static_selectorELNS0_4arch9wavefront6targetE1EEEvT1_
	.globl	_ZN7rocprim17ROCPRIM_400000_NS6detail17trampoline_kernelINS0_14default_configENS1_25partition_config_selectorILNS1_17partition_subalgoE5ElNS0_10empty_typeEbEEZZNS1_14partition_implILS5_5ELb0ES3_mN6hipcub16HIPCUB_304000_NS21CountingInputIteratorIllEEPS6_NSA_22TransformInputIteratorIb7NonZeroIsEPslEENS0_5tupleIJPlS6_EEENSJ_IJSD_SD_EEES6_SK_JS6_EEE10hipError_tPvRmT3_T4_T5_T6_T7_T9_mT8_P12ihipStream_tbDpT10_ENKUlT_T0_E_clISt17integral_constantIbLb0EES15_IbLb1EEEEDaS11_S12_EUlS11_E_NS1_11comp_targetILNS1_3genE3ELNS1_11target_archE908ELNS1_3gpuE7ELNS1_3repE0EEENS1_30default_config_static_selectorELNS0_4arch9wavefront6targetE1EEEvT1_
	.p2align	8
	.type	_ZN7rocprim17ROCPRIM_400000_NS6detail17trampoline_kernelINS0_14default_configENS1_25partition_config_selectorILNS1_17partition_subalgoE5ElNS0_10empty_typeEbEEZZNS1_14partition_implILS5_5ELb0ES3_mN6hipcub16HIPCUB_304000_NS21CountingInputIteratorIllEEPS6_NSA_22TransformInputIteratorIb7NonZeroIsEPslEENS0_5tupleIJPlS6_EEENSJ_IJSD_SD_EEES6_SK_JS6_EEE10hipError_tPvRmT3_T4_T5_T6_T7_T9_mT8_P12ihipStream_tbDpT10_ENKUlT_T0_E_clISt17integral_constantIbLb0EES15_IbLb1EEEEDaS11_S12_EUlS11_E_NS1_11comp_targetILNS1_3genE3ELNS1_11target_archE908ELNS1_3gpuE7ELNS1_3repE0EEENS1_30default_config_static_selectorELNS0_4arch9wavefront6targetE1EEEvT1_,@function
_ZN7rocprim17ROCPRIM_400000_NS6detail17trampoline_kernelINS0_14default_configENS1_25partition_config_selectorILNS1_17partition_subalgoE5ElNS0_10empty_typeEbEEZZNS1_14partition_implILS5_5ELb0ES3_mN6hipcub16HIPCUB_304000_NS21CountingInputIteratorIllEEPS6_NSA_22TransformInputIteratorIb7NonZeroIsEPslEENS0_5tupleIJPlS6_EEENSJ_IJSD_SD_EEES6_SK_JS6_EEE10hipError_tPvRmT3_T4_T5_T6_T7_T9_mT8_P12ihipStream_tbDpT10_ENKUlT_T0_E_clISt17integral_constantIbLb0EES15_IbLb1EEEEDaS11_S12_EUlS11_E_NS1_11comp_targetILNS1_3genE3ELNS1_11target_archE908ELNS1_3gpuE7ELNS1_3repE0EEENS1_30default_config_static_selectorELNS0_4arch9wavefront6targetE1EEEvT1_: ; @_ZN7rocprim17ROCPRIM_400000_NS6detail17trampoline_kernelINS0_14default_configENS1_25partition_config_selectorILNS1_17partition_subalgoE5ElNS0_10empty_typeEbEEZZNS1_14partition_implILS5_5ELb0ES3_mN6hipcub16HIPCUB_304000_NS21CountingInputIteratorIllEEPS6_NSA_22TransformInputIteratorIb7NonZeroIsEPslEENS0_5tupleIJPlS6_EEENSJ_IJSD_SD_EEES6_SK_JS6_EEE10hipError_tPvRmT3_T4_T5_T6_T7_T9_mT8_P12ihipStream_tbDpT10_ENKUlT_T0_E_clISt17integral_constantIbLb0EES15_IbLb1EEEEDaS11_S12_EUlS11_E_NS1_11comp_targetILNS1_3genE3ELNS1_11target_archE908ELNS1_3gpuE7ELNS1_3repE0EEENS1_30default_config_static_selectorELNS0_4arch9wavefront6targetE1EEEvT1_
; %bb.0:
	.section	.rodata,"a",@progbits
	.p2align	6, 0x0
	.amdhsa_kernel _ZN7rocprim17ROCPRIM_400000_NS6detail17trampoline_kernelINS0_14default_configENS1_25partition_config_selectorILNS1_17partition_subalgoE5ElNS0_10empty_typeEbEEZZNS1_14partition_implILS5_5ELb0ES3_mN6hipcub16HIPCUB_304000_NS21CountingInputIteratorIllEEPS6_NSA_22TransformInputIteratorIb7NonZeroIsEPslEENS0_5tupleIJPlS6_EEENSJ_IJSD_SD_EEES6_SK_JS6_EEE10hipError_tPvRmT3_T4_T5_T6_T7_T9_mT8_P12ihipStream_tbDpT10_ENKUlT_T0_E_clISt17integral_constantIbLb0EES15_IbLb1EEEEDaS11_S12_EUlS11_E_NS1_11comp_targetILNS1_3genE3ELNS1_11target_archE908ELNS1_3gpuE7ELNS1_3repE0EEENS1_30default_config_static_selectorELNS0_4arch9wavefront6targetE1EEEvT1_
		.amdhsa_group_segment_fixed_size 0
		.amdhsa_private_segment_fixed_size 0
		.amdhsa_kernarg_size 136
		.amdhsa_user_sgpr_count 6
		.amdhsa_user_sgpr_private_segment_buffer 1
		.amdhsa_user_sgpr_dispatch_ptr 0
		.amdhsa_user_sgpr_queue_ptr 0
		.amdhsa_user_sgpr_kernarg_segment_ptr 1
		.amdhsa_user_sgpr_dispatch_id 0
		.amdhsa_user_sgpr_flat_scratch_init 0
		.amdhsa_user_sgpr_private_segment_size 0
		.amdhsa_uses_dynamic_stack 0
		.amdhsa_system_sgpr_private_segment_wavefront_offset 0
		.amdhsa_system_sgpr_workgroup_id_x 1
		.amdhsa_system_sgpr_workgroup_id_y 0
		.amdhsa_system_sgpr_workgroup_id_z 0
		.amdhsa_system_sgpr_workgroup_info 0
		.amdhsa_system_vgpr_workitem_id 0
		.amdhsa_next_free_vgpr 1
		.amdhsa_next_free_sgpr 0
		.amdhsa_reserve_vcc 0
		.amdhsa_reserve_flat_scratch 0
		.amdhsa_float_round_mode_32 0
		.amdhsa_float_round_mode_16_64 0
		.amdhsa_float_denorm_mode_32 3
		.amdhsa_float_denorm_mode_16_64 3
		.amdhsa_dx10_clamp 1
		.amdhsa_ieee_mode 1
		.amdhsa_fp16_overflow 0
		.amdhsa_exception_fp_ieee_invalid_op 0
		.amdhsa_exception_fp_denorm_src 0
		.amdhsa_exception_fp_ieee_div_zero 0
		.amdhsa_exception_fp_ieee_overflow 0
		.amdhsa_exception_fp_ieee_underflow 0
		.amdhsa_exception_fp_ieee_inexact 0
		.amdhsa_exception_int_div_zero 0
	.end_amdhsa_kernel
	.section	.text._ZN7rocprim17ROCPRIM_400000_NS6detail17trampoline_kernelINS0_14default_configENS1_25partition_config_selectorILNS1_17partition_subalgoE5ElNS0_10empty_typeEbEEZZNS1_14partition_implILS5_5ELb0ES3_mN6hipcub16HIPCUB_304000_NS21CountingInputIteratorIllEEPS6_NSA_22TransformInputIteratorIb7NonZeroIsEPslEENS0_5tupleIJPlS6_EEENSJ_IJSD_SD_EEES6_SK_JS6_EEE10hipError_tPvRmT3_T4_T5_T6_T7_T9_mT8_P12ihipStream_tbDpT10_ENKUlT_T0_E_clISt17integral_constantIbLb0EES15_IbLb1EEEEDaS11_S12_EUlS11_E_NS1_11comp_targetILNS1_3genE3ELNS1_11target_archE908ELNS1_3gpuE7ELNS1_3repE0EEENS1_30default_config_static_selectorELNS0_4arch9wavefront6targetE1EEEvT1_,"axG",@progbits,_ZN7rocprim17ROCPRIM_400000_NS6detail17trampoline_kernelINS0_14default_configENS1_25partition_config_selectorILNS1_17partition_subalgoE5ElNS0_10empty_typeEbEEZZNS1_14partition_implILS5_5ELb0ES3_mN6hipcub16HIPCUB_304000_NS21CountingInputIteratorIllEEPS6_NSA_22TransformInputIteratorIb7NonZeroIsEPslEENS0_5tupleIJPlS6_EEENSJ_IJSD_SD_EEES6_SK_JS6_EEE10hipError_tPvRmT3_T4_T5_T6_T7_T9_mT8_P12ihipStream_tbDpT10_ENKUlT_T0_E_clISt17integral_constantIbLb0EES15_IbLb1EEEEDaS11_S12_EUlS11_E_NS1_11comp_targetILNS1_3genE3ELNS1_11target_archE908ELNS1_3gpuE7ELNS1_3repE0EEENS1_30default_config_static_selectorELNS0_4arch9wavefront6targetE1EEEvT1_,comdat
.Lfunc_end144:
	.size	_ZN7rocprim17ROCPRIM_400000_NS6detail17trampoline_kernelINS0_14default_configENS1_25partition_config_selectorILNS1_17partition_subalgoE5ElNS0_10empty_typeEbEEZZNS1_14partition_implILS5_5ELb0ES3_mN6hipcub16HIPCUB_304000_NS21CountingInputIteratorIllEEPS6_NSA_22TransformInputIteratorIb7NonZeroIsEPslEENS0_5tupleIJPlS6_EEENSJ_IJSD_SD_EEES6_SK_JS6_EEE10hipError_tPvRmT3_T4_T5_T6_T7_T9_mT8_P12ihipStream_tbDpT10_ENKUlT_T0_E_clISt17integral_constantIbLb0EES15_IbLb1EEEEDaS11_S12_EUlS11_E_NS1_11comp_targetILNS1_3genE3ELNS1_11target_archE908ELNS1_3gpuE7ELNS1_3repE0EEENS1_30default_config_static_selectorELNS0_4arch9wavefront6targetE1EEEvT1_, .Lfunc_end144-_ZN7rocprim17ROCPRIM_400000_NS6detail17trampoline_kernelINS0_14default_configENS1_25partition_config_selectorILNS1_17partition_subalgoE5ElNS0_10empty_typeEbEEZZNS1_14partition_implILS5_5ELb0ES3_mN6hipcub16HIPCUB_304000_NS21CountingInputIteratorIllEEPS6_NSA_22TransformInputIteratorIb7NonZeroIsEPslEENS0_5tupleIJPlS6_EEENSJ_IJSD_SD_EEES6_SK_JS6_EEE10hipError_tPvRmT3_T4_T5_T6_T7_T9_mT8_P12ihipStream_tbDpT10_ENKUlT_T0_E_clISt17integral_constantIbLb0EES15_IbLb1EEEEDaS11_S12_EUlS11_E_NS1_11comp_targetILNS1_3genE3ELNS1_11target_archE908ELNS1_3gpuE7ELNS1_3repE0EEENS1_30default_config_static_selectorELNS0_4arch9wavefront6targetE1EEEvT1_
                                        ; -- End function
	.set _ZN7rocprim17ROCPRIM_400000_NS6detail17trampoline_kernelINS0_14default_configENS1_25partition_config_selectorILNS1_17partition_subalgoE5ElNS0_10empty_typeEbEEZZNS1_14partition_implILS5_5ELb0ES3_mN6hipcub16HIPCUB_304000_NS21CountingInputIteratorIllEEPS6_NSA_22TransformInputIteratorIb7NonZeroIsEPslEENS0_5tupleIJPlS6_EEENSJ_IJSD_SD_EEES6_SK_JS6_EEE10hipError_tPvRmT3_T4_T5_T6_T7_T9_mT8_P12ihipStream_tbDpT10_ENKUlT_T0_E_clISt17integral_constantIbLb0EES15_IbLb1EEEEDaS11_S12_EUlS11_E_NS1_11comp_targetILNS1_3genE3ELNS1_11target_archE908ELNS1_3gpuE7ELNS1_3repE0EEENS1_30default_config_static_selectorELNS0_4arch9wavefront6targetE1EEEvT1_.num_vgpr, 0
	.set _ZN7rocprim17ROCPRIM_400000_NS6detail17trampoline_kernelINS0_14default_configENS1_25partition_config_selectorILNS1_17partition_subalgoE5ElNS0_10empty_typeEbEEZZNS1_14partition_implILS5_5ELb0ES3_mN6hipcub16HIPCUB_304000_NS21CountingInputIteratorIllEEPS6_NSA_22TransformInputIteratorIb7NonZeroIsEPslEENS0_5tupleIJPlS6_EEENSJ_IJSD_SD_EEES6_SK_JS6_EEE10hipError_tPvRmT3_T4_T5_T6_T7_T9_mT8_P12ihipStream_tbDpT10_ENKUlT_T0_E_clISt17integral_constantIbLb0EES15_IbLb1EEEEDaS11_S12_EUlS11_E_NS1_11comp_targetILNS1_3genE3ELNS1_11target_archE908ELNS1_3gpuE7ELNS1_3repE0EEENS1_30default_config_static_selectorELNS0_4arch9wavefront6targetE1EEEvT1_.num_agpr, 0
	.set _ZN7rocprim17ROCPRIM_400000_NS6detail17trampoline_kernelINS0_14default_configENS1_25partition_config_selectorILNS1_17partition_subalgoE5ElNS0_10empty_typeEbEEZZNS1_14partition_implILS5_5ELb0ES3_mN6hipcub16HIPCUB_304000_NS21CountingInputIteratorIllEEPS6_NSA_22TransformInputIteratorIb7NonZeroIsEPslEENS0_5tupleIJPlS6_EEENSJ_IJSD_SD_EEES6_SK_JS6_EEE10hipError_tPvRmT3_T4_T5_T6_T7_T9_mT8_P12ihipStream_tbDpT10_ENKUlT_T0_E_clISt17integral_constantIbLb0EES15_IbLb1EEEEDaS11_S12_EUlS11_E_NS1_11comp_targetILNS1_3genE3ELNS1_11target_archE908ELNS1_3gpuE7ELNS1_3repE0EEENS1_30default_config_static_selectorELNS0_4arch9wavefront6targetE1EEEvT1_.numbered_sgpr, 0
	.set _ZN7rocprim17ROCPRIM_400000_NS6detail17trampoline_kernelINS0_14default_configENS1_25partition_config_selectorILNS1_17partition_subalgoE5ElNS0_10empty_typeEbEEZZNS1_14partition_implILS5_5ELb0ES3_mN6hipcub16HIPCUB_304000_NS21CountingInputIteratorIllEEPS6_NSA_22TransformInputIteratorIb7NonZeroIsEPslEENS0_5tupleIJPlS6_EEENSJ_IJSD_SD_EEES6_SK_JS6_EEE10hipError_tPvRmT3_T4_T5_T6_T7_T9_mT8_P12ihipStream_tbDpT10_ENKUlT_T0_E_clISt17integral_constantIbLb0EES15_IbLb1EEEEDaS11_S12_EUlS11_E_NS1_11comp_targetILNS1_3genE3ELNS1_11target_archE908ELNS1_3gpuE7ELNS1_3repE0EEENS1_30default_config_static_selectorELNS0_4arch9wavefront6targetE1EEEvT1_.num_named_barrier, 0
	.set _ZN7rocprim17ROCPRIM_400000_NS6detail17trampoline_kernelINS0_14default_configENS1_25partition_config_selectorILNS1_17partition_subalgoE5ElNS0_10empty_typeEbEEZZNS1_14partition_implILS5_5ELb0ES3_mN6hipcub16HIPCUB_304000_NS21CountingInputIteratorIllEEPS6_NSA_22TransformInputIteratorIb7NonZeroIsEPslEENS0_5tupleIJPlS6_EEENSJ_IJSD_SD_EEES6_SK_JS6_EEE10hipError_tPvRmT3_T4_T5_T6_T7_T9_mT8_P12ihipStream_tbDpT10_ENKUlT_T0_E_clISt17integral_constantIbLb0EES15_IbLb1EEEEDaS11_S12_EUlS11_E_NS1_11comp_targetILNS1_3genE3ELNS1_11target_archE908ELNS1_3gpuE7ELNS1_3repE0EEENS1_30default_config_static_selectorELNS0_4arch9wavefront6targetE1EEEvT1_.private_seg_size, 0
	.set _ZN7rocprim17ROCPRIM_400000_NS6detail17trampoline_kernelINS0_14default_configENS1_25partition_config_selectorILNS1_17partition_subalgoE5ElNS0_10empty_typeEbEEZZNS1_14partition_implILS5_5ELb0ES3_mN6hipcub16HIPCUB_304000_NS21CountingInputIteratorIllEEPS6_NSA_22TransformInputIteratorIb7NonZeroIsEPslEENS0_5tupleIJPlS6_EEENSJ_IJSD_SD_EEES6_SK_JS6_EEE10hipError_tPvRmT3_T4_T5_T6_T7_T9_mT8_P12ihipStream_tbDpT10_ENKUlT_T0_E_clISt17integral_constantIbLb0EES15_IbLb1EEEEDaS11_S12_EUlS11_E_NS1_11comp_targetILNS1_3genE3ELNS1_11target_archE908ELNS1_3gpuE7ELNS1_3repE0EEENS1_30default_config_static_selectorELNS0_4arch9wavefront6targetE1EEEvT1_.uses_vcc, 0
	.set _ZN7rocprim17ROCPRIM_400000_NS6detail17trampoline_kernelINS0_14default_configENS1_25partition_config_selectorILNS1_17partition_subalgoE5ElNS0_10empty_typeEbEEZZNS1_14partition_implILS5_5ELb0ES3_mN6hipcub16HIPCUB_304000_NS21CountingInputIteratorIllEEPS6_NSA_22TransformInputIteratorIb7NonZeroIsEPslEENS0_5tupleIJPlS6_EEENSJ_IJSD_SD_EEES6_SK_JS6_EEE10hipError_tPvRmT3_T4_T5_T6_T7_T9_mT8_P12ihipStream_tbDpT10_ENKUlT_T0_E_clISt17integral_constantIbLb0EES15_IbLb1EEEEDaS11_S12_EUlS11_E_NS1_11comp_targetILNS1_3genE3ELNS1_11target_archE908ELNS1_3gpuE7ELNS1_3repE0EEENS1_30default_config_static_selectorELNS0_4arch9wavefront6targetE1EEEvT1_.uses_flat_scratch, 0
	.set _ZN7rocprim17ROCPRIM_400000_NS6detail17trampoline_kernelINS0_14default_configENS1_25partition_config_selectorILNS1_17partition_subalgoE5ElNS0_10empty_typeEbEEZZNS1_14partition_implILS5_5ELb0ES3_mN6hipcub16HIPCUB_304000_NS21CountingInputIteratorIllEEPS6_NSA_22TransformInputIteratorIb7NonZeroIsEPslEENS0_5tupleIJPlS6_EEENSJ_IJSD_SD_EEES6_SK_JS6_EEE10hipError_tPvRmT3_T4_T5_T6_T7_T9_mT8_P12ihipStream_tbDpT10_ENKUlT_T0_E_clISt17integral_constantIbLb0EES15_IbLb1EEEEDaS11_S12_EUlS11_E_NS1_11comp_targetILNS1_3genE3ELNS1_11target_archE908ELNS1_3gpuE7ELNS1_3repE0EEENS1_30default_config_static_selectorELNS0_4arch9wavefront6targetE1EEEvT1_.has_dyn_sized_stack, 0
	.set _ZN7rocprim17ROCPRIM_400000_NS6detail17trampoline_kernelINS0_14default_configENS1_25partition_config_selectorILNS1_17partition_subalgoE5ElNS0_10empty_typeEbEEZZNS1_14partition_implILS5_5ELb0ES3_mN6hipcub16HIPCUB_304000_NS21CountingInputIteratorIllEEPS6_NSA_22TransformInputIteratorIb7NonZeroIsEPslEENS0_5tupleIJPlS6_EEENSJ_IJSD_SD_EEES6_SK_JS6_EEE10hipError_tPvRmT3_T4_T5_T6_T7_T9_mT8_P12ihipStream_tbDpT10_ENKUlT_T0_E_clISt17integral_constantIbLb0EES15_IbLb1EEEEDaS11_S12_EUlS11_E_NS1_11comp_targetILNS1_3genE3ELNS1_11target_archE908ELNS1_3gpuE7ELNS1_3repE0EEENS1_30default_config_static_selectorELNS0_4arch9wavefront6targetE1EEEvT1_.has_recursion, 0
	.set _ZN7rocprim17ROCPRIM_400000_NS6detail17trampoline_kernelINS0_14default_configENS1_25partition_config_selectorILNS1_17partition_subalgoE5ElNS0_10empty_typeEbEEZZNS1_14partition_implILS5_5ELb0ES3_mN6hipcub16HIPCUB_304000_NS21CountingInputIteratorIllEEPS6_NSA_22TransformInputIteratorIb7NonZeroIsEPslEENS0_5tupleIJPlS6_EEENSJ_IJSD_SD_EEES6_SK_JS6_EEE10hipError_tPvRmT3_T4_T5_T6_T7_T9_mT8_P12ihipStream_tbDpT10_ENKUlT_T0_E_clISt17integral_constantIbLb0EES15_IbLb1EEEEDaS11_S12_EUlS11_E_NS1_11comp_targetILNS1_3genE3ELNS1_11target_archE908ELNS1_3gpuE7ELNS1_3repE0EEENS1_30default_config_static_selectorELNS0_4arch9wavefront6targetE1EEEvT1_.has_indirect_call, 0
	.section	.AMDGPU.csdata,"",@progbits
; Kernel info:
; codeLenInByte = 0
; TotalNumSgprs: 4
; NumVgprs: 0
; ScratchSize: 0
; MemoryBound: 0
; FloatMode: 240
; IeeeMode: 1
; LDSByteSize: 0 bytes/workgroup (compile time only)
; SGPRBlocks: 0
; VGPRBlocks: 0
; NumSGPRsForWavesPerEU: 4
; NumVGPRsForWavesPerEU: 1
; Occupancy: 10
; WaveLimiterHint : 0
; COMPUTE_PGM_RSRC2:SCRATCH_EN: 0
; COMPUTE_PGM_RSRC2:USER_SGPR: 6
; COMPUTE_PGM_RSRC2:TRAP_HANDLER: 0
; COMPUTE_PGM_RSRC2:TGID_X_EN: 1
; COMPUTE_PGM_RSRC2:TGID_Y_EN: 0
; COMPUTE_PGM_RSRC2:TGID_Z_EN: 0
; COMPUTE_PGM_RSRC2:TIDIG_COMP_CNT: 0
	.section	.text._ZN7rocprim17ROCPRIM_400000_NS6detail17trampoline_kernelINS0_14default_configENS1_25partition_config_selectorILNS1_17partition_subalgoE5ElNS0_10empty_typeEbEEZZNS1_14partition_implILS5_5ELb0ES3_mN6hipcub16HIPCUB_304000_NS21CountingInputIteratorIllEEPS6_NSA_22TransformInputIteratorIb7NonZeroIsEPslEENS0_5tupleIJPlS6_EEENSJ_IJSD_SD_EEES6_SK_JS6_EEE10hipError_tPvRmT3_T4_T5_T6_T7_T9_mT8_P12ihipStream_tbDpT10_ENKUlT_T0_E_clISt17integral_constantIbLb0EES15_IbLb1EEEEDaS11_S12_EUlS11_E_NS1_11comp_targetILNS1_3genE2ELNS1_11target_archE906ELNS1_3gpuE6ELNS1_3repE0EEENS1_30default_config_static_selectorELNS0_4arch9wavefront6targetE1EEEvT1_,"axG",@progbits,_ZN7rocprim17ROCPRIM_400000_NS6detail17trampoline_kernelINS0_14default_configENS1_25partition_config_selectorILNS1_17partition_subalgoE5ElNS0_10empty_typeEbEEZZNS1_14partition_implILS5_5ELb0ES3_mN6hipcub16HIPCUB_304000_NS21CountingInputIteratorIllEEPS6_NSA_22TransformInputIteratorIb7NonZeroIsEPslEENS0_5tupleIJPlS6_EEENSJ_IJSD_SD_EEES6_SK_JS6_EEE10hipError_tPvRmT3_T4_T5_T6_T7_T9_mT8_P12ihipStream_tbDpT10_ENKUlT_T0_E_clISt17integral_constantIbLb0EES15_IbLb1EEEEDaS11_S12_EUlS11_E_NS1_11comp_targetILNS1_3genE2ELNS1_11target_archE906ELNS1_3gpuE6ELNS1_3repE0EEENS1_30default_config_static_selectorELNS0_4arch9wavefront6targetE1EEEvT1_,comdat
	.protected	_ZN7rocprim17ROCPRIM_400000_NS6detail17trampoline_kernelINS0_14default_configENS1_25partition_config_selectorILNS1_17partition_subalgoE5ElNS0_10empty_typeEbEEZZNS1_14partition_implILS5_5ELb0ES3_mN6hipcub16HIPCUB_304000_NS21CountingInputIteratorIllEEPS6_NSA_22TransformInputIteratorIb7NonZeroIsEPslEENS0_5tupleIJPlS6_EEENSJ_IJSD_SD_EEES6_SK_JS6_EEE10hipError_tPvRmT3_T4_T5_T6_T7_T9_mT8_P12ihipStream_tbDpT10_ENKUlT_T0_E_clISt17integral_constantIbLb0EES15_IbLb1EEEEDaS11_S12_EUlS11_E_NS1_11comp_targetILNS1_3genE2ELNS1_11target_archE906ELNS1_3gpuE6ELNS1_3repE0EEENS1_30default_config_static_selectorELNS0_4arch9wavefront6targetE1EEEvT1_ ; -- Begin function _ZN7rocprim17ROCPRIM_400000_NS6detail17trampoline_kernelINS0_14default_configENS1_25partition_config_selectorILNS1_17partition_subalgoE5ElNS0_10empty_typeEbEEZZNS1_14partition_implILS5_5ELb0ES3_mN6hipcub16HIPCUB_304000_NS21CountingInputIteratorIllEEPS6_NSA_22TransformInputIteratorIb7NonZeroIsEPslEENS0_5tupleIJPlS6_EEENSJ_IJSD_SD_EEES6_SK_JS6_EEE10hipError_tPvRmT3_T4_T5_T6_T7_T9_mT8_P12ihipStream_tbDpT10_ENKUlT_T0_E_clISt17integral_constantIbLb0EES15_IbLb1EEEEDaS11_S12_EUlS11_E_NS1_11comp_targetILNS1_3genE2ELNS1_11target_archE906ELNS1_3gpuE6ELNS1_3repE0EEENS1_30default_config_static_selectorELNS0_4arch9wavefront6targetE1EEEvT1_
	.globl	_ZN7rocprim17ROCPRIM_400000_NS6detail17trampoline_kernelINS0_14default_configENS1_25partition_config_selectorILNS1_17partition_subalgoE5ElNS0_10empty_typeEbEEZZNS1_14partition_implILS5_5ELb0ES3_mN6hipcub16HIPCUB_304000_NS21CountingInputIteratorIllEEPS6_NSA_22TransformInputIteratorIb7NonZeroIsEPslEENS0_5tupleIJPlS6_EEENSJ_IJSD_SD_EEES6_SK_JS6_EEE10hipError_tPvRmT3_T4_T5_T6_T7_T9_mT8_P12ihipStream_tbDpT10_ENKUlT_T0_E_clISt17integral_constantIbLb0EES15_IbLb1EEEEDaS11_S12_EUlS11_E_NS1_11comp_targetILNS1_3genE2ELNS1_11target_archE906ELNS1_3gpuE6ELNS1_3repE0EEENS1_30default_config_static_selectorELNS0_4arch9wavefront6targetE1EEEvT1_
	.p2align	8
	.type	_ZN7rocprim17ROCPRIM_400000_NS6detail17trampoline_kernelINS0_14default_configENS1_25partition_config_selectorILNS1_17partition_subalgoE5ElNS0_10empty_typeEbEEZZNS1_14partition_implILS5_5ELb0ES3_mN6hipcub16HIPCUB_304000_NS21CountingInputIteratorIllEEPS6_NSA_22TransformInputIteratorIb7NonZeroIsEPslEENS0_5tupleIJPlS6_EEENSJ_IJSD_SD_EEES6_SK_JS6_EEE10hipError_tPvRmT3_T4_T5_T6_T7_T9_mT8_P12ihipStream_tbDpT10_ENKUlT_T0_E_clISt17integral_constantIbLb0EES15_IbLb1EEEEDaS11_S12_EUlS11_E_NS1_11comp_targetILNS1_3genE2ELNS1_11target_archE906ELNS1_3gpuE6ELNS1_3repE0EEENS1_30default_config_static_selectorELNS0_4arch9wavefront6targetE1EEEvT1_,@function
_ZN7rocprim17ROCPRIM_400000_NS6detail17trampoline_kernelINS0_14default_configENS1_25partition_config_selectorILNS1_17partition_subalgoE5ElNS0_10empty_typeEbEEZZNS1_14partition_implILS5_5ELb0ES3_mN6hipcub16HIPCUB_304000_NS21CountingInputIteratorIllEEPS6_NSA_22TransformInputIteratorIb7NonZeroIsEPslEENS0_5tupleIJPlS6_EEENSJ_IJSD_SD_EEES6_SK_JS6_EEE10hipError_tPvRmT3_T4_T5_T6_T7_T9_mT8_P12ihipStream_tbDpT10_ENKUlT_T0_E_clISt17integral_constantIbLb0EES15_IbLb1EEEEDaS11_S12_EUlS11_E_NS1_11comp_targetILNS1_3genE2ELNS1_11target_archE906ELNS1_3gpuE6ELNS1_3repE0EEENS1_30default_config_static_selectorELNS0_4arch9wavefront6targetE1EEEvT1_: ; @_ZN7rocprim17ROCPRIM_400000_NS6detail17trampoline_kernelINS0_14default_configENS1_25partition_config_selectorILNS1_17partition_subalgoE5ElNS0_10empty_typeEbEEZZNS1_14partition_implILS5_5ELb0ES3_mN6hipcub16HIPCUB_304000_NS21CountingInputIteratorIllEEPS6_NSA_22TransformInputIteratorIb7NonZeroIsEPslEENS0_5tupleIJPlS6_EEENSJ_IJSD_SD_EEES6_SK_JS6_EEE10hipError_tPvRmT3_T4_T5_T6_T7_T9_mT8_P12ihipStream_tbDpT10_ENKUlT_T0_E_clISt17integral_constantIbLb0EES15_IbLb1EEEEDaS11_S12_EUlS11_E_NS1_11comp_targetILNS1_3genE2ELNS1_11target_archE906ELNS1_3gpuE6ELNS1_3repE0EEENS1_30default_config_static_selectorELNS0_4arch9wavefront6targetE1EEEvT1_
; %bb.0:
	s_load_dwordx2 s[6:7], s[4:5], 0x20
	s_load_dwordx2 s[16:17], s[4:5], 0x30
	;; [unrolled: 1-line block ×3, first 2 shown]
	s_load_dwordx4 s[8:11], s[4:5], 0x48
	s_load_dwordx2 s[20:21], s[4:5], 0x68
	v_cmp_eq_u32_e64 s[0:1], 0, v0
	s_and_saveexec_b64 s[12:13], s[0:1]
	s_cbranch_execz .LBB145_4
; %bb.1:
	s_mov_b64 s[18:19], exec
	v_mbcnt_lo_u32_b32 v1, s18, 0
	v_mbcnt_hi_u32_b32 v1, s19, v1
	v_cmp_eq_u32_e32 vcc, 0, v1
                                        ; implicit-def: $vgpr2
	s_and_saveexec_b64 s[14:15], vcc
	s_cbranch_execz .LBB145_3
; %bb.2:
	s_load_dwordx2 s[22:23], s[4:5], 0x78
	s_bcnt1_i32_b64 s18, s[18:19]
	v_mov_b32_e32 v2, 0
	v_mov_b32_e32 v3, s18
	s_waitcnt lgkmcnt(0)
	global_atomic_add v2, v2, v3, s[22:23] glc
.LBB145_3:
	s_or_b64 exec, exec, s[14:15]
	s_waitcnt vmcnt(0)
	v_readfirstlane_b32 s14, v2
	v_add_u32_e32 v1, s14, v1
	v_mov_b32_e32 v2, 0
	ds_write_b32 v2, v1
.LBB145_4:
	s_or_b64 exec, exec, s[12:13]
	v_mov_b32_e32 v1, 0
	s_load_dwordx4 s[12:15], s[4:5], 0x8
	s_load_dword s18, s[4:5], 0x70
	s_waitcnt lgkmcnt(0)
	s_barrier
	ds_read_b32 v5, v1
	s_waitcnt lgkmcnt(0)
	s_barrier
	global_load_dwordx2 v[1:2], v1, s[10:11]
	s_add_u32 s26, s14, s12
	s_mul_i32 s25, s18, 0x700
	s_addc_u32 s27, s15, s13
	s_add_i32 s18, s18, -1
	s_add_u32 s10, s14, s25
	s_addc_u32 s11, s15, 0
	v_mov_b32_e32 v3, s10
	v_mov_b32_e32 v4, s11
	v_readfirstlane_b32 s24, v5
	v_cmp_le_u64_e32 vcc, s[2:3], v[3:4]
	s_cmp_eq_u32 s24, s18
	s_cselect_b64 s[12:13], -1, 0
	s_and_b64 s[10:11], vcc, s[12:13]
	s_xor_b64 s[18:19], s[10:11], -1
	s_mov_b32 s5, 0
	s_mov_b64 s[22:23], -1
	s_mul_i32 s4, s24, 0x700
	s_and_b64 vcc, exec, s[18:19]
	s_waitcnt vmcnt(0)
	v_readfirstlane_b32 s10, v1
	v_readfirstlane_b32 s11, v2
	s_cbranch_vccz .LBB145_6
; %bb.5:
	s_add_u32 s3, s4, s26
	s_addc_u32 s22, 0, s27
	v_mov_b32_e32 v2, s22
	v_add_co_u32_e32 v1, vcc, s3, v0
	v_addc_co_u32_e32 v2, vcc, 0, v2, vcc
	v_add_co_u32_e32 v3, vcc, 0x100, v1
	v_addc_co_u32_e32 v4, vcc, 0, v2, vcc
	;; [unrolled: 2-line block ×6, first 2 shown]
	v_add_co_u32_e32 v13, vcc, 0x600, v1
	v_lshlrev_b32_e32 v15, 3, v0
	v_addc_co_u32_e32 v14, vcc, 0, v2, vcc
	ds_write2st64_b64 v15, v[1:2], v[3:4] offset1:4
	ds_write2st64_b64 v15, v[5:6], v[7:8] offset0:8 offset1:12
	ds_write2st64_b64 v15, v[9:10], v[11:12] offset0:16 offset1:20
	ds_write_b64 v15, v[13:14] offset:12288
	s_waitcnt lgkmcnt(0)
	s_barrier
	s_mov_b64 s[22:23], 0
.LBB145_6:
	s_andn2_b64 vcc, exec, s[22:23]
	s_cbranch_vccnz .LBB145_8
; %bb.7:
	s_add_u32 s3, s26, s4
	s_addc_u32 s22, s27, 0
	v_mov_b32_e32 v2, s22
	v_add_co_u32_e32 v1, vcc, s3, v0
	v_addc_co_u32_e32 v2, vcc, 0, v2, vcc
	v_or_b32_e32 v3, 0x100, v0
	v_mov_b32_e32 v4, s22
	v_add_co_u32_e32 v3, vcc, s3, v3
	v_addc_co_u32_e32 v4, vcc, 0, v4, vcc
	v_or_b32_e32 v5, 0x200, v0
	v_mov_b32_e32 v6, s22
	v_add_co_u32_e32 v5, vcc, s3, v5
	v_addc_co_u32_e32 v6, vcc, 0, v6, vcc
	v_or_b32_e32 v7, 0x300, v0
	v_mov_b32_e32 v8, s22
	v_add_co_u32_e32 v7, vcc, s3, v7
	v_addc_co_u32_e32 v8, vcc, 0, v8, vcc
	v_or_b32_e32 v9, 0x400, v0
	v_mov_b32_e32 v10, s22
	v_add_co_u32_e32 v9, vcc, s3, v9
	v_addc_co_u32_e32 v10, vcc, 0, v10, vcc
	v_or_b32_e32 v11, 0x500, v0
	v_mov_b32_e32 v12, s22
	v_add_co_u32_e32 v11, vcc, s3, v11
	v_addc_co_u32_e32 v12, vcc, 0, v12, vcc
	v_or_b32_e32 v13, 0x600, v0
	v_mov_b32_e32 v14, s22
	v_add_co_u32_e32 v13, vcc, s3, v13
	v_lshlrev_b32_e32 v15, 3, v0
	v_addc_co_u32_e32 v14, vcc, 0, v14, vcc
	ds_write2st64_b64 v15, v[1:2], v[3:4] offset1:4
	ds_write2st64_b64 v15, v[5:6], v[7:8] offset0:8 offset1:12
	ds_write2st64_b64 v15, v[9:10], v[11:12] offset0:16 offset1:20
	ds_write_b64 v15, v[13:14] offset:12288
	s_waitcnt lgkmcnt(0)
	s_barrier
.LBB145_8:
	v_mul_u32_u24_e32 v1, 7, v0
	v_lshlrev_b32_e32 v13, 3, v1
	ds_read_b64 v[21:22], v13 offset:48
	ds_read2_b64 v[1:4], v13 offset0:4 offset1:5
	ds_read2_b64 v[5:8], v13 offset0:2 offset1:3
	ds_read2_b64 v[9:12], v13 offset1:1
	s_lshl_b64 s[22:23], s[14:15], 1
	s_add_u32 s3, s6, s22
	s_addc_u32 s6, s7, s23
	s_lshl_b64 s[4:5], s[4:5], 1
	s_add_u32 s4, s3, s4
	s_addc_u32 s5, s6, s5
	s_mov_b64 s[6:7], -1
	s_and_b64 vcc, exec, s[18:19]
	v_lshlrev_b32_e32 v14, 1, v0
	s_waitcnt lgkmcnt(0)
	s_barrier
	s_cbranch_vccz .LBB145_10
; %bb.9:
	global_load_ushort v15, v14, s[4:5]
	global_load_ushort v16, v14, s[4:5] offset:512
	global_load_ushort v17, v14, s[4:5] offset:1024
	global_load_ushort v18, v14, s[4:5] offset:1536
	global_load_ushort v19, v14, s[4:5] offset:2048
	global_load_ushort v20, v14, s[4:5] offset:2560
	global_load_ushort v23, v14, s[4:5] offset:3072
	s_mov_b64 s[6:7], 0
	s_waitcnt vmcnt(6)
	v_cmp_ne_u16_e32 vcc, 0, v15
	v_cndmask_b32_e64 v15, 0, 1, vcc
	s_waitcnt vmcnt(5)
	v_cmp_ne_u16_e32 vcc, 0, v16
	v_cndmask_b32_e64 v16, 0, 1, vcc
	;; [unrolled: 3-line block ×7, first 2 shown]
	ds_write_b8 v0, v15
	ds_write_b8 v0, v16 offset:256
	ds_write_b8 v0, v17 offset:512
	;; [unrolled: 1-line block ×6, first 2 shown]
	s_waitcnt lgkmcnt(0)
	s_barrier
.LBB145_10:
	s_andn2_b64 vcc, exec, s[6:7]
	s_cbranch_vccnz .LBB145_26
; %bb.11:
	s_add_i32 s25, s25, s14
	s_sub_i32 s6, s2, s25
	s_addk_i32 s6, 0x700
	v_mov_b32_e32 v15, 0
	v_cmp_gt_u32_e32 vcc, s6, v0
	s_mov_b32 s7, 0
	v_mov_b32_e32 v17, v15
	v_mov_b32_e32 v16, v15
	s_and_saveexec_b64 s[2:3], vcc
	s_cbranch_execz .LBB145_13
; %bb.12:
	global_load_ushort v15, v14, s[4:5]
	v_mov_b32_e32 v17, s7
	s_waitcnt vmcnt(0)
	v_cmp_ne_u16_e32 vcc, 0, v15
	v_cndmask_b32_e64 v15, 0, 1, vcc
	v_mov_b32_e32 v16, v15
.LBB145_13:
	s_or_b64 exec, exec, s[2:3]
	v_or_b32_e32 v18, 0x100, v0
	v_cmp_gt_u32_e32 vcc, s6, v18
	s_and_saveexec_b64 s[2:3], vcc
	s_cbranch_execz .LBB145_15
; %bb.14:
	global_load_ushort v18, v14, s[4:5] offset:512
	v_mov_b32_e32 v20, 8
	s_movk_i32 s7, 0xff
	v_lshrrev_b32_e32 v19, 24, v15
	v_lshrrev_b32_sdwa v20, v20, v17 dst_sel:BYTE_1 dst_unused:UNUSED_PAD src0_sel:DWORD src1_sel:DWORD
	v_bfe_u32 v23, v17, 16, 8
	v_lshlrev_b16_e32 v19, 8, v19
	v_and_b32_sdwa v24, v15, s7 dst_sel:DWORD dst_unused:UNUSED_PAD src0_sel:WORD_1 src1_sel:DWORD
	v_or_b32_sdwa v17, v17, v20 dst_sel:DWORD dst_unused:UNUSED_PAD src0_sel:BYTE_0 src1_sel:DWORD
	v_or_b32_sdwa v19, v24, v19 dst_sel:WORD_1 dst_unused:UNUSED_PAD src0_sel:DWORD src1_sel:DWORD
	v_and_b32_e32 v17, 0xffff, v17
	v_lshl_or_b32 v17, v23, 16, v17
	s_waitcnt vmcnt(0)
	v_cmp_ne_u16_e32 vcc, 0, v18
	v_cndmask_b32_e64 v18, 0, 1, vcc
	v_lshlrev_b16_e32 v18, 8, v18
	v_or_b32_sdwa v15, v15, v18 dst_sel:DWORD dst_unused:UNUSED_PAD src0_sel:BYTE_0 src1_sel:DWORD
	v_or_b32_sdwa v15, v15, v19 dst_sel:DWORD dst_unused:UNUSED_PAD src0_sel:WORD_0 src1_sel:DWORD
.LBB145_15:
	s_or_b64 exec, exec, s[2:3]
	v_or_b32_e32 v18, 0x200, v0
	v_cmp_gt_u32_e32 vcc, s6, v18
	s_and_saveexec_b64 s[2:3], vcc
	s_cbranch_execz .LBB145_17
; %bb.16:
	global_load_ushort v18, v14, s[4:5] offset:1024
	v_mov_b32_e32 v19, 8
	v_lshrrev_b32_e32 v23, 24, v15
	v_lshrrev_b32_sdwa v19, v19, v17 dst_sel:BYTE_1 dst_unused:UNUSED_PAD src0_sel:DWORD src1_sel:DWORD
	v_bfe_u32 v20, v17, 16, 8
	s_mov_b32 s7, 0xc0c0104
	v_lshlrev_b16_e32 v23, 8, v23
	v_or_b32_sdwa v17, v17, v19 dst_sel:DWORD dst_unused:UNUSED_PAD src0_sel:BYTE_0 src1_sel:DWORD
	v_and_b32_e32 v17, 0xffff, v17
	v_perm_b32 v15, v15, v15, s7
	v_lshl_or_b32 v17, v20, 16, v17
	s_waitcnt vmcnt(0)
	v_cmp_ne_u16_e32 vcc, 0, v18
	v_cndmask_b32_e64 v18, 0, 1, vcc
	v_or_b32_sdwa v18, v18, v23 dst_sel:WORD_1 dst_unused:UNUSED_PAD src0_sel:DWORD src1_sel:DWORD
	v_or_b32_e32 v15, v15, v18
.LBB145_17:
	s_or_b64 exec, exec, s[2:3]
	v_or_b32_e32 v18, 0x300, v0
	v_cmp_gt_u32_e32 vcc, s6, v18
	s_and_saveexec_b64 s[2:3], vcc
	s_cbranch_execz .LBB145_19
; %bb.18:
	global_load_ushort v18, v14, s[4:5] offset:1536
	v_mov_b32_e32 v19, 8
	s_movk_i32 s7, 0xff
	v_lshrrev_b32_sdwa v19, v19, v17 dst_sel:BYTE_1 dst_unused:UNUSED_PAD src0_sel:DWORD src1_sel:DWORD
	v_bfe_u32 v20, v17, 16, 8
	s_mov_b32 s14, 0xc0c0104
	v_and_b32_sdwa v23, v15, s7 dst_sel:DWORD dst_unused:UNUSED_PAD src0_sel:WORD_1 src1_sel:DWORD
	v_or_b32_sdwa v17, v17, v19 dst_sel:DWORD dst_unused:UNUSED_PAD src0_sel:BYTE_0 src1_sel:DWORD
	v_and_b32_e32 v17, 0xffff, v17
	v_perm_b32 v15, v15, v15, s14
	v_lshl_or_b32 v17, v20, 16, v17
	s_waitcnt vmcnt(0)
	v_cmp_ne_u16_e32 vcc, 0, v18
	v_cndmask_b32_e64 v18, 0, 1, vcc
	v_lshlrev_b16_e32 v18, 8, v18
	v_or_b32_sdwa v18, v23, v18 dst_sel:WORD_1 dst_unused:UNUSED_PAD src0_sel:DWORD src1_sel:DWORD
	v_or_b32_e32 v15, v15, v18
.LBB145_19:
	s_or_b64 exec, exec, s[2:3]
	v_or_b32_e32 v18, 0x400, v0
	v_cmp_gt_u32_e32 vcc, s6, v18
	s_and_saveexec_b64 s[2:3], vcc
	s_cbranch_execz .LBB145_21
; %bb.20:
	global_load_ushort v18, v14, s[4:5] offset:2048
	v_mov_b32_e32 v19, 8
	v_bfe_u32 v20, v17, 16, 8
	v_lshrrev_b32_sdwa v17, v19, v17 dst_sel:BYTE_1 dst_unused:UNUSED_PAD src0_sel:DWORD src1_sel:DWORD
	s_mov_b32 s7, 0x3020104
	v_perm_b32 v15, v15, v15, s7
	s_waitcnt vmcnt(0)
	v_cmp_ne_u16_e32 vcc, 0, v18
	v_cndmask_b32_e64 v18, 0, 1, vcc
	v_or_b32_e32 v17, v18, v17
	v_and_b32_e32 v17, 0xffff, v17
	v_lshl_or_b32 v17, v20, 16, v17
.LBB145_21:
	s_or_b64 exec, exec, s[2:3]
	v_or_b32_e32 v18, 0x500, v0
	v_cmp_gt_u32_e32 vcc, s6, v18
	s_and_saveexec_b64 s[2:3], vcc
	s_cbranch_execz .LBB145_23
; %bb.22:
	global_load_ushort v18, v14, s[4:5] offset:2560
	v_bfe_u32 v19, v17, 16, 8
	s_mov_b32 s7, 0x3020104
	v_perm_b32 v15, v15, v15, s7
	s_waitcnt vmcnt(0)
	v_cmp_ne_u16_e32 vcc, 0, v18
	v_cndmask_b32_e64 v18, 0, 1, vcc
	v_lshlrev_b16_e32 v18, 8, v18
	v_or_b32_sdwa v17, v17, v18 dst_sel:DWORD dst_unused:UNUSED_PAD src0_sel:BYTE_0 src1_sel:DWORD
	v_and_b32_e32 v17, 0xffff, v17
	v_lshl_or_b32 v17, v19, 16, v17
.LBB145_23:
	s_or_b64 exec, exec, s[2:3]
	v_or_b32_e32 v18, 0x600, v0
	v_cmp_gt_u32_e32 vcc, s6, v18
	s_and_saveexec_b64 s[2:3], vcc
	s_cbranch_execz .LBB145_25
; %bb.24:
	global_load_ushort v14, v14, s[4:5] offset:3072
	v_mov_b32_e32 v18, 8
	v_lshrrev_b32_sdwa v18, v18, v17 dst_sel:BYTE_1 dst_unused:UNUSED_PAD src0_sel:DWORD src1_sel:DWORD
	v_or_b32_sdwa v17, v17, v18 dst_sel:DWORD dst_unused:UNUSED_PAD src0_sel:BYTE_0 src1_sel:DWORD
	s_mov_b32 s4, 0x3020104
	v_and_b32_e32 v17, 0xffff, v17
	v_perm_b32 v15, v15, v15, s4
	s_waitcnt vmcnt(0)
	v_cmp_ne_u16_e32 vcc, 0, v14
	v_cndmask_b32_e64 v14, 0, 1, vcc
	v_lshl_or_b32 v17, v14, 16, v17
.LBB145_25:
	s_or_b64 exec, exec, s[2:3]
	v_lshrrev_b32_e32 v14, 8, v15
	ds_write_b8 v0, v16
	ds_write_b8 v0, v14 offset:256
	ds_write_b8_d16_hi v0, v15 offset:512
	v_lshrrev_b32_e32 v14, 24, v15
	ds_write_b8 v0, v14 offset:768
	ds_write_b8 v0, v17 offset:1024
	v_lshrrev_b32_e32 v14, 8, v17
	ds_write_b8 v0, v14 offset:1280
	ds_write_b8_d16_hi v0, v17 offset:1536
	s_waitcnt lgkmcnt(0)
	s_barrier
.LBB145_26:
	s_movk_i32 s2, 0xffcf
	v_mad_i32_i24 v43, v0, s2, v13
	ds_read_u8 v13, v43
	ds_read_u8 v15, v43 offset:1
	ds_read_u8 v16, v43 offset:2
	;; [unrolled: 1-line block ×6, first 2 shown]
	s_waitcnt lgkmcnt(6)
	v_and_b32_e32 v41, 1, v13
	s_waitcnt lgkmcnt(5)
	v_and_b32_e32 v40, 1, v15
	;; [unrolled: 2-line block ×4, first 2 shown]
	v_add3_u32 v13, v40, v41, v39
	s_waitcnt lgkmcnt(2)
	v_and_b32_e32 v37, 1, v18
	v_add_co_u32_e32 v13, vcc, v13, v38
	v_addc_co_u32_e64 v15, s[2:3], 0, 0, vcc
	v_add_co_u32_e32 v13, vcc, v13, v37
	s_waitcnt lgkmcnt(1)
	v_and_b32_e32 v36, 1, v19
	v_addc_co_u32_e32 v15, vcc, 0, v15, vcc
	v_add_co_u32_e32 v13, vcc, v13, v36
	s_waitcnt lgkmcnt(0)
	v_and_b32_e32 v35, 1, v20
	v_addc_co_u32_e32 v15, vcc, 0, v15, vcc
	v_add_co_u32_e32 v23, vcc, v13, v35
	v_mbcnt_lo_u32_b32 v13, -1, 0
	v_mbcnt_hi_u32_b32 v42, -1, v13
	v_and_b32_e32 v44, 15, v42
	s_cmp_lg_u32 s24, 0
	v_mov_b32_e32 v14, 0
	v_addc_co_u32_e32 v24, vcc, 0, v15, vcc
	v_cmp_ne_u32_e64 s[2:3], 0, v44
	s_barrier
	s_cbranch_scc0 .LBB145_82
; %bb.27:
	v_mov_b32_e32 v15, v23
	v_mov_b32_dpp v13, v23 row_shr:1 row_mask:0xf bank_mask:0xf
	v_mov_b32_dpp v18, v14 row_shr:1 row_mask:0xf bank_mask:0xf
	v_mov_b32_e32 v17, v23
	v_mov_b32_e32 v16, v24
	s_and_saveexec_b64 s[4:5], s[2:3]
; %bb.28:
	v_add_co_u32_e32 v17, vcc, v23, v13
	v_addc_co_u32_e32 v14, vcc, 0, v24, vcc
	v_add_co_u32_e32 v13, vcc, 0, v17
	v_addc_co_u32_e32 v14, vcc, v18, v14, vcc
	v_mov_b32_e32 v16, v14
	v_mov_b32_e32 v15, v13
; %bb.29:
	s_or_b64 exec, exec, s[4:5]
	v_mov_b32_dpp v13, v17 row_shr:2 row_mask:0xf bank_mask:0xf
	v_mov_b32_dpp v18, v14 row_shr:2 row_mask:0xf bank_mask:0xf
	v_cmp_lt_u32_e32 vcc, 1, v44
	s_and_saveexec_b64 s[4:5], vcc
; %bb.30:
	v_add_co_u32_e32 v17, vcc, v15, v13
	v_addc_co_u32_e32 v14, vcc, 0, v16, vcc
	v_add_co_u32_e32 v13, vcc, 0, v17
	v_addc_co_u32_e32 v14, vcc, v18, v14, vcc
	v_mov_b32_e32 v16, v14
	v_mov_b32_e32 v15, v13
; %bb.31:
	s_or_b64 exec, exec, s[4:5]
	v_mov_b32_dpp v13, v17 row_shr:4 row_mask:0xf bank_mask:0xf
	v_mov_b32_dpp v18, v14 row_shr:4 row_mask:0xf bank_mask:0xf
	v_cmp_lt_u32_e32 vcc, 3, v44
	s_and_saveexec_b64 s[4:5], vcc
	;; [unrolled: 13-line block ×3, first 2 shown]
; %bb.34:
	v_add_co_u32_e32 v17, vcc, v15, v13
	v_addc_co_u32_e32 v14, vcc, 0, v16, vcc
	v_add_co_u32_e32 v13, vcc, 0, v17
	v_addc_co_u32_e32 v14, vcc, v18, v14, vcc
	v_mov_b32_e32 v16, v14
	v_mov_b32_e32 v15, v13
; %bb.35:
	s_or_b64 exec, exec, s[4:5]
	v_and_b32_e32 v19, 16, v42
	v_mov_b32_dpp v13, v17 row_bcast:15 row_mask:0xf bank_mask:0xf
	v_mov_b32_dpp v18, v14 row_bcast:15 row_mask:0xf bank_mask:0xf
	v_cmp_ne_u32_e32 vcc, 0, v19
	s_and_saveexec_b64 s[4:5], vcc
; %bb.36:
	v_add_co_u32_e32 v17, vcc, v15, v13
	v_addc_co_u32_e32 v14, vcc, 0, v16, vcc
	v_add_co_u32_e32 v13, vcc, 0, v17
	v_addc_co_u32_e32 v14, vcc, v18, v14, vcc
	v_mov_b32_e32 v16, v14
	v_mov_b32_e32 v15, v13
; %bb.37:
	s_or_b64 exec, exec, s[4:5]
	v_mov_b32_dpp v13, v17 row_bcast:31 row_mask:0xf bank_mask:0xf
	v_mov_b32_dpp v18, v14 row_bcast:31 row_mask:0xf bank_mask:0xf
	v_cmp_lt_u32_e32 vcc, 31, v42
	s_and_saveexec_b64 s[4:5], vcc
; %bb.38:
	v_add_co_u32_e32 v17, vcc, v15, v13
	v_addc_co_u32_e32 v14, vcc, 0, v16, vcc
	v_add_co_u32_e32 v13, vcc, 0, v17
	v_addc_co_u32_e32 v14, vcc, v18, v14, vcc
	v_mov_b32_e32 v16, v14
	v_mov_b32_e32 v15, v13
; %bb.39:
	s_or_b64 exec, exec, s[4:5]
	v_or_b32_e32 v18, 63, v0
	v_lshrrev_b32_e32 v13, 6, v0
	v_cmp_eq_u32_e32 vcc, v0, v18
	s_and_saveexec_b64 s[4:5], vcc
; %bb.40:
	v_lshlrev_b32_e32 v18, 3, v13
	ds_write_b64 v18, v[15:16]
; %bb.41:
	s_or_b64 exec, exec, s[4:5]
	v_cmp_gt_u32_e32 vcc, 4, v0
	s_waitcnt lgkmcnt(0)
	s_barrier
	s_and_saveexec_b64 s[4:5], vcc
	s_cbranch_execz .LBB145_45
; %bb.42:
	v_lshlrev_b32_e32 v18, 3, v0
	ds_read_b64 v[15:16], v18
	v_and_b32_e32 v19, 3, v42
	v_cmp_ne_u32_e32 vcc, 0, v19
	s_waitcnt lgkmcnt(0)
	v_mov_b32_dpp v26, v15 row_shr:1 row_mask:0xf bank_mask:0xf
	v_mov_b32_dpp v25, v16 row_shr:1 row_mask:0xf bank_mask:0xf
	v_mov_b32_e32 v20, v15
	s_and_saveexec_b64 s[6:7], vcc
; %bb.43:
	v_add_co_u32_e32 v20, vcc, v15, v26
	v_addc_co_u32_e32 v16, vcc, 0, v16, vcc
	v_add_co_u32_e32 v15, vcc, 0, v20
	v_addc_co_u32_e32 v16, vcc, v25, v16, vcc
; %bb.44:
	s_or_b64 exec, exec, s[6:7]
	v_mov_b32_dpp v20, v20 row_shr:2 row_mask:0xf bank_mask:0xf
	v_add_co_u32_e32 v20, vcc, v15, v20
	v_addc_co_u32_e32 v26, vcc, 0, v16, vcc
	v_mov_b32_dpp v25, v16 row_shr:2 row_mask:0xf bank_mask:0xf
	v_add_co_u32_e32 v20, vcc, 0, v20
	v_addc_co_u32_e32 v25, vcc, v26, v25, vcc
	v_cmp_lt_u32_e32 vcc, 1, v19
	v_cndmask_b32_e32 v16, v16, v25, vcc
	v_cndmask_b32_e32 v15, v15, v20, vcc
	ds_write_b64 v18, v[15:16]
.LBB145_45:
	s_or_b64 exec, exec, s[4:5]
	v_cmp_gt_u32_e32 vcc, 64, v0
	v_cmp_lt_u32_e64 s[4:5], 63, v0
	s_waitcnt lgkmcnt(0)
	s_barrier
                                        ; implicit-def: $vgpr25_vgpr26
	s_and_saveexec_b64 s[6:7], s[4:5]
	s_cbranch_execz .LBB145_47
; %bb.46:
	v_lshl_add_u32 v13, v13, 3, -8
	ds_read_b64 v[25:26], v13
	s_waitcnt lgkmcnt(0)
	v_add_co_u32_e64 v17, s[4:5], v17, v25
	v_addc_co_u32_e64 v14, s[4:5], v14, v26, s[4:5]
.LBB145_47:
	s_or_b64 exec, exec, s[6:7]
	v_subrev_co_u32_e64 v13, s[4:5], 1, v42
	v_and_b32_e32 v15, 64, v42
	v_cmp_lt_i32_e64 s[6:7], v13, v15
	v_cndmask_b32_e64 v13, v13, v42, s[6:7]
	v_lshlrev_b32_e32 v13, 2, v13
	ds_bpermute_b32 v34, v13, v17
	ds_bpermute_b32 v33, v13, v14
	s_and_saveexec_b64 s[6:7], vcc
	s_cbranch_execz .LBB145_87
; %bb.48:
	v_mov_b32_e32 v16, 0
	ds_read_b64 v[13:14], v16 offset:24
	s_and_saveexec_b64 s[14:15], s[4:5]
	s_cbranch_execz .LBB145_50
; %bb.49:
	s_add_i32 s22, s24, 64
	s_mov_b32 s23, 0
	s_lshl_b64 s[22:23], s[22:23], 4
	s_add_u32 s22, s20, s22
	s_addc_u32 s23, s21, s23
	v_mov_b32_e32 v17, s22
	v_mov_b32_e32 v15, 1
	;; [unrolled: 1-line block ×3, first 2 shown]
	s_waitcnt lgkmcnt(0)
	;;#ASMSTART
	global_store_dwordx4 v[17:18], v[13:16] off	
s_waitcnt vmcnt(0)
	;;#ASMEND
.LBB145_50:
	s_or_b64 exec, exec, s[14:15]
	v_xad_u32 v27, v42, -1, s24
	v_add_u32_e32 v15, 64, v27
	v_lshlrev_b64 v[17:18], 4, v[15:16]
	v_mov_b32_e32 v15, s21
	v_add_co_u32_e32 v28, vcc, s20, v17
	v_addc_co_u32_e32 v29, vcc, v15, v18, vcc
	;;#ASMSTART
	global_load_dwordx4 v[17:20], v[28:29] off glc	
s_waitcnt vmcnt(0)
	;;#ASMEND
	v_cmp_eq_u16_sdwa s[22:23], v19, v16 src0_sel:BYTE_0 src1_sel:DWORD
	s_and_saveexec_b64 s[14:15], s[22:23]
	s_cbranch_execz .LBB145_54
; %bb.51:
	s_mov_b64 s[22:23], 0
	v_mov_b32_e32 v15, 0
.LBB145_52:                             ; =>This Inner Loop Header: Depth=1
	;;#ASMSTART
	global_load_dwordx4 v[17:20], v[28:29] off glc	
s_waitcnt vmcnt(0)
	;;#ASMEND
	v_cmp_ne_u16_sdwa s[26:27], v19, v15 src0_sel:BYTE_0 src1_sel:DWORD
	s_or_b64 s[22:23], s[26:27], s[22:23]
	s_andn2_b64 exec, exec, s[22:23]
	s_cbranch_execnz .LBB145_52
; %bb.53:
	s_or_b64 exec, exec, s[22:23]
.LBB145_54:
	s_or_b64 exec, exec, s[14:15]
	v_and_b32_e32 v45, 63, v42
	v_mov_b32_e32 v15, 2
	v_lshlrev_b64 v[29:30], v42, -1
	v_cmp_ne_u32_e32 vcc, 63, v45
	v_cmp_eq_u16_sdwa s[14:15], v19, v15 src0_sel:BYTE_0 src1_sel:DWORD
	v_addc_co_u32_e32 v20, vcc, 0, v42, vcc
	v_and_b32_e32 v15, s15, v30
	v_lshlrev_b32_e32 v46, 2, v20
	v_or_b32_e32 v15, 0x80000000, v15
	ds_bpermute_b32 v28, v46, v17
	ds_bpermute_b32 v20, v46, v18
	v_and_b32_e32 v16, s14, v29
	v_ffbl_b32_e32 v15, v15
	v_add_u32_e32 v15, 32, v15
	v_ffbl_b32_e32 v16, v16
	v_min_u32_e32 v15, v16, v15
	v_cmp_lt_u32_e32 vcc, v45, v15
	v_mov_b32_e32 v16, v17
	s_and_saveexec_b64 s[14:15], vcc
	s_cbranch_execz .LBB145_56
; %bb.55:
	s_waitcnt lgkmcnt(1)
	v_add_co_u32_e32 v16, vcc, v17, v28
	v_addc_co_u32_e32 v18, vcc, 0, v18, vcc
	v_add_co_u32_e32 v17, vcc, 0, v16
	s_waitcnt lgkmcnt(0)
	v_addc_co_u32_e32 v18, vcc, v20, v18, vcc
.LBB145_56:
	s_or_b64 exec, exec, s[14:15]
	v_cmp_gt_u32_e32 vcc, 62, v45
	s_waitcnt lgkmcnt(0)
	v_cndmask_b32_e64 v20, 0, 2, vcc
	v_add_lshl_u32 v47, v20, v42, 2
	ds_bpermute_b32 v28, v47, v16
	ds_bpermute_b32 v20, v47, v18
	v_add_u32_e32 v48, 2, v45
	v_cmp_le_u32_e32 vcc, v48, v15
	s_and_saveexec_b64 s[14:15], vcc
	s_cbranch_execz .LBB145_58
; %bb.57:
	s_waitcnt lgkmcnt(1)
	v_add_co_u32_e32 v16, vcc, v17, v28
	v_addc_co_u32_e32 v18, vcc, 0, v18, vcc
	v_add_co_u32_e32 v17, vcc, 0, v16
	s_waitcnt lgkmcnt(0)
	v_addc_co_u32_e32 v18, vcc, v20, v18, vcc
.LBB145_58:
	s_or_b64 exec, exec, s[14:15]
	v_cmp_gt_u32_e32 vcc, 60, v45
	s_waitcnt lgkmcnt(0)
	v_cndmask_b32_e64 v20, 0, 4, vcc
	v_add_lshl_u32 v49, v20, v42, 2
	ds_bpermute_b32 v28, v49, v16
	ds_bpermute_b32 v20, v49, v18
	v_add_u32_e32 v50, 4, v45
	v_cmp_le_u32_e32 vcc, v50, v15
	;; [unrolled: 19-line block ×4, first 2 shown]
	s_and_saveexec_b64 s[14:15], vcc
	s_cbranch_execz .LBB145_64
; %bb.63:
	s_waitcnt lgkmcnt(1)
	v_add_co_u32_e32 v16, vcc, v17, v28
	v_addc_co_u32_e32 v18, vcc, 0, v18, vcc
	v_add_co_u32_e32 v17, vcc, 0, v16
	s_waitcnt lgkmcnt(0)
	v_addc_co_u32_e32 v18, vcc, v20, v18, vcc
.LBB145_64:
	s_or_b64 exec, exec, s[14:15]
	s_waitcnt lgkmcnt(0)
	v_mov_b32_e32 v20, 0x80
	v_lshl_or_b32 v55, v42, 2, v20
	ds_bpermute_b32 v16, v55, v16
	ds_bpermute_b32 v20, v55, v18
	v_add_u32_e32 v56, 32, v45
	v_mov_b32_e32 v28, 0
	v_mov_b32_e32 v57, 2
	s_waitcnt lgkmcnt(1)
	v_add_co_u32_e32 v16, vcc, v17, v16
	v_addc_co_u32_e32 v31, vcc, 0, v18, vcc
	v_add_co_u32_e32 v16, vcc, 0, v16
	s_waitcnt lgkmcnt(0)
	v_addc_co_u32_e32 v20, vcc, v31, v20, vcc
	v_cmp_gt_u32_e32 vcc, v56, v15
	v_cndmask_b32_e32 v18, v20, v18, vcc
	v_cndmask_b32_e32 v17, v16, v17, vcc
	s_branch .LBB145_67
.LBB145_65:                             ;   in Loop: Header=BB145_67 Depth=1
	s_or_b64 exec, exec, s[14:15]
	ds_bpermute_b32 v31, v55, v31
	s_waitcnt lgkmcnt(1)
	ds_bpermute_b32 v32, v55, v18
	v_subrev_u32_e32 v27, 64, v27
	s_mov_b64 s[14:15], 0
	s_waitcnt lgkmcnt(1)
	v_add_co_u32_e32 v31, vcc, v17, v31
	v_addc_co_u32_e32 v58, vcc, 0, v18, vcc
	v_add_co_u32_e32 v31, vcc, 0, v31
	s_waitcnt lgkmcnt(0)
	v_addc_co_u32_e32 v32, vcc, v58, v32, vcc
	v_cmp_gt_u32_e32 vcc, v56, v20
	v_cndmask_b32_e32 v17, v31, v17, vcc
	v_cndmask_b32_e32 v18, v32, v18, vcc
	v_add_co_u32_e32 v17, vcc, v17, v15
	v_addc_co_u32_e32 v18, vcc, v18, v16, vcc
.LBB145_66:                             ;   in Loop: Header=BB145_67 Depth=1
	s_and_b64 vcc, exec, s[14:15]
	s_cbranch_vccnz .LBB145_83
.LBB145_67:                             ; =>This Loop Header: Depth=1
                                        ;     Child Loop BB145_70 Depth 2
	v_mov_b32_e32 v15, v17
	v_cmp_ne_u16_sdwa s[14:15], v19, v57 src0_sel:BYTE_0 src1_sel:DWORD
	v_mov_b32_e32 v16, v18
	s_cmp_lg_u64 s[14:15], exec
	s_mov_b64 s[14:15], -1
                                        ; implicit-def: $vgpr17_vgpr18
                                        ; implicit-def: $vgpr19
	s_cbranch_scc1 .LBB145_66
; %bb.68:                               ;   in Loop: Header=BB145_67 Depth=1
	v_lshlrev_b64 v[17:18], 4, v[27:28]
	v_mov_b32_e32 v19, s21
	v_add_co_u32_e32 v31, vcc, s20, v17
	v_addc_co_u32_e32 v32, vcc, v19, v18, vcc
	;;#ASMSTART
	global_load_dwordx4 v[17:20], v[31:32] off glc	
s_waitcnt vmcnt(0)
	;;#ASMEND
	v_cmp_eq_u16_sdwa s[22:23], v19, v28 src0_sel:BYTE_0 src1_sel:DWORD
	s_and_saveexec_b64 s[14:15], s[22:23]
	s_cbranch_execz .LBB145_72
; %bb.69:                               ;   in Loop: Header=BB145_67 Depth=1
	s_mov_b64 s[22:23], 0
.LBB145_70:                             ;   Parent Loop BB145_67 Depth=1
                                        ; =>  This Inner Loop Header: Depth=2
	;;#ASMSTART
	global_load_dwordx4 v[17:20], v[31:32] off glc	
s_waitcnt vmcnt(0)
	;;#ASMEND
	v_cmp_ne_u16_sdwa s[26:27], v19, v28 src0_sel:BYTE_0 src1_sel:DWORD
	s_or_b64 s[22:23], s[26:27], s[22:23]
	s_andn2_b64 exec, exec, s[22:23]
	s_cbranch_execnz .LBB145_70
; %bb.71:                               ;   in Loop: Header=BB145_67 Depth=1
	s_or_b64 exec, exec, s[22:23]
.LBB145_72:                             ;   in Loop: Header=BB145_67 Depth=1
	s_or_b64 exec, exec, s[14:15]
	v_cmp_eq_u16_sdwa s[14:15], v19, v57 src0_sel:BYTE_0 src1_sel:DWORD
	v_and_b32_e32 v20, s15, v30
	v_or_b32_e32 v20, 0x80000000, v20
	ds_bpermute_b32 v58, v46, v17
	ds_bpermute_b32 v32, v46, v18
	v_and_b32_e32 v31, s14, v29
	v_ffbl_b32_e32 v20, v20
	v_add_u32_e32 v20, 32, v20
	v_ffbl_b32_e32 v31, v31
	v_min_u32_e32 v20, v31, v20
	v_cmp_lt_u32_e32 vcc, v45, v20
	v_mov_b32_e32 v31, v17
	s_and_saveexec_b64 s[14:15], vcc
	s_cbranch_execz .LBB145_74
; %bb.73:                               ;   in Loop: Header=BB145_67 Depth=1
	s_waitcnt lgkmcnt(1)
	v_add_co_u32_e32 v31, vcc, v17, v58
	v_addc_co_u32_e32 v18, vcc, 0, v18, vcc
	v_add_co_u32_e32 v17, vcc, 0, v31
	s_waitcnt lgkmcnt(0)
	v_addc_co_u32_e32 v18, vcc, v32, v18, vcc
.LBB145_74:                             ;   in Loop: Header=BB145_67 Depth=1
	s_or_b64 exec, exec, s[14:15]
	s_waitcnt lgkmcnt(1)
	ds_bpermute_b32 v58, v47, v31
	s_waitcnt lgkmcnt(1)
	ds_bpermute_b32 v32, v47, v18
	v_cmp_le_u32_e32 vcc, v48, v20
	s_and_saveexec_b64 s[14:15], vcc
	s_cbranch_execz .LBB145_76
; %bb.75:                               ;   in Loop: Header=BB145_67 Depth=1
	s_waitcnt lgkmcnt(1)
	v_add_co_u32_e32 v31, vcc, v17, v58
	v_addc_co_u32_e32 v18, vcc, 0, v18, vcc
	v_add_co_u32_e32 v17, vcc, 0, v31
	s_waitcnt lgkmcnt(0)
	v_addc_co_u32_e32 v18, vcc, v32, v18, vcc
.LBB145_76:                             ;   in Loop: Header=BB145_67 Depth=1
	s_or_b64 exec, exec, s[14:15]
	s_waitcnt lgkmcnt(1)
	ds_bpermute_b32 v58, v49, v31
	s_waitcnt lgkmcnt(1)
	ds_bpermute_b32 v32, v49, v18
	v_cmp_le_u32_e32 vcc, v50, v20
	;; [unrolled: 16-line block ×4, first 2 shown]
	s_and_saveexec_b64 s[14:15], vcc
	s_cbranch_execz .LBB145_65
; %bb.81:                               ;   in Loop: Header=BB145_67 Depth=1
	s_waitcnt lgkmcnt(1)
	v_add_co_u32_e32 v31, vcc, v17, v58
	v_addc_co_u32_e32 v18, vcc, 0, v18, vcc
	v_add_co_u32_e32 v17, vcc, 0, v31
	s_waitcnt lgkmcnt(0)
	v_addc_co_u32_e32 v18, vcc, v32, v18, vcc
	s_branch .LBB145_65
.LBB145_82:
                                        ; implicit-def: $vgpr19_vgpr20
                                        ; implicit-def: $vgpr17_vgpr18
                                        ; implicit-def: $vgpr25_vgpr26
                                        ; implicit-def: $vgpr27_vgpr28
                                        ; implicit-def: $vgpr29_vgpr30
                                        ; implicit-def: $vgpr31_vgpr32
                                        ; implicit-def: $vgpr33_vgpr34
                                        ; implicit-def: $vgpr15_vgpr16
	s_cbranch_execnz .LBB145_88
	s_branch .LBB145_109
.LBB145_83:
	s_and_saveexec_b64 s[14:15], s[4:5]
	s_cbranch_execz .LBB145_85
; %bb.84:
	s_add_i32 s22, s24, 64
	s_mov_b32 s23, 0
	s_lshl_b64 s[22:23], s[22:23], 4
	s_add_u32 s22, s20, s22
	s_addc_u32 s23, s21, s23
	v_add_co_u32_e32 v17, vcc, v15, v13
	v_mov_b32_e32 v28, s23
	v_addc_co_u32_e32 v18, vcc, v16, v14, vcc
	v_mov_b32_e32 v19, 2
	v_mov_b32_e32 v20, 0
	v_mov_b32_e32 v27, s22
	;;#ASMSTART
	global_store_dwordx4 v[27:28], v[17:20] off	
s_waitcnt vmcnt(0)
	;;#ASMEND
	ds_write_b128 v20, v[13:16] offset:14336
.LBB145_85:
	s_or_b64 exec, exec, s[14:15]
	s_and_b64 exec, exec, s[0:1]
; %bb.86:
	v_mov_b32_e32 v13, 0
	ds_write_b64 v13, v[15:16] offset:24
.LBB145_87:
	s_or_b64 exec, exec, s[6:7]
	v_mov_b32_e32 v16, 0
	s_waitcnt lgkmcnt(0)
	s_barrier
	ds_read_b64 v[13:14], v16 offset:24
	v_cndmask_b32_e64 v15, v34, v25, s[4:5]
	v_cndmask_b32_e64 v17, v33, v26, s[4:5]
	;; [unrolled: 1-line block ×4, first 2 shown]
	s_waitcnt lgkmcnt(0)
	v_add_co_u32_e32 v33, vcc, v13, v15
	v_addc_co_u32_e32 v34, vcc, v14, v17, vcc
	v_add_co_u32_e32 v31, vcc, v33, v41
	v_addc_co_u32_e32 v32, vcc, 0, v34, vcc
	v_add_co_u32_e32 v29, vcc, v31, v40
	v_addc_co_u32_e32 v30, vcc, 0, v32, vcc
	v_add_co_u32_e32 v27, vcc, v29, v39
	v_addc_co_u32_e32 v28, vcc, 0, v30, vcc
	v_add_co_u32_e32 v25, vcc, v27, v38
	v_addc_co_u32_e32 v26, vcc, 0, v28, vcc
	s_barrier
	ds_read_b128 v[13:16], v16 offset:14336
	v_add_co_u32_e32 v17, vcc, v25, v37
	v_addc_co_u32_e32 v18, vcc, 0, v26, vcc
	v_add_co_u32_e32 v19, vcc, v17, v36
	v_addc_co_u32_e32 v20, vcc, 0, v18, vcc
	s_branch .LBB145_109
.LBB145_88:
	s_waitcnt lgkmcnt(0)
	v_mov_b32_e32 v14, 0
	v_mov_b32_dpp v16, v23 row_shr:1 row_mask:0xf bank_mask:0xf
	v_mov_b32_e32 v15, v23
	v_mov_b32_dpp v13, v14 row_shr:1 row_mask:0xf bank_mask:0xf
	s_and_saveexec_b64 s[4:5], s[2:3]
; %bb.89:
	v_add_co_u32_e32 v15, vcc, v23, v16
	v_addc_co_u32_e32 v14, vcc, 0, v24, vcc
	v_add_co_u32_e32 v23, vcc, 0, v15
	v_addc_co_u32_e32 v24, vcc, v13, v14, vcc
	v_mov_b32_e32 v14, v24
; %bb.90:
	s_or_b64 exec, exec, s[4:5]
	v_mov_b32_dpp v13, v15 row_shr:2 row_mask:0xf bank_mask:0xf
	v_mov_b32_dpp v16, v14 row_shr:2 row_mask:0xf bank_mask:0xf
	v_cmp_lt_u32_e32 vcc, 1, v44
	s_and_saveexec_b64 s[2:3], vcc
; %bb.91:
	v_add_co_u32_e32 v15, vcc, v23, v13
	v_addc_co_u32_e32 v14, vcc, 0, v24, vcc
	v_add_co_u32_e32 v13, vcc, 0, v15
	v_addc_co_u32_e32 v14, vcc, v16, v14, vcc
	v_mov_b32_e32 v24, v14
	v_mov_b32_e32 v23, v13
; %bb.92:
	s_or_b64 exec, exec, s[2:3]
	v_mov_b32_dpp v13, v15 row_shr:4 row_mask:0xf bank_mask:0xf
	v_mov_b32_dpp v16, v14 row_shr:4 row_mask:0xf bank_mask:0xf
	v_cmp_lt_u32_e32 vcc, 3, v44
	s_and_saveexec_b64 s[2:3], vcc
; %bb.93:
	v_add_co_u32_e32 v15, vcc, v23, v13
	v_addc_co_u32_e32 v14, vcc, 0, v24, vcc
	v_add_co_u32_e32 v13, vcc, 0, v15
	v_addc_co_u32_e32 v14, vcc, v16, v14, vcc
	v_mov_b32_e32 v24, v14
	;; [unrolled: 13-line block ×3, first 2 shown]
	v_mov_b32_e32 v23, v13
; %bb.96:
	s_or_b64 exec, exec, s[2:3]
	v_and_b32_e32 v17, 16, v42
	v_mov_b32_dpp v16, v15 row_bcast:15 row_mask:0xf bank_mask:0xf
	v_mov_b32_dpp v13, v14 row_bcast:15 row_mask:0xf bank_mask:0xf
	v_cmp_ne_u32_e32 vcc, 0, v17
	s_and_saveexec_b64 s[2:3], vcc
; %bb.97:
	v_add_co_u32_e32 v15, vcc, v23, v16
	v_addc_co_u32_e32 v14, vcc, 0, v24, vcc
	v_add_co_u32_e32 v23, vcc, 0, v15
	v_addc_co_u32_e32 v24, vcc, v13, v14, vcc
	v_mov_b32_e32 v14, v24
; %bb.98:
	s_or_b64 exec, exec, s[2:3]
	v_mov_b32_dpp v13, v15 row_bcast:31 row_mask:0xf bank_mask:0xf
	v_add_co_u32_e32 v13, vcc, v23, v13
	v_addc_co_u32_e32 v15, vcc, 0, v24, vcc
	v_mov_b32_dpp v14, v14 row_bcast:31 row_mask:0xf bank_mask:0xf
	v_add_co_u32_e32 v13, vcc, 0, v13
	v_addc_co_u32_e32 v14, vcc, v15, v14, vcc
	v_cmp_lt_u32_e32 vcc, 31, v42
	v_or_b32_e32 v15, 63, v0
	v_cndmask_b32_e32 v14, v24, v14, vcc
	v_cndmask_b32_e32 v13, v23, v13, vcc
	v_lshrrev_b32_e32 v19, 6, v0
	v_cmp_eq_u32_e32 vcc, v0, v15
	s_and_saveexec_b64 s[2:3], vcc
; %bb.99:
	v_lshlrev_b32_e32 v15, 3, v19
	ds_write_b64 v15, v[13:14]
; %bb.100:
	s_or_b64 exec, exec, s[2:3]
	v_cmp_gt_u32_e32 vcc, 4, v0
	s_waitcnt lgkmcnt(0)
	s_barrier
	s_and_saveexec_b64 s[2:3], vcc
	s_cbranch_execz .LBB145_104
; %bb.101:
	v_add_u32_e32 v17, v43, v0
	ds_read_b64 v[15:16], v17
	v_and_b32_e32 v18, 3, v42
	v_cmp_ne_u32_e32 vcc, 0, v18
	s_waitcnt lgkmcnt(0)
	v_mov_b32_dpp v24, v15 row_shr:1 row_mask:0xf bank_mask:0xf
	v_mov_b32_dpp v23, v16 row_shr:1 row_mask:0xf bank_mask:0xf
	v_mov_b32_e32 v20, v15
	s_and_saveexec_b64 s[4:5], vcc
; %bb.102:
	v_add_co_u32_e32 v20, vcc, v15, v24
	v_addc_co_u32_e32 v16, vcc, 0, v16, vcc
	v_add_co_u32_e32 v15, vcc, 0, v20
	v_addc_co_u32_e32 v16, vcc, v23, v16, vcc
; %bb.103:
	s_or_b64 exec, exec, s[4:5]
	v_mov_b32_dpp v20, v20 row_shr:2 row_mask:0xf bank_mask:0xf
	v_add_co_u32_e32 v20, vcc, v15, v20
	v_addc_co_u32_e32 v24, vcc, 0, v16, vcc
	v_mov_b32_dpp v23, v16 row_shr:2 row_mask:0xf bank_mask:0xf
	v_add_co_u32_e32 v20, vcc, 0, v20
	v_addc_co_u32_e32 v23, vcc, v24, v23, vcc
	v_cmp_lt_u32_e32 vcc, 1, v18
	v_cndmask_b32_e32 v16, v16, v23, vcc
	v_cndmask_b32_e32 v15, v15, v20, vcc
	ds_write_b64 v17, v[15:16]
.LBB145_104:
	s_or_b64 exec, exec, s[2:3]
	v_mov_b32_e32 v17, 0
	v_mov_b32_e32 v18, 0
	v_cmp_lt_u32_e32 vcc, 63, v0
	s_waitcnt lgkmcnt(0)
	s_barrier
	s_and_saveexec_b64 s[2:3], vcc
; %bb.105:
	v_lshl_add_u32 v15, v19, 3, -8
	ds_read_b64 v[17:18], v15
; %bb.106:
	s_or_b64 exec, exec, s[2:3]
	s_waitcnt lgkmcnt(0)
	v_add_co_u32_e32 v13, vcc, v17, v13
	v_addc_co_u32_e32 v14, vcc, v18, v14, vcc
	v_subrev_co_u32_e32 v15, vcc, 1, v42
	v_and_b32_e32 v16, 64, v42
	v_cmp_lt_i32_e64 s[2:3], v15, v16
	v_cndmask_b32_e64 v15, v15, v42, s[2:3]
	v_lshlrev_b32_e32 v15, 2, v15
	v_mov_b32_e32 v16, 0
	ds_bpermute_b32 v19, v15, v13
	ds_bpermute_b32 v20, v15, v14
	ds_read_b64 v[13:14], v16 offset:24
	s_and_saveexec_b64 s[2:3], s[0:1]
	s_cbranch_execz .LBB145_108
; %bb.107:
	s_add_u32 s4, s20, 0x400
	s_addc_u32 s5, s21, 0
	v_mov_b32_e32 v24, s5
	v_mov_b32_e32 v15, 2
	;; [unrolled: 1-line block ×3, first 2 shown]
	s_waitcnt lgkmcnt(0)
	;;#ASMSTART
	global_store_dwordx4 v[23:24], v[13:16] off	
s_waitcnt vmcnt(0)
	;;#ASMEND
.LBB145_108:
	s_or_b64 exec, exec, s[2:3]
	s_waitcnt lgkmcnt(2)
	v_cndmask_b32_e32 v15, v19, v17, vcc
	s_waitcnt lgkmcnt(1)
	v_cndmask_b32_e32 v16, v20, v18, vcc
	v_cndmask_b32_e64 v33, v15, 0, s[0:1]
	v_cndmask_b32_e64 v34, v16, 0, s[0:1]
	v_add_co_u32_e32 v31, vcc, v33, v41
	v_addc_co_u32_e32 v32, vcc, 0, v34, vcc
	v_add_co_u32_e32 v29, vcc, v31, v40
	v_addc_co_u32_e32 v30, vcc, 0, v32, vcc
	v_add_co_u32_e32 v27, vcc, v29, v39
	v_addc_co_u32_e32 v28, vcc, 0, v30, vcc
	v_add_co_u32_e32 v25, vcc, v27, v38
	v_addc_co_u32_e32 v26, vcc, 0, v28, vcc
	v_add_co_u32_e32 v17, vcc, v25, v37
	v_addc_co_u32_e32 v18, vcc, 0, v26, vcc
	v_add_co_u32_e32 v19, vcc, v17, v36
	v_mov_b32_e32 v15, 0
	v_addc_co_u32_e32 v20, vcc, 0, v18, vcc
	s_waitcnt lgkmcnt(0)
	s_barrier
	v_mov_b32_e32 v16, 0
.LBB145_109:
	s_mov_b64 s[2:3], 0x101
	s_waitcnt lgkmcnt(0)
	v_cmp_gt_u64_e32 vcc, s[2:3], v[13:14]
	s_mov_b64 s[4:5], -1
	v_cmp_eq_u32_e64 s[2:3], 1, v41
	s_cbranch_vccnz .LBB145_113
; %bb.110:
	s_and_b64 vcc, exec, s[4:5]
	s_cbranch_vccnz .LBB145_128
.LBB145_111:
	s_and_b64 s[0:1], s[0:1], s[12:13]
	s_and_saveexec_b64 s[2:3], s[0:1]
	s_cbranch_execnz .LBB145_139
.LBB145_112:
	s_endpgm
.LBB145_113:
	v_add_co_u32_e32 v23, vcc, v15, v13
	v_addc_co_u32_e32 v24, vcc, v16, v14, vcc
	v_cmp_lt_u64_e32 vcc, v[33:34], v[23:24]
	s_or_b64 s[4:5], s[18:19], vcc
	s_and_b64 s[4:5], s[4:5], s[2:3]
	s_and_saveexec_b64 s[2:3], s[4:5]
	s_cbranch_execz .LBB145_115
; %bb.114:
	s_lshl_b64 s[4:5], s[10:11], 3
	s_add_u32 s4, s16, s4
	v_lshlrev_b64 v[42:43], 3, v[33:34]
	s_addc_u32 s5, s17, s5
	v_mov_b32_e32 v34, s5
	v_add_co_u32_e32 v42, vcc, s4, v42
	v_addc_co_u32_e32 v43, vcc, v34, v43, vcc
	global_store_dwordx2 v[42:43], v[9:10], off
.LBB145_115:
	s_or_b64 exec, exec, s[2:3]
	v_cmp_lt_u64_e32 vcc, v[31:32], v[23:24]
	s_or_b64 s[2:3], s[18:19], vcc
	v_cmp_eq_u32_e32 vcc, 1, v40
	s_and_b64 s[4:5], s[2:3], vcc
	s_and_saveexec_b64 s[2:3], s[4:5]
	s_cbranch_execz .LBB145_117
; %bb.116:
	s_lshl_b64 s[4:5], s[10:11], 3
	s_add_u32 s4, s16, s4
	v_lshlrev_b64 v[42:43], 3, v[31:32]
	s_addc_u32 s5, s17, s5
	v_mov_b32_e32 v32, s5
	v_add_co_u32_e32 v42, vcc, s4, v42
	v_addc_co_u32_e32 v43, vcc, v32, v43, vcc
	global_store_dwordx2 v[42:43], v[11:12], off
.LBB145_117:
	s_or_b64 exec, exec, s[2:3]
	v_cmp_lt_u64_e32 vcc, v[29:30], v[23:24]
	s_or_b64 s[2:3], s[18:19], vcc
	v_cmp_eq_u32_e32 vcc, 1, v39
	s_and_b64 s[4:5], s[2:3], vcc
	;; [unrolled: 17-line block ×6, first 2 shown]
	s_and_saveexec_b64 s[2:3], s[4:5]
	s_cbranch_execz .LBB145_127
; %bb.126:
	s_lshl_b64 s[4:5], s[10:11], 3
	s_add_u32 s4, s16, s4
	v_lshlrev_b64 v[23:24], 3, v[19:20]
	s_addc_u32 s5, s17, s5
	v_mov_b32_e32 v18, s5
	v_add_co_u32_e32 v23, vcc, s4, v23
	v_addc_co_u32_e32 v24, vcc, v18, v24, vcc
	global_store_dwordx2 v[23:24], v[21:22], off
.LBB145_127:
	s_or_b64 exec, exec, s[2:3]
	s_branch .LBB145_111
.LBB145_128:
	v_cmp_eq_u32_e32 vcc, 1, v41
	s_and_saveexec_b64 s[2:3], vcc
	s_cbranch_execnz .LBB145_140
; %bb.129:
	s_or_b64 exec, exec, s[2:3]
	v_cmp_eq_u32_e32 vcc, 1, v40
	s_and_saveexec_b64 s[2:3], vcc
	s_cbranch_execnz .LBB145_141
.LBB145_130:
	s_or_b64 exec, exec, s[2:3]
	v_cmp_eq_u32_e32 vcc, 1, v39
	s_and_saveexec_b64 s[2:3], vcc
	s_cbranch_execnz .LBB145_142
.LBB145_131:
	s_or_b64 exec, exec, s[2:3]
	v_cmp_eq_u32_e32 vcc, 1, v38
	s_and_saveexec_b64 s[2:3], vcc
	s_cbranch_execnz .LBB145_143
.LBB145_132:
	s_or_b64 exec, exec, s[2:3]
	v_cmp_eq_u32_e32 vcc, 1, v37
	s_and_saveexec_b64 s[2:3], vcc
	s_cbranch_execnz .LBB145_144
.LBB145_133:
	s_or_b64 exec, exec, s[2:3]
	v_cmp_eq_u32_e32 vcc, 1, v36
	s_and_saveexec_b64 s[2:3], vcc
	s_cbranch_execnz .LBB145_145
.LBB145_134:
	s_or_b64 exec, exec, s[2:3]
	v_cmp_eq_u32_e32 vcc, 1, v35
	s_and_saveexec_b64 s[2:3], vcc
.LBB145_135:
	v_sub_u32_e32 v1, v19, v15
	v_lshlrev_b32_e32 v1, 3, v1
	ds_write_b64 v1, v[21:22]
.LBB145_136:
	s_or_b64 exec, exec, s[2:3]
	v_lshlrev_b64 v[4:5], 3, v[15:16]
	v_mov_b32_e32 v6, s17
	v_add_co_u32_e32 v4, vcc, s16, v4
	v_mov_b32_e32 v1, 0
	v_addc_co_u32_e32 v5, vcc, v6, v5, vcc
	s_lshl_b64 s[2:3], s[10:11], 3
	v_mov_b32_e32 v3, v1
	v_mov_b32_e32 v6, s3
	v_add_co_u32_e32 v4, vcc, s2, v4
	v_mov_b32_e32 v2, v0
	v_addc_co_u32_e32 v5, vcc, v5, v6, vcc
	v_or_b32_e32 v0, 0x100, v0
	s_mov_b64 s[4:5], 0
	s_waitcnt vmcnt(0) lgkmcnt(0)
	s_barrier
.LBB145_137:                            ; =>This Inner Loop Header: Depth=1
	v_lshlrev_b32_e32 v8, 3, v2
	ds_read_b64 v[8:9], v8
	v_lshlrev_b64 v[6:7], 3, v[2:3]
	v_cmp_le_u64_e32 vcc, v[13:14], v[0:1]
	v_mov_b32_e32 v3, v1
	v_add_co_u32_e64 v6, s[2:3], v4, v6
	v_mov_b32_e32 v2, v0
	v_add_u32_e32 v0, 0x100, v0
	v_addc_co_u32_e64 v7, s[2:3], v5, v7, s[2:3]
	s_or_b64 s[4:5], vcc, s[4:5]
	s_waitcnt lgkmcnt(0)
	global_store_dwordx2 v[6:7], v[8:9], off
	s_andn2_b64 exec, exec, s[4:5]
	s_cbranch_execnz .LBB145_137
; %bb.138:
	s_or_b64 exec, exec, s[4:5]
	s_and_b64 s[0:1], s[0:1], s[12:13]
	s_and_saveexec_b64 s[2:3], s[0:1]
	s_cbranch_execz .LBB145_112
.LBB145_139:
	v_add_co_u32_e32 v0, vcc, v15, v13
	v_addc_co_u32_e32 v1, vcc, v16, v14, vcc
	v_mov_b32_e32 v3, s11
	v_add_co_u32_e32 v0, vcc, s10, v0
	v_mov_b32_e32 v2, 0
	v_addc_co_u32_e32 v1, vcc, v1, v3, vcc
	global_store_dwordx2 v2, v[0:1], s[8:9]
	s_endpgm
.LBB145_140:
	v_sub_u32_e32 v18, v33, v15
	v_lshlrev_b32_e32 v18, 3, v18
	ds_write_b64 v18, v[9:10]
	s_or_b64 exec, exec, s[2:3]
	v_cmp_eq_u32_e32 vcc, 1, v40
	s_and_saveexec_b64 s[2:3], vcc
	s_cbranch_execz .LBB145_130
.LBB145_141:
	v_sub_u32_e32 v9, v31, v15
	v_lshlrev_b32_e32 v9, 3, v9
	ds_write_b64 v9, v[11:12]
	s_or_b64 exec, exec, s[2:3]
	v_cmp_eq_u32_e32 vcc, 1, v39
	s_and_saveexec_b64 s[2:3], vcc
	s_cbranch_execz .LBB145_131
.LBB145_142:
	v_sub_u32_e32 v9, v29, v15
	v_lshlrev_b32_e32 v9, 3, v9
	ds_write_b64 v9, v[5:6]
	s_or_b64 exec, exec, s[2:3]
	v_cmp_eq_u32_e32 vcc, 1, v38
	s_and_saveexec_b64 s[2:3], vcc
	s_cbranch_execz .LBB145_132
.LBB145_143:
	v_sub_u32_e32 v5, v27, v15
	v_lshlrev_b32_e32 v5, 3, v5
	ds_write_b64 v5, v[7:8]
	s_or_b64 exec, exec, s[2:3]
	v_cmp_eq_u32_e32 vcc, 1, v37
	s_and_saveexec_b64 s[2:3], vcc
	s_cbranch_execz .LBB145_133
.LBB145_144:
	v_sub_u32_e32 v5, v25, v15
	v_lshlrev_b32_e32 v5, 3, v5
	ds_write_b64 v5, v[1:2]
	s_or_b64 exec, exec, s[2:3]
	v_cmp_eq_u32_e32 vcc, 1, v36
	s_and_saveexec_b64 s[2:3], vcc
	s_cbranch_execz .LBB145_134
.LBB145_145:
	v_sub_u32_e32 v1, v17, v15
	v_lshlrev_b32_e32 v1, 3, v1
	ds_write_b64 v1, v[3:4]
	s_or_b64 exec, exec, s[2:3]
	v_cmp_eq_u32_e32 vcc, 1, v35
	s_and_saveexec_b64 s[2:3], vcc
	s_cbranch_execnz .LBB145_135
	s_branch .LBB145_136
	.section	.rodata,"a",@progbits
	.p2align	6, 0x0
	.amdhsa_kernel _ZN7rocprim17ROCPRIM_400000_NS6detail17trampoline_kernelINS0_14default_configENS1_25partition_config_selectorILNS1_17partition_subalgoE5ElNS0_10empty_typeEbEEZZNS1_14partition_implILS5_5ELb0ES3_mN6hipcub16HIPCUB_304000_NS21CountingInputIteratorIllEEPS6_NSA_22TransformInputIteratorIb7NonZeroIsEPslEENS0_5tupleIJPlS6_EEENSJ_IJSD_SD_EEES6_SK_JS6_EEE10hipError_tPvRmT3_T4_T5_T6_T7_T9_mT8_P12ihipStream_tbDpT10_ENKUlT_T0_E_clISt17integral_constantIbLb0EES15_IbLb1EEEEDaS11_S12_EUlS11_E_NS1_11comp_targetILNS1_3genE2ELNS1_11target_archE906ELNS1_3gpuE6ELNS1_3repE0EEENS1_30default_config_static_selectorELNS0_4arch9wavefront6targetE1EEEvT1_
		.amdhsa_group_segment_fixed_size 14352
		.amdhsa_private_segment_fixed_size 0
		.amdhsa_kernarg_size 136
		.amdhsa_user_sgpr_count 6
		.amdhsa_user_sgpr_private_segment_buffer 1
		.amdhsa_user_sgpr_dispatch_ptr 0
		.amdhsa_user_sgpr_queue_ptr 0
		.amdhsa_user_sgpr_kernarg_segment_ptr 1
		.amdhsa_user_sgpr_dispatch_id 0
		.amdhsa_user_sgpr_flat_scratch_init 0
		.amdhsa_user_sgpr_private_segment_size 0
		.amdhsa_uses_dynamic_stack 0
		.amdhsa_system_sgpr_private_segment_wavefront_offset 0
		.amdhsa_system_sgpr_workgroup_id_x 1
		.amdhsa_system_sgpr_workgroup_id_y 0
		.amdhsa_system_sgpr_workgroup_id_z 0
		.amdhsa_system_sgpr_workgroup_info 0
		.amdhsa_system_vgpr_workitem_id 0
		.amdhsa_next_free_vgpr 59
		.amdhsa_next_free_sgpr 98
		.amdhsa_reserve_vcc 1
		.amdhsa_reserve_flat_scratch 0
		.amdhsa_float_round_mode_32 0
		.amdhsa_float_round_mode_16_64 0
		.amdhsa_float_denorm_mode_32 3
		.amdhsa_float_denorm_mode_16_64 3
		.amdhsa_dx10_clamp 1
		.amdhsa_ieee_mode 1
		.amdhsa_fp16_overflow 0
		.amdhsa_exception_fp_ieee_invalid_op 0
		.amdhsa_exception_fp_denorm_src 0
		.amdhsa_exception_fp_ieee_div_zero 0
		.amdhsa_exception_fp_ieee_overflow 0
		.amdhsa_exception_fp_ieee_underflow 0
		.amdhsa_exception_fp_ieee_inexact 0
		.amdhsa_exception_int_div_zero 0
	.end_amdhsa_kernel
	.section	.text._ZN7rocprim17ROCPRIM_400000_NS6detail17trampoline_kernelINS0_14default_configENS1_25partition_config_selectorILNS1_17partition_subalgoE5ElNS0_10empty_typeEbEEZZNS1_14partition_implILS5_5ELb0ES3_mN6hipcub16HIPCUB_304000_NS21CountingInputIteratorIllEEPS6_NSA_22TransformInputIteratorIb7NonZeroIsEPslEENS0_5tupleIJPlS6_EEENSJ_IJSD_SD_EEES6_SK_JS6_EEE10hipError_tPvRmT3_T4_T5_T6_T7_T9_mT8_P12ihipStream_tbDpT10_ENKUlT_T0_E_clISt17integral_constantIbLb0EES15_IbLb1EEEEDaS11_S12_EUlS11_E_NS1_11comp_targetILNS1_3genE2ELNS1_11target_archE906ELNS1_3gpuE6ELNS1_3repE0EEENS1_30default_config_static_selectorELNS0_4arch9wavefront6targetE1EEEvT1_,"axG",@progbits,_ZN7rocprim17ROCPRIM_400000_NS6detail17trampoline_kernelINS0_14default_configENS1_25partition_config_selectorILNS1_17partition_subalgoE5ElNS0_10empty_typeEbEEZZNS1_14partition_implILS5_5ELb0ES3_mN6hipcub16HIPCUB_304000_NS21CountingInputIteratorIllEEPS6_NSA_22TransformInputIteratorIb7NonZeroIsEPslEENS0_5tupleIJPlS6_EEENSJ_IJSD_SD_EEES6_SK_JS6_EEE10hipError_tPvRmT3_T4_T5_T6_T7_T9_mT8_P12ihipStream_tbDpT10_ENKUlT_T0_E_clISt17integral_constantIbLb0EES15_IbLb1EEEEDaS11_S12_EUlS11_E_NS1_11comp_targetILNS1_3genE2ELNS1_11target_archE906ELNS1_3gpuE6ELNS1_3repE0EEENS1_30default_config_static_selectorELNS0_4arch9wavefront6targetE1EEEvT1_,comdat
.Lfunc_end145:
	.size	_ZN7rocprim17ROCPRIM_400000_NS6detail17trampoline_kernelINS0_14default_configENS1_25partition_config_selectorILNS1_17partition_subalgoE5ElNS0_10empty_typeEbEEZZNS1_14partition_implILS5_5ELb0ES3_mN6hipcub16HIPCUB_304000_NS21CountingInputIteratorIllEEPS6_NSA_22TransformInputIteratorIb7NonZeroIsEPslEENS0_5tupleIJPlS6_EEENSJ_IJSD_SD_EEES6_SK_JS6_EEE10hipError_tPvRmT3_T4_T5_T6_T7_T9_mT8_P12ihipStream_tbDpT10_ENKUlT_T0_E_clISt17integral_constantIbLb0EES15_IbLb1EEEEDaS11_S12_EUlS11_E_NS1_11comp_targetILNS1_3genE2ELNS1_11target_archE906ELNS1_3gpuE6ELNS1_3repE0EEENS1_30default_config_static_selectorELNS0_4arch9wavefront6targetE1EEEvT1_, .Lfunc_end145-_ZN7rocprim17ROCPRIM_400000_NS6detail17trampoline_kernelINS0_14default_configENS1_25partition_config_selectorILNS1_17partition_subalgoE5ElNS0_10empty_typeEbEEZZNS1_14partition_implILS5_5ELb0ES3_mN6hipcub16HIPCUB_304000_NS21CountingInputIteratorIllEEPS6_NSA_22TransformInputIteratorIb7NonZeroIsEPslEENS0_5tupleIJPlS6_EEENSJ_IJSD_SD_EEES6_SK_JS6_EEE10hipError_tPvRmT3_T4_T5_T6_T7_T9_mT8_P12ihipStream_tbDpT10_ENKUlT_T0_E_clISt17integral_constantIbLb0EES15_IbLb1EEEEDaS11_S12_EUlS11_E_NS1_11comp_targetILNS1_3genE2ELNS1_11target_archE906ELNS1_3gpuE6ELNS1_3repE0EEENS1_30default_config_static_selectorELNS0_4arch9wavefront6targetE1EEEvT1_
                                        ; -- End function
	.set _ZN7rocprim17ROCPRIM_400000_NS6detail17trampoline_kernelINS0_14default_configENS1_25partition_config_selectorILNS1_17partition_subalgoE5ElNS0_10empty_typeEbEEZZNS1_14partition_implILS5_5ELb0ES3_mN6hipcub16HIPCUB_304000_NS21CountingInputIteratorIllEEPS6_NSA_22TransformInputIteratorIb7NonZeroIsEPslEENS0_5tupleIJPlS6_EEENSJ_IJSD_SD_EEES6_SK_JS6_EEE10hipError_tPvRmT3_T4_T5_T6_T7_T9_mT8_P12ihipStream_tbDpT10_ENKUlT_T0_E_clISt17integral_constantIbLb0EES15_IbLb1EEEEDaS11_S12_EUlS11_E_NS1_11comp_targetILNS1_3genE2ELNS1_11target_archE906ELNS1_3gpuE6ELNS1_3repE0EEENS1_30default_config_static_selectorELNS0_4arch9wavefront6targetE1EEEvT1_.num_vgpr, 59
	.set _ZN7rocprim17ROCPRIM_400000_NS6detail17trampoline_kernelINS0_14default_configENS1_25partition_config_selectorILNS1_17partition_subalgoE5ElNS0_10empty_typeEbEEZZNS1_14partition_implILS5_5ELb0ES3_mN6hipcub16HIPCUB_304000_NS21CountingInputIteratorIllEEPS6_NSA_22TransformInputIteratorIb7NonZeroIsEPslEENS0_5tupleIJPlS6_EEENSJ_IJSD_SD_EEES6_SK_JS6_EEE10hipError_tPvRmT3_T4_T5_T6_T7_T9_mT8_P12ihipStream_tbDpT10_ENKUlT_T0_E_clISt17integral_constantIbLb0EES15_IbLb1EEEEDaS11_S12_EUlS11_E_NS1_11comp_targetILNS1_3genE2ELNS1_11target_archE906ELNS1_3gpuE6ELNS1_3repE0EEENS1_30default_config_static_selectorELNS0_4arch9wavefront6targetE1EEEvT1_.num_agpr, 0
	.set _ZN7rocprim17ROCPRIM_400000_NS6detail17trampoline_kernelINS0_14default_configENS1_25partition_config_selectorILNS1_17partition_subalgoE5ElNS0_10empty_typeEbEEZZNS1_14partition_implILS5_5ELb0ES3_mN6hipcub16HIPCUB_304000_NS21CountingInputIteratorIllEEPS6_NSA_22TransformInputIteratorIb7NonZeroIsEPslEENS0_5tupleIJPlS6_EEENSJ_IJSD_SD_EEES6_SK_JS6_EEE10hipError_tPvRmT3_T4_T5_T6_T7_T9_mT8_P12ihipStream_tbDpT10_ENKUlT_T0_E_clISt17integral_constantIbLb0EES15_IbLb1EEEEDaS11_S12_EUlS11_E_NS1_11comp_targetILNS1_3genE2ELNS1_11target_archE906ELNS1_3gpuE6ELNS1_3repE0EEENS1_30default_config_static_selectorELNS0_4arch9wavefront6targetE1EEEvT1_.numbered_sgpr, 28
	.set _ZN7rocprim17ROCPRIM_400000_NS6detail17trampoline_kernelINS0_14default_configENS1_25partition_config_selectorILNS1_17partition_subalgoE5ElNS0_10empty_typeEbEEZZNS1_14partition_implILS5_5ELb0ES3_mN6hipcub16HIPCUB_304000_NS21CountingInputIteratorIllEEPS6_NSA_22TransformInputIteratorIb7NonZeroIsEPslEENS0_5tupleIJPlS6_EEENSJ_IJSD_SD_EEES6_SK_JS6_EEE10hipError_tPvRmT3_T4_T5_T6_T7_T9_mT8_P12ihipStream_tbDpT10_ENKUlT_T0_E_clISt17integral_constantIbLb0EES15_IbLb1EEEEDaS11_S12_EUlS11_E_NS1_11comp_targetILNS1_3genE2ELNS1_11target_archE906ELNS1_3gpuE6ELNS1_3repE0EEENS1_30default_config_static_selectorELNS0_4arch9wavefront6targetE1EEEvT1_.num_named_barrier, 0
	.set _ZN7rocprim17ROCPRIM_400000_NS6detail17trampoline_kernelINS0_14default_configENS1_25partition_config_selectorILNS1_17partition_subalgoE5ElNS0_10empty_typeEbEEZZNS1_14partition_implILS5_5ELb0ES3_mN6hipcub16HIPCUB_304000_NS21CountingInputIteratorIllEEPS6_NSA_22TransformInputIteratorIb7NonZeroIsEPslEENS0_5tupleIJPlS6_EEENSJ_IJSD_SD_EEES6_SK_JS6_EEE10hipError_tPvRmT3_T4_T5_T6_T7_T9_mT8_P12ihipStream_tbDpT10_ENKUlT_T0_E_clISt17integral_constantIbLb0EES15_IbLb1EEEEDaS11_S12_EUlS11_E_NS1_11comp_targetILNS1_3genE2ELNS1_11target_archE906ELNS1_3gpuE6ELNS1_3repE0EEENS1_30default_config_static_selectorELNS0_4arch9wavefront6targetE1EEEvT1_.private_seg_size, 0
	.set _ZN7rocprim17ROCPRIM_400000_NS6detail17trampoline_kernelINS0_14default_configENS1_25partition_config_selectorILNS1_17partition_subalgoE5ElNS0_10empty_typeEbEEZZNS1_14partition_implILS5_5ELb0ES3_mN6hipcub16HIPCUB_304000_NS21CountingInputIteratorIllEEPS6_NSA_22TransformInputIteratorIb7NonZeroIsEPslEENS0_5tupleIJPlS6_EEENSJ_IJSD_SD_EEES6_SK_JS6_EEE10hipError_tPvRmT3_T4_T5_T6_T7_T9_mT8_P12ihipStream_tbDpT10_ENKUlT_T0_E_clISt17integral_constantIbLb0EES15_IbLb1EEEEDaS11_S12_EUlS11_E_NS1_11comp_targetILNS1_3genE2ELNS1_11target_archE906ELNS1_3gpuE6ELNS1_3repE0EEENS1_30default_config_static_selectorELNS0_4arch9wavefront6targetE1EEEvT1_.uses_vcc, 1
	.set _ZN7rocprim17ROCPRIM_400000_NS6detail17trampoline_kernelINS0_14default_configENS1_25partition_config_selectorILNS1_17partition_subalgoE5ElNS0_10empty_typeEbEEZZNS1_14partition_implILS5_5ELb0ES3_mN6hipcub16HIPCUB_304000_NS21CountingInputIteratorIllEEPS6_NSA_22TransformInputIteratorIb7NonZeroIsEPslEENS0_5tupleIJPlS6_EEENSJ_IJSD_SD_EEES6_SK_JS6_EEE10hipError_tPvRmT3_T4_T5_T6_T7_T9_mT8_P12ihipStream_tbDpT10_ENKUlT_T0_E_clISt17integral_constantIbLb0EES15_IbLb1EEEEDaS11_S12_EUlS11_E_NS1_11comp_targetILNS1_3genE2ELNS1_11target_archE906ELNS1_3gpuE6ELNS1_3repE0EEENS1_30default_config_static_selectorELNS0_4arch9wavefront6targetE1EEEvT1_.uses_flat_scratch, 0
	.set _ZN7rocprim17ROCPRIM_400000_NS6detail17trampoline_kernelINS0_14default_configENS1_25partition_config_selectorILNS1_17partition_subalgoE5ElNS0_10empty_typeEbEEZZNS1_14partition_implILS5_5ELb0ES3_mN6hipcub16HIPCUB_304000_NS21CountingInputIteratorIllEEPS6_NSA_22TransformInputIteratorIb7NonZeroIsEPslEENS0_5tupleIJPlS6_EEENSJ_IJSD_SD_EEES6_SK_JS6_EEE10hipError_tPvRmT3_T4_T5_T6_T7_T9_mT8_P12ihipStream_tbDpT10_ENKUlT_T0_E_clISt17integral_constantIbLb0EES15_IbLb1EEEEDaS11_S12_EUlS11_E_NS1_11comp_targetILNS1_3genE2ELNS1_11target_archE906ELNS1_3gpuE6ELNS1_3repE0EEENS1_30default_config_static_selectorELNS0_4arch9wavefront6targetE1EEEvT1_.has_dyn_sized_stack, 0
	.set _ZN7rocprim17ROCPRIM_400000_NS6detail17trampoline_kernelINS0_14default_configENS1_25partition_config_selectorILNS1_17partition_subalgoE5ElNS0_10empty_typeEbEEZZNS1_14partition_implILS5_5ELb0ES3_mN6hipcub16HIPCUB_304000_NS21CountingInputIteratorIllEEPS6_NSA_22TransformInputIteratorIb7NonZeroIsEPslEENS0_5tupleIJPlS6_EEENSJ_IJSD_SD_EEES6_SK_JS6_EEE10hipError_tPvRmT3_T4_T5_T6_T7_T9_mT8_P12ihipStream_tbDpT10_ENKUlT_T0_E_clISt17integral_constantIbLb0EES15_IbLb1EEEEDaS11_S12_EUlS11_E_NS1_11comp_targetILNS1_3genE2ELNS1_11target_archE906ELNS1_3gpuE6ELNS1_3repE0EEENS1_30default_config_static_selectorELNS0_4arch9wavefront6targetE1EEEvT1_.has_recursion, 0
	.set _ZN7rocprim17ROCPRIM_400000_NS6detail17trampoline_kernelINS0_14default_configENS1_25partition_config_selectorILNS1_17partition_subalgoE5ElNS0_10empty_typeEbEEZZNS1_14partition_implILS5_5ELb0ES3_mN6hipcub16HIPCUB_304000_NS21CountingInputIteratorIllEEPS6_NSA_22TransformInputIteratorIb7NonZeroIsEPslEENS0_5tupleIJPlS6_EEENSJ_IJSD_SD_EEES6_SK_JS6_EEE10hipError_tPvRmT3_T4_T5_T6_T7_T9_mT8_P12ihipStream_tbDpT10_ENKUlT_T0_E_clISt17integral_constantIbLb0EES15_IbLb1EEEEDaS11_S12_EUlS11_E_NS1_11comp_targetILNS1_3genE2ELNS1_11target_archE906ELNS1_3gpuE6ELNS1_3repE0EEENS1_30default_config_static_selectorELNS0_4arch9wavefront6targetE1EEEvT1_.has_indirect_call, 0
	.section	.AMDGPU.csdata,"",@progbits
; Kernel info:
; codeLenInByte = 6016
; TotalNumSgprs: 32
; NumVgprs: 59
; ScratchSize: 0
; MemoryBound: 0
; FloatMode: 240
; IeeeMode: 1
; LDSByteSize: 14352 bytes/workgroup (compile time only)
; SGPRBlocks: 12
; VGPRBlocks: 14
; NumSGPRsForWavesPerEU: 102
; NumVGPRsForWavesPerEU: 59
; Occupancy: 4
; WaveLimiterHint : 1
; COMPUTE_PGM_RSRC2:SCRATCH_EN: 0
; COMPUTE_PGM_RSRC2:USER_SGPR: 6
; COMPUTE_PGM_RSRC2:TRAP_HANDLER: 0
; COMPUTE_PGM_RSRC2:TGID_X_EN: 1
; COMPUTE_PGM_RSRC2:TGID_Y_EN: 0
; COMPUTE_PGM_RSRC2:TGID_Z_EN: 0
; COMPUTE_PGM_RSRC2:TIDIG_COMP_CNT: 0
	.section	.text._ZN7rocprim17ROCPRIM_400000_NS6detail17trampoline_kernelINS0_14default_configENS1_25partition_config_selectorILNS1_17partition_subalgoE5ElNS0_10empty_typeEbEEZZNS1_14partition_implILS5_5ELb0ES3_mN6hipcub16HIPCUB_304000_NS21CountingInputIteratorIllEEPS6_NSA_22TransformInputIteratorIb7NonZeroIsEPslEENS0_5tupleIJPlS6_EEENSJ_IJSD_SD_EEES6_SK_JS6_EEE10hipError_tPvRmT3_T4_T5_T6_T7_T9_mT8_P12ihipStream_tbDpT10_ENKUlT_T0_E_clISt17integral_constantIbLb0EES15_IbLb1EEEEDaS11_S12_EUlS11_E_NS1_11comp_targetILNS1_3genE10ELNS1_11target_archE1200ELNS1_3gpuE4ELNS1_3repE0EEENS1_30default_config_static_selectorELNS0_4arch9wavefront6targetE1EEEvT1_,"axG",@progbits,_ZN7rocprim17ROCPRIM_400000_NS6detail17trampoline_kernelINS0_14default_configENS1_25partition_config_selectorILNS1_17partition_subalgoE5ElNS0_10empty_typeEbEEZZNS1_14partition_implILS5_5ELb0ES3_mN6hipcub16HIPCUB_304000_NS21CountingInputIteratorIllEEPS6_NSA_22TransformInputIteratorIb7NonZeroIsEPslEENS0_5tupleIJPlS6_EEENSJ_IJSD_SD_EEES6_SK_JS6_EEE10hipError_tPvRmT3_T4_T5_T6_T7_T9_mT8_P12ihipStream_tbDpT10_ENKUlT_T0_E_clISt17integral_constantIbLb0EES15_IbLb1EEEEDaS11_S12_EUlS11_E_NS1_11comp_targetILNS1_3genE10ELNS1_11target_archE1200ELNS1_3gpuE4ELNS1_3repE0EEENS1_30default_config_static_selectorELNS0_4arch9wavefront6targetE1EEEvT1_,comdat
	.protected	_ZN7rocprim17ROCPRIM_400000_NS6detail17trampoline_kernelINS0_14default_configENS1_25partition_config_selectorILNS1_17partition_subalgoE5ElNS0_10empty_typeEbEEZZNS1_14partition_implILS5_5ELb0ES3_mN6hipcub16HIPCUB_304000_NS21CountingInputIteratorIllEEPS6_NSA_22TransformInputIteratorIb7NonZeroIsEPslEENS0_5tupleIJPlS6_EEENSJ_IJSD_SD_EEES6_SK_JS6_EEE10hipError_tPvRmT3_T4_T5_T6_T7_T9_mT8_P12ihipStream_tbDpT10_ENKUlT_T0_E_clISt17integral_constantIbLb0EES15_IbLb1EEEEDaS11_S12_EUlS11_E_NS1_11comp_targetILNS1_3genE10ELNS1_11target_archE1200ELNS1_3gpuE4ELNS1_3repE0EEENS1_30default_config_static_selectorELNS0_4arch9wavefront6targetE1EEEvT1_ ; -- Begin function _ZN7rocprim17ROCPRIM_400000_NS6detail17trampoline_kernelINS0_14default_configENS1_25partition_config_selectorILNS1_17partition_subalgoE5ElNS0_10empty_typeEbEEZZNS1_14partition_implILS5_5ELb0ES3_mN6hipcub16HIPCUB_304000_NS21CountingInputIteratorIllEEPS6_NSA_22TransformInputIteratorIb7NonZeroIsEPslEENS0_5tupleIJPlS6_EEENSJ_IJSD_SD_EEES6_SK_JS6_EEE10hipError_tPvRmT3_T4_T5_T6_T7_T9_mT8_P12ihipStream_tbDpT10_ENKUlT_T0_E_clISt17integral_constantIbLb0EES15_IbLb1EEEEDaS11_S12_EUlS11_E_NS1_11comp_targetILNS1_3genE10ELNS1_11target_archE1200ELNS1_3gpuE4ELNS1_3repE0EEENS1_30default_config_static_selectorELNS0_4arch9wavefront6targetE1EEEvT1_
	.globl	_ZN7rocprim17ROCPRIM_400000_NS6detail17trampoline_kernelINS0_14default_configENS1_25partition_config_selectorILNS1_17partition_subalgoE5ElNS0_10empty_typeEbEEZZNS1_14partition_implILS5_5ELb0ES3_mN6hipcub16HIPCUB_304000_NS21CountingInputIteratorIllEEPS6_NSA_22TransformInputIteratorIb7NonZeroIsEPslEENS0_5tupleIJPlS6_EEENSJ_IJSD_SD_EEES6_SK_JS6_EEE10hipError_tPvRmT3_T4_T5_T6_T7_T9_mT8_P12ihipStream_tbDpT10_ENKUlT_T0_E_clISt17integral_constantIbLb0EES15_IbLb1EEEEDaS11_S12_EUlS11_E_NS1_11comp_targetILNS1_3genE10ELNS1_11target_archE1200ELNS1_3gpuE4ELNS1_3repE0EEENS1_30default_config_static_selectorELNS0_4arch9wavefront6targetE1EEEvT1_
	.p2align	8
	.type	_ZN7rocprim17ROCPRIM_400000_NS6detail17trampoline_kernelINS0_14default_configENS1_25partition_config_selectorILNS1_17partition_subalgoE5ElNS0_10empty_typeEbEEZZNS1_14partition_implILS5_5ELb0ES3_mN6hipcub16HIPCUB_304000_NS21CountingInputIteratorIllEEPS6_NSA_22TransformInputIteratorIb7NonZeroIsEPslEENS0_5tupleIJPlS6_EEENSJ_IJSD_SD_EEES6_SK_JS6_EEE10hipError_tPvRmT3_T4_T5_T6_T7_T9_mT8_P12ihipStream_tbDpT10_ENKUlT_T0_E_clISt17integral_constantIbLb0EES15_IbLb1EEEEDaS11_S12_EUlS11_E_NS1_11comp_targetILNS1_3genE10ELNS1_11target_archE1200ELNS1_3gpuE4ELNS1_3repE0EEENS1_30default_config_static_selectorELNS0_4arch9wavefront6targetE1EEEvT1_,@function
_ZN7rocprim17ROCPRIM_400000_NS6detail17trampoline_kernelINS0_14default_configENS1_25partition_config_selectorILNS1_17partition_subalgoE5ElNS0_10empty_typeEbEEZZNS1_14partition_implILS5_5ELb0ES3_mN6hipcub16HIPCUB_304000_NS21CountingInputIteratorIllEEPS6_NSA_22TransformInputIteratorIb7NonZeroIsEPslEENS0_5tupleIJPlS6_EEENSJ_IJSD_SD_EEES6_SK_JS6_EEE10hipError_tPvRmT3_T4_T5_T6_T7_T9_mT8_P12ihipStream_tbDpT10_ENKUlT_T0_E_clISt17integral_constantIbLb0EES15_IbLb1EEEEDaS11_S12_EUlS11_E_NS1_11comp_targetILNS1_3genE10ELNS1_11target_archE1200ELNS1_3gpuE4ELNS1_3repE0EEENS1_30default_config_static_selectorELNS0_4arch9wavefront6targetE1EEEvT1_: ; @_ZN7rocprim17ROCPRIM_400000_NS6detail17trampoline_kernelINS0_14default_configENS1_25partition_config_selectorILNS1_17partition_subalgoE5ElNS0_10empty_typeEbEEZZNS1_14partition_implILS5_5ELb0ES3_mN6hipcub16HIPCUB_304000_NS21CountingInputIteratorIllEEPS6_NSA_22TransformInputIteratorIb7NonZeroIsEPslEENS0_5tupleIJPlS6_EEENSJ_IJSD_SD_EEES6_SK_JS6_EEE10hipError_tPvRmT3_T4_T5_T6_T7_T9_mT8_P12ihipStream_tbDpT10_ENKUlT_T0_E_clISt17integral_constantIbLb0EES15_IbLb1EEEEDaS11_S12_EUlS11_E_NS1_11comp_targetILNS1_3genE10ELNS1_11target_archE1200ELNS1_3gpuE4ELNS1_3repE0EEENS1_30default_config_static_selectorELNS0_4arch9wavefront6targetE1EEEvT1_
; %bb.0:
	.section	.rodata,"a",@progbits
	.p2align	6, 0x0
	.amdhsa_kernel _ZN7rocprim17ROCPRIM_400000_NS6detail17trampoline_kernelINS0_14default_configENS1_25partition_config_selectorILNS1_17partition_subalgoE5ElNS0_10empty_typeEbEEZZNS1_14partition_implILS5_5ELb0ES3_mN6hipcub16HIPCUB_304000_NS21CountingInputIteratorIllEEPS6_NSA_22TransformInputIteratorIb7NonZeroIsEPslEENS0_5tupleIJPlS6_EEENSJ_IJSD_SD_EEES6_SK_JS6_EEE10hipError_tPvRmT3_T4_T5_T6_T7_T9_mT8_P12ihipStream_tbDpT10_ENKUlT_T0_E_clISt17integral_constantIbLb0EES15_IbLb1EEEEDaS11_S12_EUlS11_E_NS1_11comp_targetILNS1_3genE10ELNS1_11target_archE1200ELNS1_3gpuE4ELNS1_3repE0EEENS1_30default_config_static_selectorELNS0_4arch9wavefront6targetE1EEEvT1_
		.amdhsa_group_segment_fixed_size 0
		.amdhsa_private_segment_fixed_size 0
		.amdhsa_kernarg_size 136
		.amdhsa_user_sgpr_count 6
		.amdhsa_user_sgpr_private_segment_buffer 1
		.amdhsa_user_sgpr_dispatch_ptr 0
		.amdhsa_user_sgpr_queue_ptr 0
		.amdhsa_user_sgpr_kernarg_segment_ptr 1
		.amdhsa_user_sgpr_dispatch_id 0
		.amdhsa_user_sgpr_flat_scratch_init 0
		.amdhsa_user_sgpr_private_segment_size 0
		.amdhsa_uses_dynamic_stack 0
		.amdhsa_system_sgpr_private_segment_wavefront_offset 0
		.amdhsa_system_sgpr_workgroup_id_x 1
		.amdhsa_system_sgpr_workgroup_id_y 0
		.amdhsa_system_sgpr_workgroup_id_z 0
		.amdhsa_system_sgpr_workgroup_info 0
		.amdhsa_system_vgpr_workitem_id 0
		.amdhsa_next_free_vgpr 1
		.amdhsa_next_free_sgpr 0
		.amdhsa_reserve_vcc 0
		.amdhsa_reserve_flat_scratch 0
		.amdhsa_float_round_mode_32 0
		.amdhsa_float_round_mode_16_64 0
		.amdhsa_float_denorm_mode_32 3
		.amdhsa_float_denorm_mode_16_64 3
		.amdhsa_dx10_clamp 1
		.amdhsa_ieee_mode 1
		.amdhsa_fp16_overflow 0
		.amdhsa_exception_fp_ieee_invalid_op 0
		.amdhsa_exception_fp_denorm_src 0
		.amdhsa_exception_fp_ieee_div_zero 0
		.amdhsa_exception_fp_ieee_overflow 0
		.amdhsa_exception_fp_ieee_underflow 0
		.amdhsa_exception_fp_ieee_inexact 0
		.amdhsa_exception_int_div_zero 0
	.end_amdhsa_kernel
	.section	.text._ZN7rocprim17ROCPRIM_400000_NS6detail17trampoline_kernelINS0_14default_configENS1_25partition_config_selectorILNS1_17partition_subalgoE5ElNS0_10empty_typeEbEEZZNS1_14partition_implILS5_5ELb0ES3_mN6hipcub16HIPCUB_304000_NS21CountingInputIteratorIllEEPS6_NSA_22TransformInputIteratorIb7NonZeroIsEPslEENS0_5tupleIJPlS6_EEENSJ_IJSD_SD_EEES6_SK_JS6_EEE10hipError_tPvRmT3_T4_T5_T6_T7_T9_mT8_P12ihipStream_tbDpT10_ENKUlT_T0_E_clISt17integral_constantIbLb0EES15_IbLb1EEEEDaS11_S12_EUlS11_E_NS1_11comp_targetILNS1_3genE10ELNS1_11target_archE1200ELNS1_3gpuE4ELNS1_3repE0EEENS1_30default_config_static_selectorELNS0_4arch9wavefront6targetE1EEEvT1_,"axG",@progbits,_ZN7rocprim17ROCPRIM_400000_NS6detail17trampoline_kernelINS0_14default_configENS1_25partition_config_selectorILNS1_17partition_subalgoE5ElNS0_10empty_typeEbEEZZNS1_14partition_implILS5_5ELb0ES3_mN6hipcub16HIPCUB_304000_NS21CountingInputIteratorIllEEPS6_NSA_22TransformInputIteratorIb7NonZeroIsEPslEENS0_5tupleIJPlS6_EEENSJ_IJSD_SD_EEES6_SK_JS6_EEE10hipError_tPvRmT3_T4_T5_T6_T7_T9_mT8_P12ihipStream_tbDpT10_ENKUlT_T0_E_clISt17integral_constantIbLb0EES15_IbLb1EEEEDaS11_S12_EUlS11_E_NS1_11comp_targetILNS1_3genE10ELNS1_11target_archE1200ELNS1_3gpuE4ELNS1_3repE0EEENS1_30default_config_static_selectorELNS0_4arch9wavefront6targetE1EEEvT1_,comdat
.Lfunc_end146:
	.size	_ZN7rocprim17ROCPRIM_400000_NS6detail17trampoline_kernelINS0_14default_configENS1_25partition_config_selectorILNS1_17partition_subalgoE5ElNS0_10empty_typeEbEEZZNS1_14partition_implILS5_5ELb0ES3_mN6hipcub16HIPCUB_304000_NS21CountingInputIteratorIllEEPS6_NSA_22TransformInputIteratorIb7NonZeroIsEPslEENS0_5tupleIJPlS6_EEENSJ_IJSD_SD_EEES6_SK_JS6_EEE10hipError_tPvRmT3_T4_T5_T6_T7_T9_mT8_P12ihipStream_tbDpT10_ENKUlT_T0_E_clISt17integral_constantIbLb0EES15_IbLb1EEEEDaS11_S12_EUlS11_E_NS1_11comp_targetILNS1_3genE10ELNS1_11target_archE1200ELNS1_3gpuE4ELNS1_3repE0EEENS1_30default_config_static_selectorELNS0_4arch9wavefront6targetE1EEEvT1_, .Lfunc_end146-_ZN7rocprim17ROCPRIM_400000_NS6detail17trampoline_kernelINS0_14default_configENS1_25partition_config_selectorILNS1_17partition_subalgoE5ElNS0_10empty_typeEbEEZZNS1_14partition_implILS5_5ELb0ES3_mN6hipcub16HIPCUB_304000_NS21CountingInputIteratorIllEEPS6_NSA_22TransformInputIteratorIb7NonZeroIsEPslEENS0_5tupleIJPlS6_EEENSJ_IJSD_SD_EEES6_SK_JS6_EEE10hipError_tPvRmT3_T4_T5_T6_T7_T9_mT8_P12ihipStream_tbDpT10_ENKUlT_T0_E_clISt17integral_constantIbLb0EES15_IbLb1EEEEDaS11_S12_EUlS11_E_NS1_11comp_targetILNS1_3genE10ELNS1_11target_archE1200ELNS1_3gpuE4ELNS1_3repE0EEENS1_30default_config_static_selectorELNS0_4arch9wavefront6targetE1EEEvT1_
                                        ; -- End function
	.set _ZN7rocprim17ROCPRIM_400000_NS6detail17trampoline_kernelINS0_14default_configENS1_25partition_config_selectorILNS1_17partition_subalgoE5ElNS0_10empty_typeEbEEZZNS1_14partition_implILS5_5ELb0ES3_mN6hipcub16HIPCUB_304000_NS21CountingInputIteratorIllEEPS6_NSA_22TransformInputIteratorIb7NonZeroIsEPslEENS0_5tupleIJPlS6_EEENSJ_IJSD_SD_EEES6_SK_JS6_EEE10hipError_tPvRmT3_T4_T5_T6_T7_T9_mT8_P12ihipStream_tbDpT10_ENKUlT_T0_E_clISt17integral_constantIbLb0EES15_IbLb1EEEEDaS11_S12_EUlS11_E_NS1_11comp_targetILNS1_3genE10ELNS1_11target_archE1200ELNS1_3gpuE4ELNS1_3repE0EEENS1_30default_config_static_selectorELNS0_4arch9wavefront6targetE1EEEvT1_.num_vgpr, 0
	.set _ZN7rocprim17ROCPRIM_400000_NS6detail17trampoline_kernelINS0_14default_configENS1_25partition_config_selectorILNS1_17partition_subalgoE5ElNS0_10empty_typeEbEEZZNS1_14partition_implILS5_5ELb0ES3_mN6hipcub16HIPCUB_304000_NS21CountingInputIteratorIllEEPS6_NSA_22TransformInputIteratorIb7NonZeroIsEPslEENS0_5tupleIJPlS6_EEENSJ_IJSD_SD_EEES6_SK_JS6_EEE10hipError_tPvRmT3_T4_T5_T6_T7_T9_mT8_P12ihipStream_tbDpT10_ENKUlT_T0_E_clISt17integral_constantIbLb0EES15_IbLb1EEEEDaS11_S12_EUlS11_E_NS1_11comp_targetILNS1_3genE10ELNS1_11target_archE1200ELNS1_3gpuE4ELNS1_3repE0EEENS1_30default_config_static_selectorELNS0_4arch9wavefront6targetE1EEEvT1_.num_agpr, 0
	.set _ZN7rocprim17ROCPRIM_400000_NS6detail17trampoline_kernelINS0_14default_configENS1_25partition_config_selectorILNS1_17partition_subalgoE5ElNS0_10empty_typeEbEEZZNS1_14partition_implILS5_5ELb0ES3_mN6hipcub16HIPCUB_304000_NS21CountingInputIteratorIllEEPS6_NSA_22TransformInputIteratorIb7NonZeroIsEPslEENS0_5tupleIJPlS6_EEENSJ_IJSD_SD_EEES6_SK_JS6_EEE10hipError_tPvRmT3_T4_T5_T6_T7_T9_mT8_P12ihipStream_tbDpT10_ENKUlT_T0_E_clISt17integral_constantIbLb0EES15_IbLb1EEEEDaS11_S12_EUlS11_E_NS1_11comp_targetILNS1_3genE10ELNS1_11target_archE1200ELNS1_3gpuE4ELNS1_3repE0EEENS1_30default_config_static_selectorELNS0_4arch9wavefront6targetE1EEEvT1_.numbered_sgpr, 0
	.set _ZN7rocprim17ROCPRIM_400000_NS6detail17trampoline_kernelINS0_14default_configENS1_25partition_config_selectorILNS1_17partition_subalgoE5ElNS0_10empty_typeEbEEZZNS1_14partition_implILS5_5ELb0ES3_mN6hipcub16HIPCUB_304000_NS21CountingInputIteratorIllEEPS6_NSA_22TransformInputIteratorIb7NonZeroIsEPslEENS0_5tupleIJPlS6_EEENSJ_IJSD_SD_EEES6_SK_JS6_EEE10hipError_tPvRmT3_T4_T5_T6_T7_T9_mT8_P12ihipStream_tbDpT10_ENKUlT_T0_E_clISt17integral_constantIbLb0EES15_IbLb1EEEEDaS11_S12_EUlS11_E_NS1_11comp_targetILNS1_3genE10ELNS1_11target_archE1200ELNS1_3gpuE4ELNS1_3repE0EEENS1_30default_config_static_selectorELNS0_4arch9wavefront6targetE1EEEvT1_.num_named_barrier, 0
	.set _ZN7rocprim17ROCPRIM_400000_NS6detail17trampoline_kernelINS0_14default_configENS1_25partition_config_selectorILNS1_17partition_subalgoE5ElNS0_10empty_typeEbEEZZNS1_14partition_implILS5_5ELb0ES3_mN6hipcub16HIPCUB_304000_NS21CountingInputIteratorIllEEPS6_NSA_22TransformInputIteratorIb7NonZeroIsEPslEENS0_5tupleIJPlS6_EEENSJ_IJSD_SD_EEES6_SK_JS6_EEE10hipError_tPvRmT3_T4_T5_T6_T7_T9_mT8_P12ihipStream_tbDpT10_ENKUlT_T0_E_clISt17integral_constantIbLb0EES15_IbLb1EEEEDaS11_S12_EUlS11_E_NS1_11comp_targetILNS1_3genE10ELNS1_11target_archE1200ELNS1_3gpuE4ELNS1_3repE0EEENS1_30default_config_static_selectorELNS0_4arch9wavefront6targetE1EEEvT1_.private_seg_size, 0
	.set _ZN7rocprim17ROCPRIM_400000_NS6detail17trampoline_kernelINS0_14default_configENS1_25partition_config_selectorILNS1_17partition_subalgoE5ElNS0_10empty_typeEbEEZZNS1_14partition_implILS5_5ELb0ES3_mN6hipcub16HIPCUB_304000_NS21CountingInputIteratorIllEEPS6_NSA_22TransformInputIteratorIb7NonZeroIsEPslEENS0_5tupleIJPlS6_EEENSJ_IJSD_SD_EEES6_SK_JS6_EEE10hipError_tPvRmT3_T4_T5_T6_T7_T9_mT8_P12ihipStream_tbDpT10_ENKUlT_T0_E_clISt17integral_constantIbLb0EES15_IbLb1EEEEDaS11_S12_EUlS11_E_NS1_11comp_targetILNS1_3genE10ELNS1_11target_archE1200ELNS1_3gpuE4ELNS1_3repE0EEENS1_30default_config_static_selectorELNS0_4arch9wavefront6targetE1EEEvT1_.uses_vcc, 0
	.set _ZN7rocprim17ROCPRIM_400000_NS6detail17trampoline_kernelINS0_14default_configENS1_25partition_config_selectorILNS1_17partition_subalgoE5ElNS0_10empty_typeEbEEZZNS1_14partition_implILS5_5ELb0ES3_mN6hipcub16HIPCUB_304000_NS21CountingInputIteratorIllEEPS6_NSA_22TransformInputIteratorIb7NonZeroIsEPslEENS0_5tupleIJPlS6_EEENSJ_IJSD_SD_EEES6_SK_JS6_EEE10hipError_tPvRmT3_T4_T5_T6_T7_T9_mT8_P12ihipStream_tbDpT10_ENKUlT_T0_E_clISt17integral_constantIbLb0EES15_IbLb1EEEEDaS11_S12_EUlS11_E_NS1_11comp_targetILNS1_3genE10ELNS1_11target_archE1200ELNS1_3gpuE4ELNS1_3repE0EEENS1_30default_config_static_selectorELNS0_4arch9wavefront6targetE1EEEvT1_.uses_flat_scratch, 0
	.set _ZN7rocprim17ROCPRIM_400000_NS6detail17trampoline_kernelINS0_14default_configENS1_25partition_config_selectorILNS1_17partition_subalgoE5ElNS0_10empty_typeEbEEZZNS1_14partition_implILS5_5ELb0ES3_mN6hipcub16HIPCUB_304000_NS21CountingInputIteratorIllEEPS6_NSA_22TransformInputIteratorIb7NonZeroIsEPslEENS0_5tupleIJPlS6_EEENSJ_IJSD_SD_EEES6_SK_JS6_EEE10hipError_tPvRmT3_T4_T5_T6_T7_T9_mT8_P12ihipStream_tbDpT10_ENKUlT_T0_E_clISt17integral_constantIbLb0EES15_IbLb1EEEEDaS11_S12_EUlS11_E_NS1_11comp_targetILNS1_3genE10ELNS1_11target_archE1200ELNS1_3gpuE4ELNS1_3repE0EEENS1_30default_config_static_selectorELNS0_4arch9wavefront6targetE1EEEvT1_.has_dyn_sized_stack, 0
	.set _ZN7rocprim17ROCPRIM_400000_NS6detail17trampoline_kernelINS0_14default_configENS1_25partition_config_selectorILNS1_17partition_subalgoE5ElNS0_10empty_typeEbEEZZNS1_14partition_implILS5_5ELb0ES3_mN6hipcub16HIPCUB_304000_NS21CountingInputIteratorIllEEPS6_NSA_22TransformInputIteratorIb7NonZeroIsEPslEENS0_5tupleIJPlS6_EEENSJ_IJSD_SD_EEES6_SK_JS6_EEE10hipError_tPvRmT3_T4_T5_T6_T7_T9_mT8_P12ihipStream_tbDpT10_ENKUlT_T0_E_clISt17integral_constantIbLb0EES15_IbLb1EEEEDaS11_S12_EUlS11_E_NS1_11comp_targetILNS1_3genE10ELNS1_11target_archE1200ELNS1_3gpuE4ELNS1_3repE0EEENS1_30default_config_static_selectorELNS0_4arch9wavefront6targetE1EEEvT1_.has_recursion, 0
	.set _ZN7rocprim17ROCPRIM_400000_NS6detail17trampoline_kernelINS0_14default_configENS1_25partition_config_selectorILNS1_17partition_subalgoE5ElNS0_10empty_typeEbEEZZNS1_14partition_implILS5_5ELb0ES3_mN6hipcub16HIPCUB_304000_NS21CountingInputIteratorIllEEPS6_NSA_22TransformInputIteratorIb7NonZeroIsEPslEENS0_5tupleIJPlS6_EEENSJ_IJSD_SD_EEES6_SK_JS6_EEE10hipError_tPvRmT3_T4_T5_T6_T7_T9_mT8_P12ihipStream_tbDpT10_ENKUlT_T0_E_clISt17integral_constantIbLb0EES15_IbLb1EEEEDaS11_S12_EUlS11_E_NS1_11comp_targetILNS1_3genE10ELNS1_11target_archE1200ELNS1_3gpuE4ELNS1_3repE0EEENS1_30default_config_static_selectorELNS0_4arch9wavefront6targetE1EEEvT1_.has_indirect_call, 0
	.section	.AMDGPU.csdata,"",@progbits
; Kernel info:
; codeLenInByte = 0
; TotalNumSgprs: 4
; NumVgprs: 0
; ScratchSize: 0
; MemoryBound: 0
; FloatMode: 240
; IeeeMode: 1
; LDSByteSize: 0 bytes/workgroup (compile time only)
; SGPRBlocks: 0
; VGPRBlocks: 0
; NumSGPRsForWavesPerEU: 4
; NumVGPRsForWavesPerEU: 1
; Occupancy: 10
; WaveLimiterHint : 0
; COMPUTE_PGM_RSRC2:SCRATCH_EN: 0
; COMPUTE_PGM_RSRC2:USER_SGPR: 6
; COMPUTE_PGM_RSRC2:TRAP_HANDLER: 0
; COMPUTE_PGM_RSRC2:TGID_X_EN: 1
; COMPUTE_PGM_RSRC2:TGID_Y_EN: 0
; COMPUTE_PGM_RSRC2:TGID_Z_EN: 0
; COMPUTE_PGM_RSRC2:TIDIG_COMP_CNT: 0
	.section	.text._ZN7rocprim17ROCPRIM_400000_NS6detail17trampoline_kernelINS0_14default_configENS1_25partition_config_selectorILNS1_17partition_subalgoE5ElNS0_10empty_typeEbEEZZNS1_14partition_implILS5_5ELb0ES3_mN6hipcub16HIPCUB_304000_NS21CountingInputIteratorIllEEPS6_NSA_22TransformInputIteratorIb7NonZeroIsEPslEENS0_5tupleIJPlS6_EEENSJ_IJSD_SD_EEES6_SK_JS6_EEE10hipError_tPvRmT3_T4_T5_T6_T7_T9_mT8_P12ihipStream_tbDpT10_ENKUlT_T0_E_clISt17integral_constantIbLb0EES15_IbLb1EEEEDaS11_S12_EUlS11_E_NS1_11comp_targetILNS1_3genE9ELNS1_11target_archE1100ELNS1_3gpuE3ELNS1_3repE0EEENS1_30default_config_static_selectorELNS0_4arch9wavefront6targetE1EEEvT1_,"axG",@progbits,_ZN7rocprim17ROCPRIM_400000_NS6detail17trampoline_kernelINS0_14default_configENS1_25partition_config_selectorILNS1_17partition_subalgoE5ElNS0_10empty_typeEbEEZZNS1_14partition_implILS5_5ELb0ES3_mN6hipcub16HIPCUB_304000_NS21CountingInputIteratorIllEEPS6_NSA_22TransformInputIteratorIb7NonZeroIsEPslEENS0_5tupleIJPlS6_EEENSJ_IJSD_SD_EEES6_SK_JS6_EEE10hipError_tPvRmT3_T4_T5_T6_T7_T9_mT8_P12ihipStream_tbDpT10_ENKUlT_T0_E_clISt17integral_constantIbLb0EES15_IbLb1EEEEDaS11_S12_EUlS11_E_NS1_11comp_targetILNS1_3genE9ELNS1_11target_archE1100ELNS1_3gpuE3ELNS1_3repE0EEENS1_30default_config_static_selectorELNS0_4arch9wavefront6targetE1EEEvT1_,comdat
	.protected	_ZN7rocprim17ROCPRIM_400000_NS6detail17trampoline_kernelINS0_14default_configENS1_25partition_config_selectorILNS1_17partition_subalgoE5ElNS0_10empty_typeEbEEZZNS1_14partition_implILS5_5ELb0ES3_mN6hipcub16HIPCUB_304000_NS21CountingInputIteratorIllEEPS6_NSA_22TransformInputIteratorIb7NonZeroIsEPslEENS0_5tupleIJPlS6_EEENSJ_IJSD_SD_EEES6_SK_JS6_EEE10hipError_tPvRmT3_T4_T5_T6_T7_T9_mT8_P12ihipStream_tbDpT10_ENKUlT_T0_E_clISt17integral_constantIbLb0EES15_IbLb1EEEEDaS11_S12_EUlS11_E_NS1_11comp_targetILNS1_3genE9ELNS1_11target_archE1100ELNS1_3gpuE3ELNS1_3repE0EEENS1_30default_config_static_selectorELNS0_4arch9wavefront6targetE1EEEvT1_ ; -- Begin function _ZN7rocprim17ROCPRIM_400000_NS6detail17trampoline_kernelINS0_14default_configENS1_25partition_config_selectorILNS1_17partition_subalgoE5ElNS0_10empty_typeEbEEZZNS1_14partition_implILS5_5ELb0ES3_mN6hipcub16HIPCUB_304000_NS21CountingInputIteratorIllEEPS6_NSA_22TransformInputIteratorIb7NonZeroIsEPslEENS0_5tupleIJPlS6_EEENSJ_IJSD_SD_EEES6_SK_JS6_EEE10hipError_tPvRmT3_T4_T5_T6_T7_T9_mT8_P12ihipStream_tbDpT10_ENKUlT_T0_E_clISt17integral_constantIbLb0EES15_IbLb1EEEEDaS11_S12_EUlS11_E_NS1_11comp_targetILNS1_3genE9ELNS1_11target_archE1100ELNS1_3gpuE3ELNS1_3repE0EEENS1_30default_config_static_selectorELNS0_4arch9wavefront6targetE1EEEvT1_
	.globl	_ZN7rocprim17ROCPRIM_400000_NS6detail17trampoline_kernelINS0_14default_configENS1_25partition_config_selectorILNS1_17partition_subalgoE5ElNS0_10empty_typeEbEEZZNS1_14partition_implILS5_5ELb0ES3_mN6hipcub16HIPCUB_304000_NS21CountingInputIteratorIllEEPS6_NSA_22TransformInputIteratorIb7NonZeroIsEPslEENS0_5tupleIJPlS6_EEENSJ_IJSD_SD_EEES6_SK_JS6_EEE10hipError_tPvRmT3_T4_T5_T6_T7_T9_mT8_P12ihipStream_tbDpT10_ENKUlT_T0_E_clISt17integral_constantIbLb0EES15_IbLb1EEEEDaS11_S12_EUlS11_E_NS1_11comp_targetILNS1_3genE9ELNS1_11target_archE1100ELNS1_3gpuE3ELNS1_3repE0EEENS1_30default_config_static_selectorELNS0_4arch9wavefront6targetE1EEEvT1_
	.p2align	8
	.type	_ZN7rocprim17ROCPRIM_400000_NS6detail17trampoline_kernelINS0_14default_configENS1_25partition_config_selectorILNS1_17partition_subalgoE5ElNS0_10empty_typeEbEEZZNS1_14partition_implILS5_5ELb0ES3_mN6hipcub16HIPCUB_304000_NS21CountingInputIteratorIllEEPS6_NSA_22TransformInputIteratorIb7NonZeroIsEPslEENS0_5tupleIJPlS6_EEENSJ_IJSD_SD_EEES6_SK_JS6_EEE10hipError_tPvRmT3_T4_T5_T6_T7_T9_mT8_P12ihipStream_tbDpT10_ENKUlT_T0_E_clISt17integral_constantIbLb0EES15_IbLb1EEEEDaS11_S12_EUlS11_E_NS1_11comp_targetILNS1_3genE9ELNS1_11target_archE1100ELNS1_3gpuE3ELNS1_3repE0EEENS1_30default_config_static_selectorELNS0_4arch9wavefront6targetE1EEEvT1_,@function
_ZN7rocprim17ROCPRIM_400000_NS6detail17trampoline_kernelINS0_14default_configENS1_25partition_config_selectorILNS1_17partition_subalgoE5ElNS0_10empty_typeEbEEZZNS1_14partition_implILS5_5ELb0ES3_mN6hipcub16HIPCUB_304000_NS21CountingInputIteratorIllEEPS6_NSA_22TransformInputIteratorIb7NonZeroIsEPslEENS0_5tupleIJPlS6_EEENSJ_IJSD_SD_EEES6_SK_JS6_EEE10hipError_tPvRmT3_T4_T5_T6_T7_T9_mT8_P12ihipStream_tbDpT10_ENKUlT_T0_E_clISt17integral_constantIbLb0EES15_IbLb1EEEEDaS11_S12_EUlS11_E_NS1_11comp_targetILNS1_3genE9ELNS1_11target_archE1100ELNS1_3gpuE3ELNS1_3repE0EEENS1_30default_config_static_selectorELNS0_4arch9wavefront6targetE1EEEvT1_: ; @_ZN7rocprim17ROCPRIM_400000_NS6detail17trampoline_kernelINS0_14default_configENS1_25partition_config_selectorILNS1_17partition_subalgoE5ElNS0_10empty_typeEbEEZZNS1_14partition_implILS5_5ELb0ES3_mN6hipcub16HIPCUB_304000_NS21CountingInputIteratorIllEEPS6_NSA_22TransformInputIteratorIb7NonZeroIsEPslEENS0_5tupleIJPlS6_EEENSJ_IJSD_SD_EEES6_SK_JS6_EEE10hipError_tPvRmT3_T4_T5_T6_T7_T9_mT8_P12ihipStream_tbDpT10_ENKUlT_T0_E_clISt17integral_constantIbLb0EES15_IbLb1EEEEDaS11_S12_EUlS11_E_NS1_11comp_targetILNS1_3genE9ELNS1_11target_archE1100ELNS1_3gpuE3ELNS1_3repE0EEENS1_30default_config_static_selectorELNS0_4arch9wavefront6targetE1EEEvT1_
; %bb.0:
	.section	.rodata,"a",@progbits
	.p2align	6, 0x0
	.amdhsa_kernel _ZN7rocprim17ROCPRIM_400000_NS6detail17trampoline_kernelINS0_14default_configENS1_25partition_config_selectorILNS1_17partition_subalgoE5ElNS0_10empty_typeEbEEZZNS1_14partition_implILS5_5ELb0ES3_mN6hipcub16HIPCUB_304000_NS21CountingInputIteratorIllEEPS6_NSA_22TransformInputIteratorIb7NonZeroIsEPslEENS0_5tupleIJPlS6_EEENSJ_IJSD_SD_EEES6_SK_JS6_EEE10hipError_tPvRmT3_T4_T5_T6_T7_T9_mT8_P12ihipStream_tbDpT10_ENKUlT_T0_E_clISt17integral_constantIbLb0EES15_IbLb1EEEEDaS11_S12_EUlS11_E_NS1_11comp_targetILNS1_3genE9ELNS1_11target_archE1100ELNS1_3gpuE3ELNS1_3repE0EEENS1_30default_config_static_selectorELNS0_4arch9wavefront6targetE1EEEvT1_
		.amdhsa_group_segment_fixed_size 0
		.amdhsa_private_segment_fixed_size 0
		.amdhsa_kernarg_size 136
		.amdhsa_user_sgpr_count 6
		.amdhsa_user_sgpr_private_segment_buffer 1
		.amdhsa_user_sgpr_dispatch_ptr 0
		.amdhsa_user_sgpr_queue_ptr 0
		.amdhsa_user_sgpr_kernarg_segment_ptr 1
		.amdhsa_user_sgpr_dispatch_id 0
		.amdhsa_user_sgpr_flat_scratch_init 0
		.amdhsa_user_sgpr_private_segment_size 0
		.amdhsa_uses_dynamic_stack 0
		.amdhsa_system_sgpr_private_segment_wavefront_offset 0
		.amdhsa_system_sgpr_workgroup_id_x 1
		.amdhsa_system_sgpr_workgroup_id_y 0
		.amdhsa_system_sgpr_workgroup_id_z 0
		.amdhsa_system_sgpr_workgroup_info 0
		.amdhsa_system_vgpr_workitem_id 0
		.amdhsa_next_free_vgpr 1
		.amdhsa_next_free_sgpr 0
		.amdhsa_reserve_vcc 0
		.amdhsa_reserve_flat_scratch 0
		.amdhsa_float_round_mode_32 0
		.amdhsa_float_round_mode_16_64 0
		.amdhsa_float_denorm_mode_32 3
		.amdhsa_float_denorm_mode_16_64 3
		.amdhsa_dx10_clamp 1
		.amdhsa_ieee_mode 1
		.amdhsa_fp16_overflow 0
		.amdhsa_exception_fp_ieee_invalid_op 0
		.amdhsa_exception_fp_denorm_src 0
		.amdhsa_exception_fp_ieee_div_zero 0
		.amdhsa_exception_fp_ieee_overflow 0
		.amdhsa_exception_fp_ieee_underflow 0
		.amdhsa_exception_fp_ieee_inexact 0
		.amdhsa_exception_int_div_zero 0
	.end_amdhsa_kernel
	.section	.text._ZN7rocprim17ROCPRIM_400000_NS6detail17trampoline_kernelINS0_14default_configENS1_25partition_config_selectorILNS1_17partition_subalgoE5ElNS0_10empty_typeEbEEZZNS1_14partition_implILS5_5ELb0ES3_mN6hipcub16HIPCUB_304000_NS21CountingInputIteratorIllEEPS6_NSA_22TransformInputIteratorIb7NonZeroIsEPslEENS0_5tupleIJPlS6_EEENSJ_IJSD_SD_EEES6_SK_JS6_EEE10hipError_tPvRmT3_T4_T5_T6_T7_T9_mT8_P12ihipStream_tbDpT10_ENKUlT_T0_E_clISt17integral_constantIbLb0EES15_IbLb1EEEEDaS11_S12_EUlS11_E_NS1_11comp_targetILNS1_3genE9ELNS1_11target_archE1100ELNS1_3gpuE3ELNS1_3repE0EEENS1_30default_config_static_selectorELNS0_4arch9wavefront6targetE1EEEvT1_,"axG",@progbits,_ZN7rocprim17ROCPRIM_400000_NS6detail17trampoline_kernelINS0_14default_configENS1_25partition_config_selectorILNS1_17partition_subalgoE5ElNS0_10empty_typeEbEEZZNS1_14partition_implILS5_5ELb0ES3_mN6hipcub16HIPCUB_304000_NS21CountingInputIteratorIllEEPS6_NSA_22TransformInputIteratorIb7NonZeroIsEPslEENS0_5tupleIJPlS6_EEENSJ_IJSD_SD_EEES6_SK_JS6_EEE10hipError_tPvRmT3_T4_T5_T6_T7_T9_mT8_P12ihipStream_tbDpT10_ENKUlT_T0_E_clISt17integral_constantIbLb0EES15_IbLb1EEEEDaS11_S12_EUlS11_E_NS1_11comp_targetILNS1_3genE9ELNS1_11target_archE1100ELNS1_3gpuE3ELNS1_3repE0EEENS1_30default_config_static_selectorELNS0_4arch9wavefront6targetE1EEEvT1_,comdat
.Lfunc_end147:
	.size	_ZN7rocprim17ROCPRIM_400000_NS6detail17trampoline_kernelINS0_14default_configENS1_25partition_config_selectorILNS1_17partition_subalgoE5ElNS0_10empty_typeEbEEZZNS1_14partition_implILS5_5ELb0ES3_mN6hipcub16HIPCUB_304000_NS21CountingInputIteratorIllEEPS6_NSA_22TransformInputIteratorIb7NonZeroIsEPslEENS0_5tupleIJPlS6_EEENSJ_IJSD_SD_EEES6_SK_JS6_EEE10hipError_tPvRmT3_T4_T5_T6_T7_T9_mT8_P12ihipStream_tbDpT10_ENKUlT_T0_E_clISt17integral_constantIbLb0EES15_IbLb1EEEEDaS11_S12_EUlS11_E_NS1_11comp_targetILNS1_3genE9ELNS1_11target_archE1100ELNS1_3gpuE3ELNS1_3repE0EEENS1_30default_config_static_selectorELNS0_4arch9wavefront6targetE1EEEvT1_, .Lfunc_end147-_ZN7rocprim17ROCPRIM_400000_NS6detail17trampoline_kernelINS0_14default_configENS1_25partition_config_selectorILNS1_17partition_subalgoE5ElNS0_10empty_typeEbEEZZNS1_14partition_implILS5_5ELb0ES3_mN6hipcub16HIPCUB_304000_NS21CountingInputIteratorIllEEPS6_NSA_22TransformInputIteratorIb7NonZeroIsEPslEENS0_5tupleIJPlS6_EEENSJ_IJSD_SD_EEES6_SK_JS6_EEE10hipError_tPvRmT3_T4_T5_T6_T7_T9_mT8_P12ihipStream_tbDpT10_ENKUlT_T0_E_clISt17integral_constantIbLb0EES15_IbLb1EEEEDaS11_S12_EUlS11_E_NS1_11comp_targetILNS1_3genE9ELNS1_11target_archE1100ELNS1_3gpuE3ELNS1_3repE0EEENS1_30default_config_static_selectorELNS0_4arch9wavefront6targetE1EEEvT1_
                                        ; -- End function
	.set _ZN7rocprim17ROCPRIM_400000_NS6detail17trampoline_kernelINS0_14default_configENS1_25partition_config_selectorILNS1_17partition_subalgoE5ElNS0_10empty_typeEbEEZZNS1_14partition_implILS5_5ELb0ES3_mN6hipcub16HIPCUB_304000_NS21CountingInputIteratorIllEEPS6_NSA_22TransformInputIteratorIb7NonZeroIsEPslEENS0_5tupleIJPlS6_EEENSJ_IJSD_SD_EEES6_SK_JS6_EEE10hipError_tPvRmT3_T4_T5_T6_T7_T9_mT8_P12ihipStream_tbDpT10_ENKUlT_T0_E_clISt17integral_constantIbLb0EES15_IbLb1EEEEDaS11_S12_EUlS11_E_NS1_11comp_targetILNS1_3genE9ELNS1_11target_archE1100ELNS1_3gpuE3ELNS1_3repE0EEENS1_30default_config_static_selectorELNS0_4arch9wavefront6targetE1EEEvT1_.num_vgpr, 0
	.set _ZN7rocprim17ROCPRIM_400000_NS6detail17trampoline_kernelINS0_14default_configENS1_25partition_config_selectorILNS1_17partition_subalgoE5ElNS0_10empty_typeEbEEZZNS1_14partition_implILS5_5ELb0ES3_mN6hipcub16HIPCUB_304000_NS21CountingInputIteratorIllEEPS6_NSA_22TransformInputIteratorIb7NonZeroIsEPslEENS0_5tupleIJPlS6_EEENSJ_IJSD_SD_EEES6_SK_JS6_EEE10hipError_tPvRmT3_T4_T5_T6_T7_T9_mT8_P12ihipStream_tbDpT10_ENKUlT_T0_E_clISt17integral_constantIbLb0EES15_IbLb1EEEEDaS11_S12_EUlS11_E_NS1_11comp_targetILNS1_3genE9ELNS1_11target_archE1100ELNS1_3gpuE3ELNS1_3repE0EEENS1_30default_config_static_selectorELNS0_4arch9wavefront6targetE1EEEvT1_.num_agpr, 0
	.set _ZN7rocprim17ROCPRIM_400000_NS6detail17trampoline_kernelINS0_14default_configENS1_25partition_config_selectorILNS1_17partition_subalgoE5ElNS0_10empty_typeEbEEZZNS1_14partition_implILS5_5ELb0ES3_mN6hipcub16HIPCUB_304000_NS21CountingInputIteratorIllEEPS6_NSA_22TransformInputIteratorIb7NonZeroIsEPslEENS0_5tupleIJPlS6_EEENSJ_IJSD_SD_EEES6_SK_JS6_EEE10hipError_tPvRmT3_T4_T5_T6_T7_T9_mT8_P12ihipStream_tbDpT10_ENKUlT_T0_E_clISt17integral_constantIbLb0EES15_IbLb1EEEEDaS11_S12_EUlS11_E_NS1_11comp_targetILNS1_3genE9ELNS1_11target_archE1100ELNS1_3gpuE3ELNS1_3repE0EEENS1_30default_config_static_selectorELNS0_4arch9wavefront6targetE1EEEvT1_.numbered_sgpr, 0
	.set _ZN7rocprim17ROCPRIM_400000_NS6detail17trampoline_kernelINS0_14default_configENS1_25partition_config_selectorILNS1_17partition_subalgoE5ElNS0_10empty_typeEbEEZZNS1_14partition_implILS5_5ELb0ES3_mN6hipcub16HIPCUB_304000_NS21CountingInputIteratorIllEEPS6_NSA_22TransformInputIteratorIb7NonZeroIsEPslEENS0_5tupleIJPlS6_EEENSJ_IJSD_SD_EEES6_SK_JS6_EEE10hipError_tPvRmT3_T4_T5_T6_T7_T9_mT8_P12ihipStream_tbDpT10_ENKUlT_T0_E_clISt17integral_constantIbLb0EES15_IbLb1EEEEDaS11_S12_EUlS11_E_NS1_11comp_targetILNS1_3genE9ELNS1_11target_archE1100ELNS1_3gpuE3ELNS1_3repE0EEENS1_30default_config_static_selectorELNS0_4arch9wavefront6targetE1EEEvT1_.num_named_barrier, 0
	.set _ZN7rocprim17ROCPRIM_400000_NS6detail17trampoline_kernelINS0_14default_configENS1_25partition_config_selectorILNS1_17partition_subalgoE5ElNS0_10empty_typeEbEEZZNS1_14partition_implILS5_5ELb0ES3_mN6hipcub16HIPCUB_304000_NS21CountingInputIteratorIllEEPS6_NSA_22TransformInputIteratorIb7NonZeroIsEPslEENS0_5tupleIJPlS6_EEENSJ_IJSD_SD_EEES6_SK_JS6_EEE10hipError_tPvRmT3_T4_T5_T6_T7_T9_mT8_P12ihipStream_tbDpT10_ENKUlT_T0_E_clISt17integral_constantIbLb0EES15_IbLb1EEEEDaS11_S12_EUlS11_E_NS1_11comp_targetILNS1_3genE9ELNS1_11target_archE1100ELNS1_3gpuE3ELNS1_3repE0EEENS1_30default_config_static_selectorELNS0_4arch9wavefront6targetE1EEEvT1_.private_seg_size, 0
	.set _ZN7rocprim17ROCPRIM_400000_NS6detail17trampoline_kernelINS0_14default_configENS1_25partition_config_selectorILNS1_17partition_subalgoE5ElNS0_10empty_typeEbEEZZNS1_14partition_implILS5_5ELb0ES3_mN6hipcub16HIPCUB_304000_NS21CountingInputIteratorIllEEPS6_NSA_22TransformInputIteratorIb7NonZeroIsEPslEENS0_5tupleIJPlS6_EEENSJ_IJSD_SD_EEES6_SK_JS6_EEE10hipError_tPvRmT3_T4_T5_T6_T7_T9_mT8_P12ihipStream_tbDpT10_ENKUlT_T0_E_clISt17integral_constantIbLb0EES15_IbLb1EEEEDaS11_S12_EUlS11_E_NS1_11comp_targetILNS1_3genE9ELNS1_11target_archE1100ELNS1_3gpuE3ELNS1_3repE0EEENS1_30default_config_static_selectorELNS0_4arch9wavefront6targetE1EEEvT1_.uses_vcc, 0
	.set _ZN7rocprim17ROCPRIM_400000_NS6detail17trampoline_kernelINS0_14default_configENS1_25partition_config_selectorILNS1_17partition_subalgoE5ElNS0_10empty_typeEbEEZZNS1_14partition_implILS5_5ELb0ES3_mN6hipcub16HIPCUB_304000_NS21CountingInputIteratorIllEEPS6_NSA_22TransformInputIteratorIb7NonZeroIsEPslEENS0_5tupleIJPlS6_EEENSJ_IJSD_SD_EEES6_SK_JS6_EEE10hipError_tPvRmT3_T4_T5_T6_T7_T9_mT8_P12ihipStream_tbDpT10_ENKUlT_T0_E_clISt17integral_constantIbLb0EES15_IbLb1EEEEDaS11_S12_EUlS11_E_NS1_11comp_targetILNS1_3genE9ELNS1_11target_archE1100ELNS1_3gpuE3ELNS1_3repE0EEENS1_30default_config_static_selectorELNS0_4arch9wavefront6targetE1EEEvT1_.uses_flat_scratch, 0
	.set _ZN7rocprim17ROCPRIM_400000_NS6detail17trampoline_kernelINS0_14default_configENS1_25partition_config_selectorILNS1_17partition_subalgoE5ElNS0_10empty_typeEbEEZZNS1_14partition_implILS5_5ELb0ES3_mN6hipcub16HIPCUB_304000_NS21CountingInputIteratorIllEEPS6_NSA_22TransformInputIteratorIb7NonZeroIsEPslEENS0_5tupleIJPlS6_EEENSJ_IJSD_SD_EEES6_SK_JS6_EEE10hipError_tPvRmT3_T4_T5_T6_T7_T9_mT8_P12ihipStream_tbDpT10_ENKUlT_T0_E_clISt17integral_constantIbLb0EES15_IbLb1EEEEDaS11_S12_EUlS11_E_NS1_11comp_targetILNS1_3genE9ELNS1_11target_archE1100ELNS1_3gpuE3ELNS1_3repE0EEENS1_30default_config_static_selectorELNS0_4arch9wavefront6targetE1EEEvT1_.has_dyn_sized_stack, 0
	.set _ZN7rocprim17ROCPRIM_400000_NS6detail17trampoline_kernelINS0_14default_configENS1_25partition_config_selectorILNS1_17partition_subalgoE5ElNS0_10empty_typeEbEEZZNS1_14partition_implILS5_5ELb0ES3_mN6hipcub16HIPCUB_304000_NS21CountingInputIteratorIllEEPS6_NSA_22TransformInputIteratorIb7NonZeroIsEPslEENS0_5tupleIJPlS6_EEENSJ_IJSD_SD_EEES6_SK_JS6_EEE10hipError_tPvRmT3_T4_T5_T6_T7_T9_mT8_P12ihipStream_tbDpT10_ENKUlT_T0_E_clISt17integral_constantIbLb0EES15_IbLb1EEEEDaS11_S12_EUlS11_E_NS1_11comp_targetILNS1_3genE9ELNS1_11target_archE1100ELNS1_3gpuE3ELNS1_3repE0EEENS1_30default_config_static_selectorELNS0_4arch9wavefront6targetE1EEEvT1_.has_recursion, 0
	.set _ZN7rocprim17ROCPRIM_400000_NS6detail17trampoline_kernelINS0_14default_configENS1_25partition_config_selectorILNS1_17partition_subalgoE5ElNS0_10empty_typeEbEEZZNS1_14partition_implILS5_5ELb0ES3_mN6hipcub16HIPCUB_304000_NS21CountingInputIteratorIllEEPS6_NSA_22TransformInputIteratorIb7NonZeroIsEPslEENS0_5tupleIJPlS6_EEENSJ_IJSD_SD_EEES6_SK_JS6_EEE10hipError_tPvRmT3_T4_T5_T6_T7_T9_mT8_P12ihipStream_tbDpT10_ENKUlT_T0_E_clISt17integral_constantIbLb0EES15_IbLb1EEEEDaS11_S12_EUlS11_E_NS1_11comp_targetILNS1_3genE9ELNS1_11target_archE1100ELNS1_3gpuE3ELNS1_3repE0EEENS1_30default_config_static_selectorELNS0_4arch9wavefront6targetE1EEEvT1_.has_indirect_call, 0
	.section	.AMDGPU.csdata,"",@progbits
; Kernel info:
; codeLenInByte = 0
; TotalNumSgprs: 4
; NumVgprs: 0
; ScratchSize: 0
; MemoryBound: 0
; FloatMode: 240
; IeeeMode: 1
; LDSByteSize: 0 bytes/workgroup (compile time only)
; SGPRBlocks: 0
; VGPRBlocks: 0
; NumSGPRsForWavesPerEU: 4
; NumVGPRsForWavesPerEU: 1
; Occupancy: 10
; WaveLimiterHint : 0
; COMPUTE_PGM_RSRC2:SCRATCH_EN: 0
; COMPUTE_PGM_RSRC2:USER_SGPR: 6
; COMPUTE_PGM_RSRC2:TRAP_HANDLER: 0
; COMPUTE_PGM_RSRC2:TGID_X_EN: 1
; COMPUTE_PGM_RSRC2:TGID_Y_EN: 0
; COMPUTE_PGM_RSRC2:TGID_Z_EN: 0
; COMPUTE_PGM_RSRC2:TIDIG_COMP_CNT: 0
	.section	.text._ZN7rocprim17ROCPRIM_400000_NS6detail17trampoline_kernelINS0_14default_configENS1_25partition_config_selectorILNS1_17partition_subalgoE5ElNS0_10empty_typeEbEEZZNS1_14partition_implILS5_5ELb0ES3_mN6hipcub16HIPCUB_304000_NS21CountingInputIteratorIllEEPS6_NSA_22TransformInputIteratorIb7NonZeroIsEPslEENS0_5tupleIJPlS6_EEENSJ_IJSD_SD_EEES6_SK_JS6_EEE10hipError_tPvRmT3_T4_T5_T6_T7_T9_mT8_P12ihipStream_tbDpT10_ENKUlT_T0_E_clISt17integral_constantIbLb0EES15_IbLb1EEEEDaS11_S12_EUlS11_E_NS1_11comp_targetILNS1_3genE8ELNS1_11target_archE1030ELNS1_3gpuE2ELNS1_3repE0EEENS1_30default_config_static_selectorELNS0_4arch9wavefront6targetE1EEEvT1_,"axG",@progbits,_ZN7rocprim17ROCPRIM_400000_NS6detail17trampoline_kernelINS0_14default_configENS1_25partition_config_selectorILNS1_17partition_subalgoE5ElNS0_10empty_typeEbEEZZNS1_14partition_implILS5_5ELb0ES3_mN6hipcub16HIPCUB_304000_NS21CountingInputIteratorIllEEPS6_NSA_22TransformInputIteratorIb7NonZeroIsEPslEENS0_5tupleIJPlS6_EEENSJ_IJSD_SD_EEES6_SK_JS6_EEE10hipError_tPvRmT3_T4_T5_T6_T7_T9_mT8_P12ihipStream_tbDpT10_ENKUlT_T0_E_clISt17integral_constantIbLb0EES15_IbLb1EEEEDaS11_S12_EUlS11_E_NS1_11comp_targetILNS1_3genE8ELNS1_11target_archE1030ELNS1_3gpuE2ELNS1_3repE0EEENS1_30default_config_static_selectorELNS0_4arch9wavefront6targetE1EEEvT1_,comdat
	.protected	_ZN7rocprim17ROCPRIM_400000_NS6detail17trampoline_kernelINS0_14default_configENS1_25partition_config_selectorILNS1_17partition_subalgoE5ElNS0_10empty_typeEbEEZZNS1_14partition_implILS5_5ELb0ES3_mN6hipcub16HIPCUB_304000_NS21CountingInputIteratorIllEEPS6_NSA_22TransformInputIteratorIb7NonZeroIsEPslEENS0_5tupleIJPlS6_EEENSJ_IJSD_SD_EEES6_SK_JS6_EEE10hipError_tPvRmT3_T4_T5_T6_T7_T9_mT8_P12ihipStream_tbDpT10_ENKUlT_T0_E_clISt17integral_constantIbLb0EES15_IbLb1EEEEDaS11_S12_EUlS11_E_NS1_11comp_targetILNS1_3genE8ELNS1_11target_archE1030ELNS1_3gpuE2ELNS1_3repE0EEENS1_30default_config_static_selectorELNS0_4arch9wavefront6targetE1EEEvT1_ ; -- Begin function _ZN7rocprim17ROCPRIM_400000_NS6detail17trampoline_kernelINS0_14default_configENS1_25partition_config_selectorILNS1_17partition_subalgoE5ElNS0_10empty_typeEbEEZZNS1_14partition_implILS5_5ELb0ES3_mN6hipcub16HIPCUB_304000_NS21CountingInputIteratorIllEEPS6_NSA_22TransformInputIteratorIb7NonZeroIsEPslEENS0_5tupleIJPlS6_EEENSJ_IJSD_SD_EEES6_SK_JS6_EEE10hipError_tPvRmT3_T4_T5_T6_T7_T9_mT8_P12ihipStream_tbDpT10_ENKUlT_T0_E_clISt17integral_constantIbLb0EES15_IbLb1EEEEDaS11_S12_EUlS11_E_NS1_11comp_targetILNS1_3genE8ELNS1_11target_archE1030ELNS1_3gpuE2ELNS1_3repE0EEENS1_30default_config_static_selectorELNS0_4arch9wavefront6targetE1EEEvT1_
	.globl	_ZN7rocprim17ROCPRIM_400000_NS6detail17trampoline_kernelINS0_14default_configENS1_25partition_config_selectorILNS1_17partition_subalgoE5ElNS0_10empty_typeEbEEZZNS1_14partition_implILS5_5ELb0ES3_mN6hipcub16HIPCUB_304000_NS21CountingInputIteratorIllEEPS6_NSA_22TransformInputIteratorIb7NonZeroIsEPslEENS0_5tupleIJPlS6_EEENSJ_IJSD_SD_EEES6_SK_JS6_EEE10hipError_tPvRmT3_T4_T5_T6_T7_T9_mT8_P12ihipStream_tbDpT10_ENKUlT_T0_E_clISt17integral_constantIbLb0EES15_IbLb1EEEEDaS11_S12_EUlS11_E_NS1_11comp_targetILNS1_3genE8ELNS1_11target_archE1030ELNS1_3gpuE2ELNS1_3repE0EEENS1_30default_config_static_selectorELNS0_4arch9wavefront6targetE1EEEvT1_
	.p2align	8
	.type	_ZN7rocprim17ROCPRIM_400000_NS6detail17trampoline_kernelINS0_14default_configENS1_25partition_config_selectorILNS1_17partition_subalgoE5ElNS0_10empty_typeEbEEZZNS1_14partition_implILS5_5ELb0ES3_mN6hipcub16HIPCUB_304000_NS21CountingInputIteratorIllEEPS6_NSA_22TransformInputIteratorIb7NonZeroIsEPslEENS0_5tupleIJPlS6_EEENSJ_IJSD_SD_EEES6_SK_JS6_EEE10hipError_tPvRmT3_T4_T5_T6_T7_T9_mT8_P12ihipStream_tbDpT10_ENKUlT_T0_E_clISt17integral_constantIbLb0EES15_IbLb1EEEEDaS11_S12_EUlS11_E_NS1_11comp_targetILNS1_3genE8ELNS1_11target_archE1030ELNS1_3gpuE2ELNS1_3repE0EEENS1_30default_config_static_selectorELNS0_4arch9wavefront6targetE1EEEvT1_,@function
_ZN7rocprim17ROCPRIM_400000_NS6detail17trampoline_kernelINS0_14default_configENS1_25partition_config_selectorILNS1_17partition_subalgoE5ElNS0_10empty_typeEbEEZZNS1_14partition_implILS5_5ELb0ES3_mN6hipcub16HIPCUB_304000_NS21CountingInputIteratorIllEEPS6_NSA_22TransformInputIteratorIb7NonZeroIsEPslEENS0_5tupleIJPlS6_EEENSJ_IJSD_SD_EEES6_SK_JS6_EEE10hipError_tPvRmT3_T4_T5_T6_T7_T9_mT8_P12ihipStream_tbDpT10_ENKUlT_T0_E_clISt17integral_constantIbLb0EES15_IbLb1EEEEDaS11_S12_EUlS11_E_NS1_11comp_targetILNS1_3genE8ELNS1_11target_archE1030ELNS1_3gpuE2ELNS1_3repE0EEENS1_30default_config_static_selectorELNS0_4arch9wavefront6targetE1EEEvT1_: ; @_ZN7rocprim17ROCPRIM_400000_NS6detail17trampoline_kernelINS0_14default_configENS1_25partition_config_selectorILNS1_17partition_subalgoE5ElNS0_10empty_typeEbEEZZNS1_14partition_implILS5_5ELb0ES3_mN6hipcub16HIPCUB_304000_NS21CountingInputIteratorIllEEPS6_NSA_22TransformInputIteratorIb7NonZeroIsEPslEENS0_5tupleIJPlS6_EEENSJ_IJSD_SD_EEES6_SK_JS6_EEE10hipError_tPvRmT3_T4_T5_T6_T7_T9_mT8_P12ihipStream_tbDpT10_ENKUlT_T0_E_clISt17integral_constantIbLb0EES15_IbLb1EEEEDaS11_S12_EUlS11_E_NS1_11comp_targetILNS1_3genE8ELNS1_11target_archE1030ELNS1_3gpuE2ELNS1_3repE0EEENS1_30default_config_static_selectorELNS0_4arch9wavefront6targetE1EEEvT1_
; %bb.0:
	.section	.rodata,"a",@progbits
	.p2align	6, 0x0
	.amdhsa_kernel _ZN7rocprim17ROCPRIM_400000_NS6detail17trampoline_kernelINS0_14default_configENS1_25partition_config_selectorILNS1_17partition_subalgoE5ElNS0_10empty_typeEbEEZZNS1_14partition_implILS5_5ELb0ES3_mN6hipcub16HIPCUB_304000_NS21CountingInputIteratorIllEEPS6_NSA_22TransformInputIteratorIb7NonZeroIsEPslEENS0_5tupleIJPlS6_EEENSJ_IJSD_SD_EEES6_SK_JS6_EEE10hipError_tPvRmT3_T4_T5_T6_T7_T9_mT8_P12ihipStream_tbDpT10_ENKUlT_T0_E_clISt17integral_constantIbLb0EES15_IbLb1EEEEDaS11_S12_EUlS11_E_NS1_11comp_targetILNS1_3genE8ELNS1_11target_archE1030ELNS1_3gpuE2ELNS1_3repE0EEENS1_30default_config_static_selectorELNS0_4arch9wavefront6targetE1EEEvT1_
		.amdhsa_group_segment_fixed_size 0
		.amdhsa_private_segment_fixed_size 0
		.amdhsa_kernarg_size 136
		.amdhsa_user_sgpr_count 6
		.amdhsa_user_sgpr_private_segment_buffer 1
		.amdhsa_user_sgpr_dispatch_ptr 0
		.amdhsa_user_sgpr_queue_ptr 0
		.amdhsa_user_sgpr_kernarg_segment_ptr 1
		.amdhsa_user_sgpr_dispatch_id 0
		.amdhsa_user_sgpr_flat_scratch_init 0
		.amdhsa_user_sgpr_private_segment_size 0
		.amdhsa_uses_dynamic_stack 0
		.amdhsa_system_sgpr_private_segment_wavefront_offset 0
		.amdhsa_system_sgpr_workgroup_id_x 1
		.amdhsa_system_sgpr_workgroup_id_y 0
		.amdhsa_system_sgpr_workgroup_id_z 0
		.amdhsa_system_sgpr_workgroup_info 0
		.amdhsa_system_vgpr_workitem_id 0
		.amdhsa_next_free_vgpr 1
		.amdhsa_next_free_sgpr 0
		.amdhsa_reserve_vcc 0
		.amdhsa_reserve_flat_scratch 0
		.amdhsa_float_round_mode_32 0
		.amdhsa_float_round_mode_16_64 0
		.amdhsa_float_denorm_mode_32 3
		.amdhsa_float_denorm_mode_16_64 3
		.amdhsa_dx10_clamp 1
		.amdhsa_ieee_mode 1
		.amdhsa_fp16_overflow 0
		.amdhsa_exception_fp_ieee_invalid_op 0
		.amdhsa_exception_fp_denorm_src 0
		.amdhsa_exception_fp_ieee_div_zero 0
		.amdhsa_exception_fp_ieee_overflow 0
		.amdhsa_exception_fp_ieee_underflow 0
		.amdhsa_exception_fp_ieee_inexact 0
		.amdhsa_exception_int_div_zero 0
	.end_amdhsa_kernel
	.section	.text._ZN7rocprim17ROCPRIM_400000_NS6detail17trampoline_kernelINS0_14default_configENS1_25partition_config_selectorILNS1_17partition_subalgoE5ElNS0_10empty_typeEbEEZZNS1_14partition_implILS5_5ELb0ES3_mN6hipcub16HIPCUB_304000_NS21CountingInputIteratorIllEEPS6_NSA_22TransformInputIteratorIb7NonZeroIsEPslEENS0_5tupleIJPlS6_EEENSJ_IJSD_SD_EEES6_SK_JS6_EEE10hipError_tPvRmT3_T4_T5_T6_T7_T9_mT8_P12ihipStream_tbDpT10_ENKUlT_T0_E_clISt17integral_constantIbLb0EES15_IbLb1EEEEDaS11_S12_EUlS11_E_NS1_11comp_targetILNS1_3genE8ELNS1_11target_archE1030ELNS1_3gpuE2ELNS1_3repE0EEENS1_30default_config_static_selectorELNS0_4arch9wavefront6targetE1EEEvT1_,"axG",@progbits,_ZN7rocprim17ROCPRIM_400000_NS6detail17trampoline_kernelINS0_14default_configENS1_25partition_config_selectorILNS1_17partition_subalgoE5ElNS0_10empty_typeEbEEZZNS1_14partition_implILS5_5ELb0ES3_mN6hipcub16HIPCUB_304000_NS21CountingInputIteratorIllEEPS6_NSA_22TransformInputIteratorIb7NonZeroIsEPslEENS0_5tupleIJPlS6_EEENSJ_IJSD_SD_EEES6_SK_JS6_EEE10hipError_tPvRmT3_T4_T5_T6_T7_T9_mT8_P12ihipStream_tbDpT10_ENKUlT_T0_E_clISt17integral_constantIbLb0EES15_IbLb1EEEEDaS11_S12_EUlS11_E_NS1_11comp_targetILNS1_3genE8ELNS1_11target_archE1030ELNS1_3gpuE2ELNS1_3repE0EEENS1_30default_config_static_selectorELNS0_4arch9wavefront6targetE1EEEvT1_,comdat
.Lfunc_end148:
	.size	_ZN7rocprim17ROCPRIM_400000_NS6detail17trampoline_kernelINS0_14default_configENS1_25partition_config_selectorILNS1_17partition_subalgoE5ElNS0_10empty_typeEbEEZZNS1_14partition_implILS5_5ELb0ES3_mN6hipcub16HIPCUB_304000_NS21CountingInputIteratorIllEEPS6_NSA_22TransformInputIteratorIb7NonZeroIsEPslEENS0_5tupleIJPlS6_EEENSJ_IJSD_SD_EEES6_SK_JS6_EEE10hipError_tPvRmT3_T4_T5_T6_T7_T9_mT8_P12ihipStream_tbDpT10_ENKUlT_T0_E_clISt17integral_constantIbLb0EES15_IbLb1EEEEDaS11_S12_EUlS11_E_NS1_11comp_targetILNS1_3genE8ELNS1_11target_archE1030ELNS1_3gpuE2ELNS1_3repE0EEENS1_30default_config_static_selectorELNS0_4arch9wavefront6targetE1EEEvT1_, .Lfunc_end148-_ZN7rocprim17ROCPRIM_400000_NS6detail17trampoline_kernelINS0_14default_configENS1_25partition_config_selectorILNS1_17partition_subalgoE5ElNS0_10empty_typeEbEEZZNS1_14partition_implILS5_5ELb0ES3_mN6hipcub16HIPCUB_304000_NS21CountingInputIteratorIllEEPS6_NSA_22TransformInputIteratorIb7NonZeroIsEPslEENS0_5tupleIJPlS6_EEENSJ_IJSD_SD_EEES6_SK_JS6_EEE10hipError_tPvRmT3_T4_T5_T6_T7_T9_mT8_P12ihipStream_tbDpT10_ENKUlT_T0_E_clISt17integral_constantIbLb0EES15_IbLb1EEEEDaS11_S12_EUlS11_E_NS1_11comp_targetILNS1_3genE8ELNS1_11target_archE1030ELNS1_3gpuE2ELNS1_3repE0EEENS1_30default_config_static_selectorELNS0_4arch9wavefront6targetE1EEEvT1_
                                        ; -- End function
	.set _ZN7rocprim17ROCPRIM_400000_NS6detail17trampoline_kernelINS0_14default_configENS1_25partition_config_selectorILNS1_17partition_subalgoE5ElNS0_10empty_typeEbEEZZNS1_14partition_implILS5_5ELb0ES3_mN6hipcub16HIPCUB_304000_NS21CountingInputIteratorIllEEPS6_NSA_22TransformInputIteratorIb7NonZeroIsEPslEENS0_5tupleIJPlS6_EEENSJ_IJSD_SD_EEES6_SK_JS6_EEE10hipError_tPvRmT3_T4_T5_T6_T7_T9_mT8_P12ihipStream_tbDpT10_ENKUlT_T0_E_clISt17integral_constantIbLb0EES15_IbLb1EEEEDaS11_S12_EUlS11_E_NS1_11comp_targetILNS1_3genE8ELNS1_11target_archE1030ELNS1_3gpuE2ELNS1_3repE0EEENS1_30default_config_static_selectorELNS0_4arch9wavefront6targetE1EEEvT1_.num_vgpr, 0
	.set _ZN7rocprim17ROCPRIM_400000_NS6detail17trampoline_kernelINS0_14default_configENS1_25partition_config_selectorILNS1_17partition_subalgoE5ElNS0_10empty_typeEbEEZZNS1_14partition_implILS5_5ELb0ES3_mN6hipcub16HIPCUB_304000_NS21CountingInputIteratorIllEEPS6_NSA_22TransformInputIteratorIb7NonZeroIsEPslEENS0_5tupleIJPlS6_EEENSJ_IJSD_SD_EEES6_SK_JS6_EEE10hipError_tPvRmT3_T4_T5_T6_T7_T9_mT8_P12ihipStream_tbDpT10_ENKUlT_T0_E_clISt17integral_constantIbLb0EES15_IbLb1EEEEDaS11_S12_EUlS11_E_NS1_11comp_targetILNS1_3genE8ELNS1_11target_archE1030ELNS1_3gpuE2ELNS1_3repE0EEENS1_30default_config_static_selectorELNS0_4arch9wavefront6targetE1EEEvT1_.num_agpr, 0
	.set _ZN7rocprim17ROCPRIM_400000_NS6detail17trampoline_kernelINS0_14default_configENS1_25partition_config_selectorILNS1_17partition_subalgoE5ElNS0_10empty_typeEbEEZZNS1_14partition_implILS5_5ELb0ES3_mN6hipcub16HIPCUB_304000_NS21CountingInputIteratorIllEEPS6_NSA_22TransformInputIteratorIb7NonZeroIsEPslEENS0_5tupleIJPlS6_EEENSJ_IJSD_SD_EEES6_SK_JS6_EEE10hipError_tPvRmT3_T4_T5_T6_T7_T9_mT8_P12ihipStream_tbDpT10_ENKUlT_T0_E_clISt17integral_constantIbLb0EES15_IbLb1EEEEDaS11_S12_EUlS11_E_NS1_11comp_targetILNS1_3genE8ELNS1_11target_archE1030ELNS1_3gpuE2ELNS1_3repE0EEENS1_30default_config_static_selectorELNS0_4arch9wavefront6targetE1EEEvT1_.numbered_sgpr, 0
	.set _ZN7rocprim17ROCPRIM_400000_NS6detail17trampoline_kernelINS0_14default_configENS1_25partition_config_selectorILNS1_17partition_subalgoE5ElNS0_10empty_typeEbEEZZNS1_14partition_implILS5_5ELb0ES3_mN6hipcub16HIPCUB_304000_NS21CountingInputIteratorIllEEPS6_NSA_22TransformInputIteratorIb7NonZeroIsEPslEENS0_5tupleIJPlS6_EEENSJ_IJSD_SD_EEES6_SK_JS6_EEE10hipError_tPvRmT3_T4_T5_T6_T7_T9_mT8_P12ihipStream_tbDpT10_ENKUlT_T0_E_clISt17integral_constantIbLb0EES15_IbLb1EEEEDaS11_S12_EUlS11_E_NS1_11comp_targetILNS1_3genE8ELNS1_11target_archE1030ELNS1_3gpuE2ELNS1_3repE0EEENS1_30default_config_static_selectorELNS0_4arch9wavefront6targetE1EEEvT1_.num_named_barrier, 0
	.set _ZN7rocprim17ROCPRIM_400000_NS6detail17trampoline_kernelINS0_14default_configENS1_25partition_config_selectorILNS1_17partition_subalgoE5ElNS0_10empty_typeEbEEZZNS1_14partition_implILS5_5ELb0ES3_mN6hipcub16HIPCUB_304000_NS21CountingInputIteratorIllEEPS6_NSA_22TransformInputIteratorIb7NonZeroIsEPslEENS0_5tupleIJPlS6_EEENSJ_IJSD_SD_EEES6_SK_JS6_EEE10hipError_tPvRmT3_T4_T5_T6_T7_T9_mT8_P12ihipStream_tbDpT10_ENKUlT_T0_E_clISt17integral_constantIbLb0EES15_IbLb1EEEEDaS11_S12_EUlS11_E_NS1_11comp_targetILNS1_3genE8ELNS1_11target_archE1030ELNS1_3gpuE2ELNS1_3repE0EEENS1_30default_config_static_selectorELNS0_4arch9wavefront6targetE1EEEvT1_.private_seg_size, 0
	.set _ZN7rocprim17ROCPRIM_400000_NS6detail17trampoline_kernelINS0_14default_configENS1_25partition_config_selectorILNS1_17partition_subalgoE5ElNS0_10empty_typeEbEEZZNS1_14partition_implILS5_5ELb0ES3_mN6hipcub16HIPCUB_304000_NS21CountingInputIteratorIllEEPS6_NSA_22TransformInputIteratorIb7NonZeroIsEPslEENS0_5tupleIJPlS6_EEENSJ_IJSD_SD_EEES6_SK_JS6_EEE10hipError_tPvRmT3_T4_T5_T6_T7_T9_mT8_P12ihipStream_tbDpT10_ENKUlT_T0_E_clISt17integral_constantIbLb0EES15_IbLb1EEEEDaS11_S12_EUlS11_E_NS1_11comp_targetILNS1_3genE8ELNS1_11target_archE1030ELNS1_3gpuE2ELNS1_3repE0EEENS1_30default_config_static_selectorELNS0_4arch9wavefront6targetE1EEEvT1_.uses_vcc, 0
	.set _ZN7rocprim17ROCPRIM_400000_NS6detail17trampoline_kernelINS0_14default_configENS1_25partition_config_selectorILNS1_17partition_subalgoE5ElNS0_10empty_typeEbEEZZNS1_14partition_implILS5_5ELb0ES3_mN6hipcub16HIPCUB_304000_NS21CountingInputIteratorIllEEPS6_NSA_22TransformInputIteratorIb7NonZeroIsEPslEENS0_5tupleIJPlS6_EEENSJ_IJSD_SD_EEES6_SK_JS6_EEE10hipError_tPvRmT3_T4_T5_T6_T7_T9_mT8_P12ihipStream_tbDpT10_ENKUlT_T0_E_clISt17integral_constantIbLb0EES15_IbLb1EEEEDaS11_S12_EUlS11_E_NS1_11comp_targetILNS1_3genE8ELNS1_11target_archE1030ELNS1_3gpuE2ELNS1_3repE0EEENS1_30default_config_static_selectorELNS0_4arch9wavefront6targetE1EEEvT1_.uses_flat_scratch, 0
	.set _ZN7rocprim17ROCPRIM_400000_NS6detail17trampoline_kernelINS0_14default_configENS1_25partition_config_selectorILNS1_17partition_subalgoE5ElNS0_10empty_typeEbEEZZNS1_14partition_implILS5_5ELb0ES3_mN6hipcub16HIPCUB_304000_NS21CountingInputIteratorIllEEPS6_NSA_22TransformInputIteratorIb7NonZeroIsEPslEENS0_5tupleIJPlS6_EEENSJ_IJSD_SD_EEES6_SK_JS6_EEE10hipError_tPvRmT3_T4_T5_T6_T7_T9_mT8_P12ihipStream_tbDpT10_ENKUlT_T0_E_clISt17integral_constantIbLb0EES15_IbLb1EEEEDaS11_S12_EUlS11_E_NS1_11comp_targetILNS1_3genE8ELNS1_11target_archE1030ELNS1_3gpuE2ELNS1_3repE0EEENS1_30default_config_static_selectorELNS0_4arch9wavefront6targetE1EEEvT1_.has_dyn_sized_stack, 0
	.set _ZN7rocprim17ROCPRIM_400000_NS6detail17trampoline_kernelINS0_14default_configENS1_25partition_config_selectorILNS1_17partition_subalgoE5ElNS0_10empty_typeEbEEZZNS1_14partition_implILS5_5ELb0ES3_mN6hipcub16HIPCUB_304000_NS21CountingInputIteratorIllEEPS6_NSA_22TransformInputIteratorIb7NonZeroIsEPslEENS0_5tupleIJPlS6_EEENSJ_IJSD_SD_EEES6_SK_JS6_EEE10hipError_tPvRmT3_T4_T5_T6_T7_T9_mT8_P12ihipStream_tbDpT10_ENKUlT_T0_E_clISt17integral_constantIbLb0EES15_IbLb1EEEEDaS11_S12_EUlS11_E_NS1_11comp_targetILNS1_3genE8ELNS1_11target_archE1030ELNS1_3gpuE2ELNS1_3repE0EEENS1_30default_config_static_selectorELNS0_4arch9wavefront6targetE1EEEvT1_.has_recursion, 0
	.set _ZN7rocprim17ROCPRIM_400000_NS6detail17trampoline_kernelINS0_14default_configENS1_25partition_config_selectorILNS1_17partition_subalgoE5ElNS0_10empty_typeEbEEZZNS1_14partition_implILS5_5ELb0ES3_mN6hipcub16HIPCUB_304000_NS21CountingInputIteratorIllEEPS6_NSA_22TransformInputIteratorIb7NonZeroIsEPslEENS0_5tupleIJPlS6_EEENSJ_IJSD_SD_EEES6_SK_JS6_EEE10hipError_tPvRmT3_T4_T5_T6_T7_T9_mT8_P12ihipStream_tbDpT10_ENKUlT_T0_E_clISt17integral_constantIbLb0EES15_IbLb1EEEEDaS11_S12_EUlS11_E_NS1_11comp_targetILNS1_3genE8ELNS1_11target_archE1030ELNS1_3gpuE2ELNS1_3repE0EEENS1_30default_config_static_selectorELNS0_4arch9wavefront6targetE1EEEvT1_.has_indirect_call, 0
	.section	.AMDGPU.csdata,"",@progbits
; Kernel info:
; codeLenInByte = 0
; TotalNumSgprs: 4
; NumVgprs: 0
; ScratchSize: 0
; MemoryBound: 0
; FloatMode: 240
; IeeeMode: 1
; LDSByteSize: 0 bytes/workgroup (compile time only)
; SGPRBlocks: 0
; VGPRBlocks: 0
; NumSGPRsForWavesPerEU: 4
; NumVGPRsForWavesPerEU: 1
; Occupancy: 10
; WaveLimiterHint : 0
; COMPUTE_PGM_RSRC2:SCRATCH_EN: 0
; COMPUTE_PGM_RSRC2:USER_SGPR: 6
; COMPUTE_PGM_RSRC2:TRAP_HANDLER: 0
; COMPUTE_PGM_RSRC2:TGID_X_EN: 1
; COMPUTE_PGM_RSRC2:TGID_Y_EN: 0
; COMPUTE_PGM_RSRC2:TGID_Z_EN: 0
; COMPUTE_PGM_RSRC2:TIDIG_COMP_CNT: 0
	.section	.text._ZN7rocprim17ROCPRIM_400000_NS6detail17trampoline_kernelINS0_14default_configENS1_22reduce_config_selectorIlEEZNS1_11reduce_implILb1ES3_PlS7_lN6hipcub16HIPCUB_304000_NS6detail34convert_binary_result_type_wrapperINS9_3SumENS9_22TransformInputIteratorIb7NonZeroIiEPilEElEEEE10hipError_tPvRmT1_T2_T3_mT4_P12ihipStream_tbEUlT_E0_NS1_11comp_targetILNS1_3genE0ELNS1_11target_archE4294967295ELNS1_3gpuE0ELNS1_3repE0EEENS1_30default_config_static_selectorELNS0_4arch9wavefront6targetE1EEEvSM_,"axG",@progbits,_ZN7rocprim17ROCPRIM_400000_NS6detail17trampoline_kernelINS0_14default_configENS1_22reduce_config_selectorIlEEZNS1_11reduce_implILb1ES3_PlS7_lN6hipcub16HIPCUB_304000_NS6detail34convert_binary_result_type_wrapperINS9_3SumENS9_22TransformInputIteratorIb7NonZeroIiEPilEElEEEE10hipError_tPvRmT1_T2_T3_mT4_P12ihipStream_tbEUlT_E0_NS1_11comp_targetILNS1_3genE0ELNS1_11target_archE4294967295ELNS1_3gpuE0ELNS1_3repE0EEENS1_30default_config_static_selectorELNS0_4arch9wavefront6targetE1EEEvSM_,comdat
	.protected	_ZN7rocprim17ROCPRIM_400000_NS6detail17trampoline_kernelINS0_14default_configENS1_22reduce_config_selectorIlEEZNS1_11reduce_implILb1ES3_PlS7_lN6hipcub16HIPCUB_304000_NS6detail34convert_binary_result_type_wrapperINS9_3SumENS9_22TransformInputIteratorIb7NonZeroIiEPilEElEEEE10hipError_tPvRmT1_T2_T3_mT4_P12ihipStream_tbEUlT_E0_NS1_11comp_targetILNS1_3genE0ELNS1_11target_archE4294967295ELNS1_3gpuE0ELNS1_3repE0EEENS1_30default_config_static_selectorELNS0_4arch9wavefront6targetE1EEEvSM_ ; -- Begin function _ZN7rocprim17ROCPRIM_400000_NS6detail17trampoline_kernelINS0_14default_configENS1_22reduce_config_selectorIlEEZNS1_11reduce_implILb1ES3_PlS7_lN6hipcub16HIPCUB_304000_NS6detail34convert_binary_result_type_wrapperINS9_3SumENS9_22TransformInputIteratorIb7NonZeroIiEPilEElEEEE10hipError_tPvRmT1_T2_T3_mT4_P12ihipStream_tbEUlT_E0_NS1_11comp_targetILNS1_3genE0ELNS1_11target_archE4294967295ELNS1_3gpuE0ELNS1_3repE0EEENS1_30default_config_static_selectorELNS0_4arch9wavefront6targetE1EEEvSM_
	.globl	_ZN7rocprim17ROCPRIM_400000_NS6detail17trampoline_kernelINS0_14default_configENS1_22reduce_config_selectorIlEEZNS1_11reduce_implILb1ES3_PlS7_lN6hipcub16HIPCUB_304000_NS6detail34convert_binary_result_type_wrapperINS9_3SumENS9_22TransformInputIteratorIb7NonZeroIiEPilEElEEEE10hipError_tPvRmT1_T2_T3_mT4_P12ihipStream_tbEUlT_E0_NS1_11comp_targetILNS1_3genE0ELNS1_11target_archE4294967295ELNS1_3gpuE0ELNS1_3repE0EEENS1_30default_config_static_selectorELNS0_4arch9wavefront6targetE1EEEvSM_
	.p2align	8
	.type	_ZN7rocprim17ROCPRIM_400000_NS6detail17trampoline_kernelINS0_14default_configENS1_22reduce_config_selectorIlEEZNS1_11reduce_implILb1ES3_PlS7_lN6hipcub16HIPCUB_304000_NS6detail34convert_binary_result_type_wrapperINS9_3SumENS9_22TransformInputIteratorIb7NonZeroIiEPilEElEEEE10hipError_tPvRmT1_T2_T3_mT4_P12ihipStream_tbEUlT_E0_NS1_11comp_targetILNS1_3genE0ELNS1_11target_archE4294967295ELNS1_3gpuE0ELNS1_3repE0EEENS1_30default_config_static_selectorELNS0_4arch9wavefront6targetE1EEEvSM_,@function
_ZN7rocprim17ROCPRIM_400000_NS6detail17trampoline_kernelINS0_14default_configENS1_22reduce_config_selectorIlEEZNS1_11reduce_implILb1ES3_PlS7_lN6hipcub16HIPCUB_304000_NS6detail34convert_binary_result_type_wrapperINS9_3SumENS9_22TransformInputIteratorIb7NonZeroIiEPilEElEEEE10hipError_tPvRmT1_T2_T3_mT4_P12ihipStream_tbEUlT_E0_NS1_11comp_targetILNS1_3genE0ELNS1_11target_archE4294967295ELNS1_3gpuE0ELNS1_3repE0EEENS1_30default_config_static_selectorELNS0_4arch9wavefront6targetE1EEEvSM_: ; @_ZN7rocprim17ROCPRIM_400000_NS6detail17trampoline_kernelINS0_14default_configENS1_22reduce_config_selectorIlEEZNS1_11reduce_implILb1ES3_PlS7_lN6hipcub16HIPCUB_304000_NS6detail34convert_binary_result_type_wrapperINS9_3SumENS9_22TransformInputIteratorIb7NonZeroIiEPilEElEEEE10hipError_tPvRmT1_T2_T3_mT4_P12ihipStream_tbEUlT_E0_NS1_11comp_targetILNS1_3genE0ELNS1_11target_archE4294967295ELNS1_3gpuE0ELNS1_3repE0EEENS1_30default_config_static_selectorELNS0_4arch9wavefront6targetE1EEEvSM_
; %bb.0:
	.section	.rodata,"a",@progbits
	.p2align	6, 0x0
	.amdhsa_kernel _ZN7rocprim17ROCPRIM_400000_NS6detail17trampoline_kernelINS0_14default_configENS1_22reduce_config_selectorIlEEZNS1_11reduce_implILb1ES3_PlS7_lN6hipcub16HIPCUB_304000_NS6detail34convert_binary_result_type_wrapperINS9_3SumENS9_22TransformInputIteratorIb7NonZeroIiEPilEElEEEE10hipError_tPvRmT1_T2_T3_mT4_P12ihipStream_tbEUlT_E0_NS1_11comp_targetILNS1_3genE0ELNS1_11target_archE4294967295ELNS1_3gpuE0ELNS1_3repE0EEENS1_30default_config_static_selectorELNS0_4arch9wavefront6targetE1EEEvSM_
		.amdhsa_group_segment_fixed_size 0
		.amdhsa_private_segment_fixed_size 0
		.amdhsa_kernarg_size 64
		.amdhsa_user_sgpr_count 6
		.amdhsa_user_sgpr_private_segment_buffer 1
		.amdhsa_user_sgpr_dispatch_ptr 0
		.amdhsa_user_sgpr_queue_ptr 0
		.amdhsa_user_sgpr_kernarg_segment_ptr 1
		.amdhsa_user_sgpr_dispatch_id 0
		.amdhsa_user_sgpr_flat_scratch_init 0
		.amdhsa_user_sgpr_private_segment_size 0
		.amdhsa_uses_dynamic_stack 0
		.amdhsa_system_sgpr_private_segment_wavefront_offset 0
		.amdhsa_system_sgpr_workgroup_id_x 1
		.amdhsa_system_sgpr_workgroup_id_y 0
		.amdhsa_system_sgpr_workgroup_id_z 0
		.amdhsa_system_sgpr_workgroup_info 0
		.amdhsa_system_vgpr_workitem_id 0
		.amdhsa_next_free_vgpr 1
		.amdhsa_next_free_sgpr 0
		.amdhsa_reserve_vcc 0
		.amdhsa_reserve_flat_scratch 0
		.amdhsa_float_round_mode_32 0
		.amdhsa_float_round_mode_16_64 0
		.amdhsa_float_denorm_mode_32 3
		.amdhsa_float_denorm_mode_16_64 3
		.amdhsa_dx10_clamp 1
		.amdhsa_ieee_mode 1
		.amdhsa_fp16_overflow 0
		.amdhsa_exception_fp_ieee_invalid_op 0
		.amdhsa_exception_fp_denorm_src 0
		.amdhsa_exception_fp_ieee_div_zero 0
		.amdhsa_exception_fp_ieee_overflow 0
		.amdhsa_exception_fp_ieee_underflow 0
		.amdhsa_exception_fp_ieee_inexact 0
		.amdhsa_exception_int_div_zero 0
	.end_amdhsa_kernel
	.section	.text._ZN7rocprim17ROCPRIM_400000_NS6detail17trampoline_kernelINS0_14default_configENS1_22reduce_config_selectorIlEEZNS1_11reduce_implILb1ES3_PlS7_lN6hipcub16HIPCUB_304000_NS6detail34convert_binary_result_type_wrapperINS9_3SumENS9_22TransformInputIteratorIb7NonZeroIiEPilEElEEEE10hipError_tPvRmT1_T2_T3_mT4_P12ihipStream_tbEUlT_E0_NS1_11comp_targetILNS1_3genE0ELNS1_11target_archE4294967295ELNS1_3gpuE0ELNS1_3repE0EEENS1_30default_config_static_selectorELNS0_4arch9wavefront6targetE1EEEvSM_,"axG",@progbits,_ZN7rocprim17ROCPRIM_400000_NS6detail17trampoline_kernelINS0_14default_configENS1_22reduce_config_selectorIlEEZNS1_11reduce_implILb1ES3_PlS7_lN6hipcub16HIPCUB_304000_NS6detail34convert_binary_result_type_wrapperINS9_3SumENS9_22TransformInputIteratorIb7NonZeroIiEPilEElEEEE10hipError_tPvRmT1_T2_T3_mT4_P12ihipStream_tbEUlT_E0_NS1_11comp_targetILNS1_3genE0ELNS1_11target_archE4294967295ELNS1_3gpuE0ELNS1_3repE0EEENS1_30default_config_static_selectorELNS0_4arch9wavefront6targetE1EEEvSM_,comdat
.Lfunc_end149:
	.size	_ZN7rocprim17ROCPRIM_400000_NS6detail17trampoline_kernelINS0_14default_configENS1_22reduce_config_selectorIlEEZNS1_11reduce_implILb1ES3_PlS7_lN6hipcub16HIPCUB_304000_NS6detail34convert_binary_result_type_wrapperINS9_3SumENS9_22TransformInputIteratorIb7NonZeroIiEPilEElEEEE10hipError_tPvRmT1_T2_T3_mT4_P12ihipStream_tbEUlT_E0_NS1_11comp_targetILNS1_3genE0ELNS1_11target_archE4294967295ELNS1_3gpuE0ELNS1_3repE0EEENS1_30default_config_static_selectorELNS0_4arch9wavefront6targetE1EEEvSM_, .Lfunc_end149-_ZN7rocprim17ROCPRIM_400000_NS6detail17trampoline_kernelINS0_14default_configENS1_22reduce_config_selectorIlEEZNS1_11reduce_implILb1ES3_PlS7_lN6hipcub16HIPCUB_304000_NS6detail34convert_binary_result_type_wrapperINS9_3SumENS9_22TransformInputIteratorIb7NonZeroIiEPilEElEEEE10hipError_tPvRmT1_T2_T3_mT4_P12ihipStream_tbEUlT_E0_NS1_11comp_targetILNS1_3genE0ELNS1_11target_archE4294967295ELNS1_3gpuE0ELNS1_3repE0EEENS1_30default_config_static_selectorELNS0_4arch9wavefront6targetE1EEEvSM_
                                        ; -- End function
	.set _ZN7rocprim17ROCPRIM_400000_NS6detail17trampoline_kernelINS0_14default_configENS1_22reduce_config_selectorIlEEZNS1_11reduce_implILb1ES3_PlS7_lN6hipcub16HIPCUB_304000_NS6detail34convert_binary_result_type_wrapperINS9_3SumENS9_22TransformInputIteratorIb7NonZeroIiEPilEElEEEE10hipError_tPvRmT1_T2_T3_mT4_P12ihipStream_tbEUlT_E0_NS1_11comp_targetILNS1_3genE0ELNS1_11target_archE4294967295ELNS1_3gpuE0ELNS1_3repE0EEENS1_30default_config_static_selectorELNS0_4arch9wavefront6targetE1EEEvSM_.num_vgpr, 0
	.set _ZN7rocprim17ROCPRIM_400000_NS6detail17trampoline_kernelINS0_14default_configENS1_22reduce_config_selectorIlEEZNS1_11reduce_implILb1ES3_PlS7_lN6hipcub16HIPCUB_304000_NS6detail34convert_binary_result_type_wrapperINS9_3SumENS9_22TransformInputIteratorIb7NonZeroIiEPilEElEEEE10hipError_tPvRmT1_T2_T3_mT4_P12ihipStream_tbEUlT_E0_NS1_11comp_targetILNS1_3genE0ELNS1_11target_archE4294967295ELNS1_3gpuE0ELNS1_3repE0EEENS1_30default_config_static_selectorELNS0_4arch9wavefront6targetE1EEEvSM_.num_agpr, 0
	.set _ZN7rocprim17ROCPRIM_400000_NS6detail17trampoline_kernelINS0_14default_configENS1_22reduce_config_selectorIlEEZNS1_11reduce_implILb1ES3_PlS7_lN6hipcub16HIPCUB_304000_NS6detail34convert_binary_result_type_wrapperINS9_3SumENS9_22TransformInputIteratorIb7NonZeroIiEPilEElEEEE10hipError_tPvRmT1_T2_T3_mT4_P12ihipStream_tbEUlT_E0_NS1_11comp_targetILNS1_3genE0ELNS1_11target_archE4294967295ELNS1_3gpuE0ELNS1_3repE0EEENS1_30default_config_static_selectorELNS0_4arch9wavefront6targetE1EEEvSM_.numbered_sgpr, 0
	.set _ZN7rocprim17ROCPRIM_400000_NS6detail17trampoline_kernelINS0_14default_configENS1_22reduce_config_selectorIlEEZNS1_11reduce_implILb1ES3_PlS7_lN6hipcub16HIPCUB_304000_NS6detail34convert_binary_result_type_wrapperINS9_3SumENS9_22TransformInputIteratorIb7NonZeroIiEPilEElEEEE10hipError_tPvRmT1_T2_T3_mT4_P12ihipStream_tbEUlT_E0_NS1_11comp_targetILNS1_3genE0ELNS1_11target_archE4294967295ELNS1_3gpuE0ELNS1_3repE0EEENS1_30default_config_static_selectorELNS0_4arch9wavefront6targetE1EEEvSM_.num_named_barrier, 0
	.set _ZN7rocprim17ROCPRIM_400000_NS6detail17trampoline_kernelINS0_14default_configENS1_22reduce_config_selectorIlEEZNS1_11reduce_implILb1ES3_PlS7_lN6hipcub16HIPCUB_304000_NS6detail34convert_binary_result_type_wrapperINS9_3SumENS9_22TransformInputIteratorIb7NonZeroIiEPilEElEEEE10hipError_tPvRmT1_T2_T3_mT4_P12ihipStream_tbEUlT_E0_NS1_11comp_targetILNS1_3genE0ELNS1_11target_archE4294967295ELNS1_3gpuE0ELNS1_3repE0EEENS1_30default_config_static_selectorELNS0_4arch9wavefront6targetE1EEEvSM_.private_seg_size, 0
	.set _ZN7rocprim17ROCPRIM_400000_NS6detail17trampoline_kernelINS0_14default_configENS1_22reduce_config_selectorIlEEZNS1_11reduce_implILb1ES3_PlS7_lN6hipcub16HIPCUB_304000_NS6detail34convert_binary_result_type_wrapperINS9_3SumENS9_22TransformInputIteratorIb7NonZeroIiEPilEElEEEE10hipError_tPvRmT1_T2_T3_mT4_P12ihipStream_tbEUlT_E0_NS1_11comp_targetILNS1_3genE0ELNS1_11target_archE4294967295ELNS1_3gpuE0ELNS1_3repE0EEENS1_30default_config_static_selectorELNS0_4arch9wavefront6targetE1EEEvSM_.uses_vcc, 0
	.set _ZN7rocprim17ROCPRIM_400000_NS6detail17trampoline_kernelINS0_14default_configENS1_22reduce_config_selectorIlEEZNS1_11reduce_implILb1ES3_PlS7_lN6hipcub16HIPCUB_304000_NS6detail34convert_binary_result_type_wrapperINS9_3SumENS9_22TransformInputIteratorIb7NonZeroIiEPilEElEEEE10hipError_tPvRmT1_T2_T3_mT4_P12ihipStream_tbEUlT_E0_NS1_11comp_targetILNS1_3genE0ELNS1_11target_archE4294967295ELNS1_3gpuE0ELNS1_3repE0EEENS1_30default_config_static_selectorELNS0_4arch9wavefront6targetE1EEEvSM_.uses_flat_scratch, 0
	.set _ZN7rocprim17ROCPRIM_400000_NS6detail17trampoline_kernelINS0_14default_configENS1_22reduce_config_selectorIlEEZNS1_11reduce_implILb1ES3_PlS7_lN6hipcub16HIPCUB_304000_NS6detail34convert_binary_result_type_wrapperINS9_3SumENS9_22TransformInputIteratorIb7NonZeroIiEPilEElEEEE10hipError_tPvRmT1_T2_T3_mT4_P12ihipStream_tbEUlT_E0_NS1_11comp_targetILNS1_3genE0ELNS1_11target_archE4294967295ELNS1_3gpuE0ELNS1_3repE0EEENS1_30default_config_static_selectorELNS0_4arch9wavefront6targetE1EEEvSM_.has_dyn_sized_stack, 0
	.set _ZN7rocprim17ROCPRIM_400000_NS6detail17trampoline_kernelINS0_14default_configENS1_22reduce_config_selectorIlEEZNS1_11reduce_implILb1ES3_PlS7_lN6hipcub16HIPCUB_304000_NS6detail34convert_binary_result_type_wrapperINS9_3SumENS9_22TransformInputIteratorIb7NonZeroIiEPilEElEEEE10hipError_tPvRmT1_T2_T3_mT4_P12ihipStream_tbEUlT_E0_NS1_11comp_targetILNS1_3genE0ELNS1_11target_archE4294967295ELNS1_3gpuE0ELNS1_3repE0EEENS1_30default_config_static_selectorELNS0_4arch9wavefront6targetE1EEEvSM_.has_recursion, 0
	.set _ZN7rocprim17ROCPRIM_400000_NS6detail17trampoline_kernelINS0_14default_configENS1_22reduce_config_selectorIlEEZNS1_11reduce_implILb1ES3_PlS7_lN6hipcub16HIPCUB_304000_NS6detail34convert_binary_result_type_wrapperINS9_3SumENS9_22TransformInputIteratorIb7NonZeroIiEPilEElEEEE10hipError_tPvRmT1_T2_T3_mT4_P12ihipStream_tbEUlT_E0_NS1_11comp_targetILNS1_3genE0ELNS1_11target_archE4294967295ELNS1_3gpuE0ELNS1_3repE0EEENS1_30default_config_static_selectorELNS0_4arch9wavefront6targetE1EEEvSM_.has_indirect_call, 0
	.section	.AMDGPU.csdata,"",@progbits
; Kernel info:
; codeLenInByte = 0
; TotalNumSgprs: 4
; NumVgprs: 0
; ScratchSize: 0
; MemoryBound: 0
; FloatMode: 240
; IeeeMode: 1
; LDSByteSize: 0 bytes/workgroup (compile time only)
; SGPRBlocks: 0
; VGPRBlocks: 0
; NumSGPRsForWavesPerEU: 4
; NumVGPRsForWavesPerEU: 1
; Occupancy: 10
; WaveLimiterHint : 0
; COMPUTE_PGM_RSRC2:SCRATCH_EN: 0
; COMPUTE_PGM_RSRC2:USER_SGPR: 6
; COMPUTE_PGM_RSRC2:TRAP_HANDLER: 0
; COMPUTE_PGM_RSRC2:TGID_X_EN: 1
; COMPUTE_PGM_RSRC2:TGID_Y_EN: 0
; COMPUTE_PGM_RSRC2:TGID_Z_EN: 0
; COMPUTE_PGM_RSRC2:TIDIG_COMP_CNT: 0
	.section	.text._ZN7rocprim17ROCPRIM_400000_NS6detail17trampoline_kernelINS0_14default_configENS1_22reduce_config_selectorIlEEZNS1_11reduce_implILb1ES3_PlS7_lN6hipcub16HIPCUB_304000_NS6detail34convert_binary_result_type_wrapperINS9_3SumENS9_22TransformInputIteratorIb7NonZeroIiEPilEElEEEE10hipError_tPvRmT1_T2_T3_mT4_P12ihipStream_tbEUlT_E0_NS1_11comp_targetILNS1_3genE5ELNS1_11target_archE942ELNS1_3gpuE9ELNS1_3repE0EEENS1_30default_config_static_selectorELNS0_4arch9wavefront6targetE1EEEvSM_,"axG",@progbits,_ZN7rocprim17ROCPRIM_400000_NS6detail17trampoline_kernelINS0_14default_configENS1_22reduce_config_selectorIlEEZNS1_11reduce_implILb1ES3_PlS7_lN6hipcub16HIPCUB_304000_NS6detail34convert_binary_result_type_wrapperINS9_3SumENS9_22TransformInputIteratorIb7NonZeroIiEPilEElEEEE10hipError_tPvRmT1_T2_T3_mT4_P12ihipStream_tbEUlT_E0_NS1_11comp_targetILNS1_3genE5ELNS1_11target_archE942ELNS1_3gpuE9ELNS1_3repE0EEENS1_30default_config_static_selectorELNS0_4arch9wavefront6targetE1EEEvSM_,comdat
	.protected	_ZN7rocprim17ROCPRIM_400000_NS6detail17trampoline_kernelINS0_14default_configENS1_22reduce_config_selectorIlEEZNS1_11reduce_implILb1ES3_PlS7_lN6hipcub16HIPCUB_304000_NS6detail34convert_binary_result_type_wrapperINS9_3SumENS9_22TransformInputIteratorIb7NonZeroIiEPilEElEEEE10hipError_tPvRmT1_T2_T3_mT4_P12ihipStream_tbEUlT_E0_NS1_11comp_targetILNS1_3genE5ELNS1_11target_archE942ELNS1_3gpuE9ELNS1_3repE0EEENS1_30default_config_static_selectorELNS0_4arch9wavefront6targetE1EEEvSM_ ; -- Begin function _ZN7rocprim17ROCPRIM_400000_NS6detail17trampoline_kernelINS0_14default_configENS1_22reduce_config_selectorIlEEZNS1_11reduce_implILb1ES3_PlS7_lN6hipcub16HIPCUB_304000_NS6detail34convert_binary_result_type_wrapperINS9_3SumENS9_22TransformInputIteratorIb7NonZeroIiEPilEElEEEE10hipError_tPvRmT1_T2_T3_mT4_P12ihipStream_tbEUlT_E0_NS1_11comp_targetILNS1_3genE5ELNS1_11target_archE942ELNS1_3gpuE9ELNS1_3repE0EEENS1_30default_config_static_selectorELNS0_4arch9wavefront6targetE1EEEvSM_
	.globl	_ZN7rocprim17ROCPRIM_400000_NS6detail17trampoline_kernelINS0_14default_configENS1_22reduce_config_selectorIlEEZNS1_11reduce_implILb1ES3_PlS7_lN6hipcub16HIPCUB_304000_NS6detail34convert_binary_result_type_wrapperINS9_3SumENS9_22TransformInputIteratorIb7NonZeroIiEPilEElEEEE10hipError_tPvRmT1_T2_T3_mT4_P12ihipStream_tbEUlT_E0_NS1_11comp_targetILNS1_3genE5ELNS1_11target_archE942ELNS1_3gpuE9ELNS1_3repE0EEENS1_30default_config_static_selectorELNS0_4arch9wavefront6targetE1EEEvSM_
	.p2align	8
	.type	_ZN7rocprim17ROCPRIM_400000_NS6detail17trampoline_kernelINS0_14default_configENS1_22reduce_config_selectorIlEEZNS1_11reduce_implILb1ES3_PlS7_lN6hipcub16HIPCUB_304000_NS6detail34convert_binary_result_type_wrapperINS9_3SumENS9_22TransformInputIteratorIb7NonZeroIiEPilEElEEEE10hipError_tPvRmT1_T2_T3_mT4_P12ihipStream_tbEUlT_E0_NS1_11comp_targetILNS1_3genE5ELNS1_11target_archE942ELNS1_3gpuE9ELNS1_3repE0EEENS1_30default_config_static_selectorELNS0_4arch9wavefront6targetE1EEEvSM_,@function
_ZN7rocprim17ROCPRIM_400000_NS6detail17trampoline_kernelINS0_14default_configENS1_22reduce_config_selectorIlEEZNS1_11reduce_implILb1ES3_PlS7_lN6hipcub16HIPCUB_304000_NS6detail34convert_binary_result_type_wrapperINS9_3SumENS9_22TransformInputIteratorIb7NonZeroIiEPilEElEEEE10hipError_tPvRmT1_T2_T3_mT4_P12ihipStream_tbEUlT_E0_NS1_11comp_targetILNS1_3genE5ELNS1_11target_archE942ELNS1_3gpuE9ELNS1_3repE0EEENS1_30default_config_static_selectorELNS0_4arch9wavefront6targetE1EEEvSM_: ; @_ZN7rocprim17ROCPRIM_400000_NS6detail17trampoline_kernelINS0_14default_configENS1_22reduce_config_selectorIlEEZNS1_11reduce_implILb1ES3_PlS7_lN6hipcub16HIPCUB_304000_NS6detail34convert_binary_result_type_wrapperINS9_3SumENS9_22TransformInputIteratorIb7NonZeroIiEPilEElEEEE10hipError_tPvRmT1_T2_T3_mT4_P12ihipStream_tbEUlT_E0_NS1_11comp_targetILNS1_3genE5ELNS1_11target_archE942ELNS1_3gpuE9ELNS1_3repE0EEENS1_30default_config_static_selectorELNS0_4arch9wavefront6targetE1EEEvSM_
; %bb.0:
	.section	.rodata,"a",@progbits
	.p2align	6, 0x0
	.amdhsa_kernel _ZN7rocprim17ROCPRIM_400000_NS6detail17trampoline_kernelINS0_14default_configENS1_22reduce_config_selectorIlEEZNS1_11reduce_implILb1ES3_PlS7_lN6hipcub16HIPCUB_304000_NS6detail34convert_binary_result_type_wrapperINS9_3SumENS9_22TransformInputIteratorIb7NonZeroIiEPilEElEEEE10hipError_tPvRmT1_T2_T3_mT4_P12ihipStream_tbEUlT_E0_NS1_11comp_targetILNS1_3genE5ELNS1_11target_archE942ELNS1_3gpuE9ELNS1_3repE0EEENS1_30default_config_static_selectorELNS0_4arch9wavefront6targetE1EEEvSM_
		.amdhsa_group_segment_fixed_size 0
		.amdhsa_private_segment_fixed_size 0
		.amdhsa_kernarg_size 64
		.amdhsa_user_sgpr_count 6
		.amdhsa_user_sgpr_private_segment_buffer 1
		.amdhsa_user_sgpr_dispatch_ptr 0
		.amdhsa_user_sgpr_queue_ptr 0
		.amdhsa_user_sgpr_kernarg_segment_ptr 1
		.amdhsa_user_sgpr_dispatch_id 0
		.amdhsa_user_sgpr_flat_scratch_init 0
		.amdhsa_user_sgpr_private_segment_size 0
		.amdhsa_uses_dynamic_stack 0
		.amdhsa_system_sgpr_private_segment_wavefront_offset 0
		.amdhsa_system_sgpr_workgroup_id_x 1
		.amdhsa_system_sgpr_workgroup_id_y 0
		.amdhsa_system_sgpr_workgroup_id_z 0
		.amdhsa_system_sgpr_workgroup_info 0
		.amdhsa_system_vgpr_workitem_id 0
		.amdhsa_next_free_vgpr 1
		.amdhsa_next_free_sgpr 0
		.amdhsa_reserve_vcc 0
		.amdhsa_reserve_flat_scratch 0
		.amdhsa_float_round_mode_32 0
		.amdhsa_float_round_mode_16_64 0
		.amdhsa_float_denorm_mode_32 3
		.amdhsa_float_denorm_mode_16_64 3
		.amdhsa_dx10_clamp 1
		.amdhsa_ieee_mode 1
		.amdhsa_fp16_overflow 0
		.amdhsa_exception_fp_ieee_invalid_op 0
		.amdhsa_exception_fp_denorm_src 0
		.amdhsa_exception_fp_ieee_div_zero 0
		.amdhsa_exception_fp_ieee_overflow 0
		.amdhsa_exception_fp_ieee_underflow 0
		.amdhsa_exception_fp_ieee_inexact 0
		.amdhsa_exception_int_div_zero 0
	.end_amdhsa_kernel
	.section	.text._ZN7rocprim17ROCPRIM_400000_NS6detail17trampoline_kernelINS0_14default_configENS1_22reduce_config_selectorIlEEZNS1_11reduce_implILb1ES3_PlS7_lN6hipcub16HIPCUB_304000_NS6detail34convert_binary_result_type_wrapperINS9_3SumENS9_22TransformInputIteratorIb7NonZeroIiEPilEElEEEE10hipError_tPvRmT1_T2_T3_mT4_P12ihipStream_tbEUlT_E0_NS1_11comp_targetILNS1_3genE5ELNS1_11target_archE942ELNS1_3gpuE9ELNS1_3repE0EEENS1_30default_config_static_selectorELNS0_4arch9wavefront6targetE1EEEvSM_,"axG",@progbits,_ZN7rocprim17ROCPRIM_400000_NS6detail17trampoline_kernelINS0_14default_configENS1_22reduce_config_selectorIlEEZNS1_11reduce_implILb1ES3_PlS7_lN6hipcub16HIPCUB_304000_NS6detail34convert_binary_result_type_wrapperINS9_3SumENS9_22TransformInputIteratorIb7NonZeroIiEPilEElEEEE10hipError_tPvRmT1_T2_T3_mT4_P12ihipStream_tbEUlT_E0_NS1_11comp_targetILNS1_3genE5ELNS1_11target_archE942ELNS1_3gpuE9ELNS1_3repE0EEENS1_30default_config_static_selectorELNS0_4arch9wavefront6targetE1EEEvSM_,comdat
.Lfunc_end150:
	.size	_ZN7rocprim17ROCPRIM_400000_NS6detail17trampoline_kernelINS0_14default_configENS1_22reduce_config_selectorIlEEZNS1_11reduce_implILb1ES3_PlS7_lN6hipcub16HIPCUB_304000_NS6detail34convert_binary_result_type_wrapperINS9_3SumENS9_22TransformInputIteratorIb7NonZeroIiEPilEElEEEE10hipError_tPvRmT1_T2_T3_mT4_P12ihipStream_tbEUlT_E0_NS1_11comp_targetILNS1_3genE5ELNS1_11target_archE942ELNS1_3gpuE9ELNS1_3repE0EEENS1_30default_config_static_selectorELNS0_4arch9wavefront6targetE1EEEvSM_, .Lfunc_end150-_ZN7rocprim17ROCPRIM_400000_NS6detail17trampoline_kernelINS0_14default_configENS1_22reduce_config_selectorIlEEZNS1_11reduce_implILb1ES3_PlS7_lN6hipcub16HIPCUB_304000_NS6detail34convert_binary_result_type_wrapperINS9_3SumENS9_22TransformInputIteratorIb7NonZeroIiEPilEElEEEE10hipError_tPvRmT1_T2_T3_mT4_P12ihipStream_tbEUlT_E0_NS1_11comp_targetILNS1_3genE5ELNS1_11target_archE942ELNS1_3gpuE9ELNS1_3repE0EEENS1_30default_config_static_selectorELNS0_4arch9wavefront6targetE1EEEvSM_
                                        ; -- End function
	.set _ZN7rocprim17ROCPRIM_400000_NS6detail17trampoline_kernelINS0_14default_configENS1_22reduce_config_selectorIlEEZNS1_11reduce_implILb1ES3_PlS7_lN6hipcub16HIPCUB_304000_NS6detail34convert_binary_result_type_wrapperINS9_3SumENS9_22TransformInputIteratorIb7NonZeroIiEPilEElEEEE10hipError_tPvRmT1_T2_T3_mT4_P12ihipStream_tbEUlT_E0_NS1_11comp_targetILNS1_3genE5ELNS1_11target_archE942ELNS1_3gpuE9ELNS1_3repE0EEENS1_30default_config_static_selectorELNS0_4arch9wavefront6targetE1EEEvSM_.num_vgpr, 0
	.set _ZN7rocprim17ROCPRIM_400000_NS6detail17trampoline_kernelINS0_14default_configENS1_22reduce_config_selectorIlEEZNS1_11reduce_implILb1ES3_PlS7_lN6hipcub16HIPCUB_304000_NS6detail34convert_binary_result_type_wrapperINS9_3SumENS9_22TransformInputIteratorIb7NonZeroIiEPilEElEEEE10hipError_tPvRmT1_T2_T3_mT4_P12ihipStream_tbEUlT_E0_NS1_11comp_targetILNS1_3genE5ELNS1_11target_archE942ELNS1_3gpuE9ELNS1_3repE0EEENS1_30default_config_static_selectorELNS0_4arch9wavefront6targetE1EEEvSM_.num_agpr, 0
	.set _ZN7rocprim17ROCPRIM_400000_NS6detail17trampoline_kernelINS0_14default_configENS1_22reduce_config_selectorIlEEZNS1_11reduce_implILb1ES3_PlS7_lN6hipcub16HIPCUB_304000_NS6detail34convert_binary_result_type_wrapperINS9_3SumENS9_22TransformInputIteratorIb7NonZeroIiEPilEElEEEE10hipError_tPvRmT1_T2_T3_mT4_P12ihipStream_tbEUlT_E0_NS1_11comp_targetILNS1_3genE5ELNS1_11target_archE942ELNS1_3gpuE9ELNS1_3repE0EEENS1_30default_config_static_selectorELNS0_4arch9wavefront6targetE1EEEvSM_.numbered_sgpr, 0
	.set _ZN7rocprim17ROCPRIM_400000_NS6detail17trampoline_kernelINS0_14default_configENS1_22reduce_config_selectorIlEEZNS1_11reduce_implILb1ES3_PlS7_lN6hipcub16HIPCUB_304000_NS6detail34convert_binary_result_type_wrapperINS9_3SumENS9_22TransformInputIteratorIb7NonZeroIiEPilEElEEEE10hipError_tPvRmT1_T2_T3_mT4_P12ihipStream_tbEUlT_E0_NS1_11comp_targetILNS1_3genE5ELNS1_11target_archE942ELNS1_3gpuE9ELNS1_3repE0EEENS1_30default_config_static_selectorELNS0_4arch9wavefront6targetE1EEEvSM_.num_named_barrier, 0
	.set _ZN7rocprim17ROCPRIM_400000_NS6detail17trampoline_kernelINS0_14default_configENS1_22reduce_config_selectorIlEEZNS1_11reduce_implILb1ES3_PlS7_lN6hipcub16HIPCUB_304000_NS6detail34convert_binary_result_type_wrapperINS9_3SumENS9_22TransformInputIteratorIb7NonZeroIiEPilEElEEEE10hipError_tPvRmT1_T2_T3_mT4_P12ihipStream_tbEUlT_E0_NS1_11comp_targetILNS1_3genE5ELNS1_11target_archE942ELNS1_3gpuE9ELNS1_3repE0EEENS1_30default_config_static_selectorELNS0_4arch9wavefront6targetE1EEEvSM_.private_seg_size, 0
	.set _ZN7rocprim17ROCPRIM_400000_NS6detail17trampoline_kernelINS0_14default_configENS1_22reduce_config_selectorIlEEZNS1_11reduce_implILb1ES3_PlS7_lN6hipcub16HIPCUB_304000_NS6detail34convert_binary_result_type_wrapperINS9_3SumENS9_22TransformInputIteratorIb7NonZeroIiEPilEElEEEE10hipError_tPvRmT1_T2_T3_mT4_P12ihipStream_tbEUlT_E0_NS1_11comp_targetILNS1_3genE5ELNS1_11target_archE942ELNS1_3gpuE9ELNS1_3repE0EEENS1_30default_config_static_selectorELNS0_4arch9wavefront6targetE1EEEvSM_.uses_vcc, 0
	.set _ZN7rocprim17ROCPRIM_400000_NS6detail17trampoline_kernelINS0_14default_configENS1_22reduce_config_selectorIlEEZNS1_11reduce_implILb1ES3_PlS7_lN6hipcub16HIPCUB_304000_NS6detail34convert_binary_result_type_wrapperINS9_3SumENS9_22TransformInputIteratorIb7NonZeroIiEPilEElEEEE10hipError_tPvRmT1_T2_T3_mT4_P12ihipStream_tbEUlT_E0_NS1_11comp_targetILNS1_3genE5ELNS1_11target_archE942ELNS1_3gpuE9ELNS1_3repE0EEENS1_30default_config_static_selectorELNS0_4arch9wavefront6targetE1EEEvSM_.uses_flat_scratch, 0
	.set _ZN7rocprim17ROCPRIM_400000_NS6detail17trampoline_kernelINS0_14default_configENS1_22reduce_config_selectorIlEEZNS1_11reduce_implILb1ES3_PlS7_lN6hipcub16HIPCUB_304000_NS6detail34convert_binary_result_type_wrapperINS9_3SumENS9_22TransformInputIteratorIb7NonZeroIiEPilEElEEEE10hipError_tPvRmT1_T2_T3_mT4_P12ihipStream_tbEUlT_E0_NS1_11comp_targetILNS1_3genE5ELNS1_11target_archE942ELNS1_3gpuE9ELNS1_3repE0EEENS1_30default_config_static_selectorELNS0_4arch9wavefront6targetE1EEEvSM_.has_dyn_sized_stack, 0
	.set _ZN7rocprim17ROCPRIM_400000_NS6detail17trampoline_kernelINS0_14default_configENS1_22reduce_config_selectorIlEEZNS1_11reduce_implILb1ES3_PlS7_lN6hipcub16HIPCUB_304000_NS6detail34convert_binary_result_type_wrapperINS9_3SumENS9_22TransformInputIteratorIb7NonZeroIiEPilEElEEEE10hipError_tPvRmT1_T2_T3_mT4_P12ihipStream_tbEUlT_E0_NS1_11comp_targetILNS1_3genE5ELNS1_11target_archE942ELNS1_3gpuE9ELNS1_3repE0EEENS1_30default_config_static_selectorELNS0_4arch9wavefront6targetE1EEEvSM_.has_recursion, 0
	.set _ZN7rocprim17ROCPRIM_400000_NS6detail17trampoline_kernelINS0_14default_configENS1_22reduce_config_selectorIlEEZNS1_11reduce_implILb1ES3_PlS7_lN6hipcub16HIPCUB_304000_NS6detail34convert_binary_result_type_wrapperINS9_3SumENS9_22TransformInputIteratorIb7NonZeroIiEPilEElEEEE10hipError_tPvRmT1_T2_T3_mT4_P12ihipStream_tbEUlT_E0_NS1_11comp_targetILNS1_3genE5ELNS1_11target_archE942ELNS1_3gpuE9ELNS1_3repE0EEENS1_30default_config_static_selectorELNS0_4arch9wavefront6targetE1EEEvSM_.has_indirect_call, 0
	.section	.AMDGPU.csdata,"",@progbits
; Kernel info:
; codeLenInByte = 0
; TotalNumSgprs: 4
; NumVgprs: 0
; ScratchSize: 0
; MemoryBound: 0
; FloatMode: 240
; IeeeMode: 1
; LDSByteSize: 0 bytes/workgroup (compile time only)
; SGPRBlocks: 0
; VGPRBlocks: 0
; NumSGPRsForWavesPerEU: 4
; NumVGPRsForWavesPerEU: 1
; Occupancy: 10
; WaveLimiterHint : 0
; COMPUTE_PGM_RSRC2:SCRATCH_EN: 0
; COMPUTE_PGM_RSRC2:USER_SGPR: 6
; COMPUTE_PGM_RSRC2:TRAP_HANDLER: 0
; COMPUTE_PGM_RSRC2:TGID_X_EN: 1
; COMPUTE_PGM_RSRC2:TGID_Y_EN: 0
; COMPUTE_PGM_RSRC2:TGID_Z_EN: 0
; COMPUTE_PGM_RSRC2:TIDIG_COMP_CNT: 0
	.section	.text._ZN7rocprim17ROCPRIM_400000_NS6detail17trampoline_kernelINS0_14default_configENS1_22reduce_config_selectorIlEEZNS1_11reduce_implILb1ES3_PlS7_lN6hipcub16HIPCUB_304000_NS6detail34convert_binary_result_type_wrapperINS9_3SumENS9_22TransformInputIteratorIb7NonZeroIiEPilEElEEEE10hipError_tPvRmT1_T2_T3_mT4_P12ihipStream_tbEUlT_E0_NS1_11comp_targetILNS1_3genE4ELNS1_11target_archE910ELNS1_3gpuE8ELNS1_3repE0EEENS1_30default_config_static_selectorELNS0_4arch9wavefront6targetE1EEEvSM_,"axG",@progbits,_ZN7rocprim17ROCPRIM_400000_NS6detail17trampoline_kernelINS0_14default_configENS1_22reduce_config_selectorIlEEZNS1_11reduce_implILb1ES3_PlS7_lN6hipcub16HIPCUB_304000_NS6detail34convert_binary_result_type_wrapperINS9_3SumENS9_22TransformInputIteratorIb7NonZeroIiEPilEElEEEE10hipError_tPvRmT1_T2_T3_mT4_P12ihipStream_tbEUlT_E0_NS1_11comp_targetILNS1_3genE4ELNS1_11target_archE910ELNS1_3gpuE8ELNS1_3repE0EEENS1_30default_config_static_selectorELNS0_4arch9wavefront6targetE1EEEvSM_,comdat
	.protected	_ZN7rocprim17ROCPRIM_400000_NS6detail17trampoline_kernelINS0_14default_configENS1_22reduce_config_selectorIlEEZNS1_11reduce_implILb1ES3_PlS7_lN6hipcub16HIPCUB_304000_NS6detail34convert_binary_result_type_wrapperINS9_3SumENS9_22TransformInputIteratorIb7NonZeroIiEPilEElEEEE10hipError_tPvRmT1_T2_T3_mT4_P12ihipStream_tbEUlT_E0_NS1_11comp_targetILNS1_3genE4ELNS1_11target_archE910ELNS1_3gpuE8ELNS1_3repE0EEENS1_30default_config_static_selectorELNS0_4arch9wavefront6targetE1EEEvSM_ ; -- Begin function _ZN7rocprim17ROCPRIM_400000_NS6detail17trampoline_kernelINS0_14default_configENS1_22reduce_config_selectorIlEEZNS1_11reduce_implILb1ES3_PlS7_lN6hipcub16HIPCUB_304000_NS6detail34convert_binary_result_type_wrapperINS9_3SumENS9_22TransformInputIteratorIb7NonZeroIiEPilEElEEEE10hipError_tPvRmT1_T2_T3_mT4_P12ihipStream_tbEUlT_E0_NS1_11comp_targetILNS1_3genE4ELNS1_11target_archE910ELNS1_3gpuE8ELNS1_3repE0EEENS1_30default_config_static_selectorELNS0_4arch9wavefront6targetE1EEEvSM_
	.globl	_ZN7rocprim17ROCPRIM_400000_NS6detail17trampoline_kernelINS0_14default_configENS1_22reduce_config_selectorIlEEZNS1_11reduce_implILb1ES3_PlS7_lN6hipcub16HIPCUB_304000_NS6detail34convert_binary_result_type_wrapperINS9_3SumENS9_22TransformInputIteratorIb7NonZeroIiEPilEElEEEE10hipError_tPvRmT1_T2_T3_mT4_P12ihipStream_tbEUlT_E0_NS1_11comp_targetILNS1_3genE4ELNS1_11target_archE910ELNS1_3gpuE8ELNS1_3repE0EEENS1_30default_config_static_selectorELNS0_4arch9wavefront6targetE1EEEvSM_
	.p2align	8
	.type	_ZN7rocprim17ROCPRIM_400000_NS6detail17trampoline_kernelINS0_14default_configENS1_22reduce_config_selectorIlEEZNS1_11reduce_implILb1ES3_PlS7_lN6hipcub16HIPCUB_304000_NS6detail34convert_binary_result_type_wrapperINS9_3SumENS9_22TransformInputIteratorIb7NonZeroIiEPilEElEEEE10hipError_tPvRmT1_T2_T3_mT4_P12ihipStream_tbEUlT_E0_NS1_11comp_targetILNS1_3genE4ELNS1_11target_archE910ELNS1_3gpuE8ELNS1_3repE0EEENS1_30default_config_static_selectorELNS0_4arch9wavefront6targetE1EEEvSM_,@function
_ZN7rocprim17ROCPRIM_400000_NS6detail17trampoline_kernelINS0_14default_configENS1_22reduce_config_selectorIlEEZNS1_11reduce_implILb1ES3_PlS7_lN6hipcub16HIPCUB_304000_NS6detail34convert_binary_result_type_wrapperINS9_3SumENS9_22TransformInputIteratorIb7NonZeroIiEPilEElEEEE10hipError_tPvRmT1_T2_T3_mT4_P12ihipStream_tbEUlT_E0_NS1_11comp_targetILNS1_3genE4ELNS1_11target_archE910ELNS1_3gpuE8ELNS1_3repE0EEENS1_30default_config_static_selectorELNS0_4arch9wavefront6targetE1EEEvSM_: ; @_ZN7rocprim17ROCPRIM_400000_NS6detail17trampoline_kernelINS0_14default_configENS1_22reduce_config_selectorIlEEZNS1_11reduce_implILb1ES3_PlS7_lN6hipcub16HIPCUB_304000_NS6detail34convert_binary_result_type_wrapperINS9_3SumENS9_22TransformInputIteratorIb7NonZeroIiEPilEElEEEE10hipError_tPvRmT1_T2_T3_mT4_P12ihipStream_tbEUlT_E0_NS1_11comp_targetILNS1_3genE4ELNS1_11target_archE910ELNS1_3gpuE8ELNS1_3repE0EEENS1_30default_config_static_selectorELNS0_4arch9wavefront6targetE1EEEvSM_
; %bb.0:
	.section	.rodata,"a",@progbits
	.p2align	6, 0x0
	.amdhsa_kernel _ZN7rocprim17ROCPRIM_400000_NS6detail17trampoline_kernelINS0_14default_configENS1_22reduce_config_selectorIlEEZNS1_11reduce_implILb1ES3_PlS7_lN6hipcub16HIPCUB_304000_NS6detail34convert_binary_result_type_wrapperINS9_3SumENS9_22TransformInputIteratorIb7NonZeroIiEPilEElEEEE10hipError_tPvRmT1_T2_T3_mT4_P12ihipStream_tbEUlT_E0_NS1_11comp_targetILNS1_3genE4ELNS1_11target_archE910ELNS1_3gpuE8ELNS1_3repE0EEENS1_30default_config_static_selectorELNS0_4arch9wavefront6targetE1EEEvSM_
		.amdhsa_group_segment_fixed_size 0
		.amdhsa_private_segment_fixed_size 0
		.amdhsa_kernarg_size 64
		.amdhsa_user_sgpr_count 6
		.amdhsa_user_sgpr_private_segment_buffer 1
		.amdhsa_user_sgpr_dispatch_ptr 0
		.amdhsa_user_sgpr_queue_ptr 0
		.amdhsa_user_sgpr_kernarg_segment_ptr 1
		.amdhsa_user_sgpr_dispatch_id 0
		.amdhsa_user_sgpr_flat_scratch_init 0
		.amdhsa_user_sgpr_private_segment_size 0
		.amdhsa_uses_dynamic_stack 0
		.amdhsa_system_sgpr_private_segment_wavefront_offset 0
		.amdhsa_system_sgpr_workgroup_id_x 1
		.amdhsa_system_sgpr_workgroup_id_y 0
		.amdhsa_system_sgpr_workgroup_id_z 0
		.amdhsa_system_sgpr_workgroup_info 0
		.amdhsa_system_vgpr_workitem_id 0
		.amdhsa_next_free_vgpr 1
		.amdhsa_next_free_sgpr 0
		.amdhsa_reserve_vcc 0
		.amdhsa_reserve_flat_scratch 0
		.amdhsa_float_round_mode_32 0
		.amdhsa_float_round_mode_16_64 0
		.amdhsa_float_denorm_mode_32 3
		.amdhsa_float_denorm_mode_16_64 3
		.amdhsa_dx10_clamp 1
		.amdhsa_ieee_mode 1
		.amdhsa_fp16_overflow 0
		.amdhsa_exception_fp_ieee_invalid_op 0
		.amdhsa_exception_fp_denorm_src 0
		.amdhsa_exception_fp_ieee_div_zero 0
		.amdhsa_exception_fp_ieee_overflow 0
		.amdhsa_exception_fp_ieee_underflow 0
		.amdhsa_exception_fp_ieee_inexact 0
		.amdhsa_exception_int_div_zero 0
	.end_amdhsa_kernel
	.section	.text._ZN7rocprim17ROCPRIM_400000_NS6detail17trampoline_kernelINS0_14default_configENS1_22reduce_config_selectorIlEEZNS1_11reduce_implILb1ES3_PlS7_lN6hipcub16HIPCUB_304000_NS6detail34convert_binary_result_type_wrapperINS9_3SumENS9_22TransformInputIteratorIb7NonZeroIiEPilEElEEEE10hipError_tPvRmT1_T2_T3_mT4_P12ihipStream_tbEUlT_E0_NS1_11comp_targetILNS1_3genE4ELNS1_11target_archE910ELNS1_3gpuE8ELNS1_3repE0EEENS1_30default_config_static_selectorELNS0_4arch9wavefront6targetE1EEEvSM_,"axG",@progbits,_ZN7rocprim17ROCPRIM_400000_NS6detail17trampoline_kernelINS0_14default_configENS1_22reduce_config_selectorIlEEZNS1_11reduce_implILb1ES3_PlS7_lN6hipcub16HIPCUB_304000_NS6detail34convert_binary_result_type_wrapperINS9_3SumENS9_22TransformInputIteratorIb7NonZeroIiEPilEElEEEE10hipError_tPvRmT1_T2_T3_mT4_P12ihipStream_tbEUlT_E0_NS1_11comp_targetILNS1_3genE4ELNS1_11target_archE910ELNS1_3gpuE8ELNS1_3repE0EEENS1_30default_config_static_selectorELNS0_4arch9wavefront6targetE1EEEvSM_,comdat
.Lfunc_end151:
	.size	_ZN7rocprim17ROCPRIM_400000_NS6detail17trampoline_kernelINS0_14default_configENS1_22reduce_config_selectorIlEEZNS1_11reduce_implILb1ES3_PlS7_lN6hipcub16HIPCUB_304000_NS6detail34convert_binary_result_type_wrapperINS9_3SumENS9_22TransformInputIteratorIb7NonZeroIiEPilEElEEEE10hipError_tPvRmT1_T2_T3_mT4_P12ihipStream_tbEUlT_E0_NS1_11comp_targetILNS1_3genE4ELNS1_11target_archE910ELNS1_3gpuE8ELNS1_3repE0EEENS1_30default_config_static_selectorELNS0_4arch9wavefront6targetE1EEEvSM_, .Lfunc_end151-_ZN7rocprim17ROCPRIM_400000_NS6detail17trampoline_kernelINS0_14default_configENS1_22reduce_config_selectorIlEEZNS1_11reduce_implILb1ES3_PlS7_lN6hipcub16HIPCUB_304000_NS6detail34convert_binary_result_type_wrapperINS9_3SumENS9_22TransformInputIteratorIb7NonZeroIiEPilEElEEEE10hipError_tPvRmT1_T2_T3_mT4_P12ihipStream_tbEUlT_E0_NS1_11comp_targetILNS1_3genE4ELNS1_11target_archE910ELNS1_3gpuE8ELNS1_3repE0EEENS1_30default_config_static_selectorELNS0_4arch9wavefront6targetE1EEEvSM_
                                        ; -- End function
	.set _ZN7rocprim17ROCPRIM_400000_NS6detail17trampoline_kernelINS0_14default_configENS1_22reduce_config_selectorIlEEZNS1_11reduce_implILb1ES3_PlS7_lN6hipcub16HIPCUB_304000_NS6detail34convert_binary_result_type_wrapperINS9_3SumENS9_22TransformInputIteratorIb7NonZeroIiEPilEElEEEE10hipError_tPvRmT1_T2_T3_mT4_P12ihipStream_tbEUlT_E0_NS1_11comp_targetILNS1_3genE4ELNS1_11target_archE910ELNS1_3gpuE8ELNS1_3repE0EEENS1_30default_config_static_selectorELNS0_4arch9wavefront6targetE1EEEvSM_.num_vgpr, 0
	.set _ZN7rocprim17ROCPRIM_400000_NS6detail17trampoline_kernelINS0_14default_configENS1_22reduce_config_selectorIlEEZNS1_11reduce_implILb1ES3_PlS7_lN6hipcub16HIPCUB_304000_NS6detail34convert_binary_result_type_wrapperINS9_3SumENS9_22TransformInputIteratorIb7NonZeroIiEPilEElEEEE10hipError_tPvRmT1_T2_T3_mT4_P12ihipStream_tbEUlT_E0_NS1_11comp_targetILNS1_3genE4ELNS1_11target_archE910ELNS1_3gpuE8ELNS1_3repE0EEENS1_30default_config_static_selectorELNS0_4arch9wavefront6targetE1EEEvSM_.num_agpr, 0
	.set _ZN7rocprim17ROCPRIM_400000_NS6detail17trampoline_kernelINS0_14default_configENS1_22reduce_config_selectorIlEEZNS1_11reduce_implILb1ES3_PlS7_lN6hipcub16HIPCUB_304000_NS6detail34convert_binary_result_type_wrapperINS9_3SumENS9_22TransformInputIteratorIb7NonZeroIiEPilEElEEEE10hipError_tPvRmT1_T2_T3_mT4_P12ihipStream_tbEUlT_E0_NS1_11comp_targetILNS1_3genE4ELNS1_11target_archE910ELNS1_3gpuE8ELNS1_3repE0EEENS1_30default_config_static_selectorELNS0_4arch9wavefront6targetE1EEEvSM_.numbered_sgpr, 0
	.set _ZN7rocprim17ROCPRIM_400000_NS6detail17trampoline_kernelINS0_14default_configENS1_22reduce_config_selectorIlEEZNS1_11reduce_implILb1ES3_PlS7_lN6hipcub16HIPCUB_304000_NS6detail34convert_binary_result_type_wrapperINS9_3SumENS9_22TransformInputIteratorIb7NonZeroIiEPilEElEEEE10hipError_tPvRmT1_T2_T3_mT4_P12ihipStream_tbEUlT_E0_NS1_11comp_targetILNS1_3genE4ELNS1_11target_archE910ELNS1_3gpuE8ELNS1_3repE0EEENS1_30default_config_static_selectorELNS0_4arch9wavefront6targetE1EEEvSM_.num_named_barrier, 0
	.set _ZN7rocprim17ROCPRIM_400000_NS6detail17trampoline_kernelINS0_14default_configENS1_22reduce_config_selectorIlEEZNS1_11reduce_implILb1ES3_PlS7_lN6hipcub16HIPCUB_304000_NS6detail34convert_binary_result_type_wrapperINS9_3SumENS9_22TransformInputIteratorIb7NonZeroIiEPilEElEEEE10hipError_tPvRmT1_T2_T3_mT4_P12ihipStream_tbEUlT_E0_NS1_11comp_targetILNS1_3genE4ELNS1_11target_archE910ELNS1_3gpuE8ELNS1_3repE0EEENS1_30default_config_static_selectorELNS0_4arch9wavefront6targetE1EEEvSM_.private_seg_size, 0
	.set _ZN7rocprim17ROCPRIM_400000_NS6detail17trampoline_kernelINS0_14default_configENS1_22reduce_config_selectorIlEEZNS1_11reduce_implILb1ES3_PlS7_lN6hipcub16HIPCUB_304000_NS6detail34convert_binary_result_type_wrapperINS9_3SumENS9_22TransformInputIteratorIb7NonZeroIiEPilEElEEEE10hipError_tPvRmT1_T2_T3_mT4_P12ihipStream_tbEUlT_E0_NS1_11comp_targetILNS1_3genE4ELNS1_11target_archE910ELNS1_3gpuE8ELNS1_3repE0EEENS1_30default_config_static_selectorELNS0_4arch9wavefront6targetE1EEEvSM_.uses_vcc, 0
	.set _ZN7rocprim17ROCPRIM_400000_NS6detail17trampoline_kernelINS0_14default_configENS1_22reduce_config_selectorIlEEZNS1_11reduce_implILb1ES3_PlS7_lN6hipcub16HIPCUB_304000_NS6detail34convert_binary_result_type_wrapperINS9_3SumENS9_22TransformInputIteratorIb7NonZeroIiEPilEElEEEE10hipError_tPvRmT1_T2_T3_mT4_P12ihipStream_tbEUlT_E0_NS1_11comp_targetILNS1_3genE4ELNS1_11target_archE910ELNS1_3gpuE8ELNS1_3repE0EEENS1_30default_config_static_selectorELNS0_4arch9wavefront6targetE1EEEvSM_.uses_flat_scratch, 0
	.set _ZN7rocprim17ROCPRIM_400000_NS6detail17trampoline_kernelINS0_14default_configENS1_22reduce_config_selectorIlEEZNS1_11reduce_implILb1ES3_PlS7_lN6hipcub16HIPCUB_304000_NS6detail34convert_binary_result_type_wrapperINS9_3SumENS9_22TransformInputIteratorIb7NonZeroIiEPilEElEEEE10hipError_tPvRmT1_T2_T3_mT4_P12ihipStream_tbEUlT_E0_NS1_11comp_targetILNS1_3genE4ELNS1_11target_archE910ELNS1_3gpuE8ELNS1_3repE0EEENS1_30default_config_static_selectorELNS0_4arch9wavefront6targetE1EEEvSM_.has_dyn_sized_stack, 0
	.set _ZN7rocprim17ROCPRIM_400000_NS6detail17trampoline_kernelINS0_14default_configENS1_22reduce_config_selectorIlEEZNS1_11reduce_implILb1ES3_PlS7_lN6hipcub16HIPCUB_304000_NS6detail34convert_binary_result_type_wrapperINS9_3SumENS9_22TransformInputIteratorIb7NonZeroIiEPilEElEEEE10hipError_tPvRmT1_T2_T3_mT4_P12ihipStream_tbEUlT_E0_NS1_11comp_targetILNS1_3genE4ELNS1_11target_archE910ELNS1_3gpuE8ELNS1_3repE0EEENS1_30default_config_static_selectorELNS0_4arch9wavefront6targetE1EEEvSM_.has_recursion, 0
	.set _ZN7rocprim17ROCPRIM_400000_NS6detail17trampoline_kernelINS0_14default_configENS1_22reduce_config_selectorIlEEZNS1_11reduce_implILb1ES3_PlS7_lN6hipcub16HIPCUB_304000_NS6detail34convert_binary_result_type_wrapperINS9_3SumENS9_22TransformInputIteratorIb7NonZeroIiEPilEElEEEE10hipError_tPvRmT1_T2_T3_mT4_P12ihipStream_tbEUlT_E0_NS1_11comp_targetILNS1_3genE4ELNS1_11target_archE910ELNS1_3gpuE8ELNS1_3repE0EEENS1_30default_config_static_selectorELNS0_4arch9wavefront6targetE1EEEvSM_.has_indirect_call, 0
	.section	.AMDGPU.csdata,"",@progbits
; Kernel info:
; codeLenInByte = 0
; TotalNumSgprs: 4
; NumVgprs: 0
; ScratchSize: 0
; MemoryBound: 0
; FloatMode: 240
; IeeeMode: 1
; LDSByteSize: 0 bytes/workgroup (compile time only)
; SGPRBlocks: 0
; VGPRBlocks: 0
; NumSGPRsForWavesPerEU: 4
; NumVGPRsForWavesPerEU: 1
; Occupancy: 10
; WaveLimiterHint : 0
; COMPUTE_PGM_RSRC2:SCRATCH_EN: 0
; COMPUTE_PGM_RSRC2:USER_SGPR: 6
; COMPUTE_PGM_RSRC2:TRAP_HANDLER: 0
; COMPUTE_PGM_RSRC2:TGID_X_EN: 1
; COMPUTE_PGM_RSRC2:TGID_Y_EN: 0
; COMPUTE_PGM_RSRC2:TGID_Z_EN: 0
; COMPUTE_PGM_RSRC2:TIDIG_COMP_CNT: 0
	.section	.text._ZN7rocprim17ROCPRIM_400000_NS6detail17trampoline_kernelINS0_14default_configENS1_22reduce_config_selectorIlEEZNS1_11reduce_implILb1ES3_PlS7_lN6hipcub16HIPCUB_304000_NS6detail34convert_binary_result_type_wrapperINS9_3SumENS9_22TransformInputIteratorIb7NonZeroIiEPilEElEEEE10hipError_tPvRmT1_T2_T3_mT4_P12ihipStream_tbEUlT_E0_NS1_11comp_targetILNS1_3genE3ELNS1_11target_archE908ELNS1_3gpuE7ELNS1_3repE0EEENS1_30default_config_static_selectorELNS0_4arch9wavefront6targetE1EEEvSM_,"axG",@progbits,_ZN7rocprim17ROCPRIM_400000_NS6detail17trampoline_kernelINS0_14default_configENS1_22reduce_config_selectorIlEEZNS1_11reduce_implILb1ES3_PlS7_lN6hipcub16HIPCUB_304000_NS6detail34convert_binary_result_type_wrapperINS9_3SumENS9_22TransformInputIteratorIb7NonZeroIiEPilEElEEEE10hipError_tPvRmT1_T2_T3_mT4_P12ihipStream_tbEUlT_E0_NS1_11comp_targetILNS1_3genE3ELNS1_11target_archE908ELNS1_3gpuE7ELNS1_3repE0EEENS1_30default_config_static_selectorELNS0_4arch9wavefront6targetE1EEEvSM_,comdat
	.protected	_ZN7rocprim17ROCPRIM_400000_NS6detail17trampoline_kernelINS0_14default_configENS1_22reduce_config_selectorIlEEZNS1_11reduce_implILb1ES3_PlS7_lN6hipcub16HIPCUB_304000_NS6detail34convert_binary_result_type_wrapperINS9_3SumENS9_22TransformInputIteratorIb7NonZeroIiEPilEElEEEE10hipError_tPvRmT1_T2_T3_mT4_P12ihipStream_tbEUlT_E0_NS1_11comp_targetILNS1_3genE3ELNS1_11target_archE908ELNS1_3gpuE7ELNS1_3repE0EEENS1_30default_config_static_selectorELNS0_4arch9wavefront6targetE1EEEvSM_ ; -- Begin function _ZN7rocprim17ROCPRIM_400000_NS6detail17trampoline_kernelINS0_14default_configENS1_22reduce_config_selectorIlEEZNS1_11reduce_implILb1ES3_PlS7_lN6hipcub16HIPCUB_304000_NS6detail34convert_binary_result_type_wrapperINS9_3SumENS9_22TransformInputIteratorIb7NonZeroIiEPilEElEEEE10hipError_tPvRmT1_T2_T3_mT4_P12ihipStream_tbEUlT_E0_NS1_11comp_targetILNS1_3genE3ELNS1_11target_archE908ELNS1_3gpuE7ELNS1_3repE0EEENS1_30default_config_static_selectorELNS0_4arch9wavefront6targetE1EEEvSM_
	.globl	_ZN7rocprim17ROCPRIM_400000_NS6detail17trampoline_kernelINS0_14default_configENS1_22reduce_config_selectorIlEEZNS1_11reduce_implILb1ES3_PlS7_lN6hipcub16HIPCUB_304000_NS6detail34convert_binary_result_type_wrapperINS9_3SumENS9_22TransformInputIteratorIb7NonZeroIiEPilEElEEEE10hipError_tPvRmT1_T2_T3_mT4_P12ihipStream_tbEUlT_E0_NS1_11comp_targetILNS1_3genE3ELNS1_11target_archE908ELNS1_3gpuE7ELNS1_3repE0EEENS1_30default_config_static_selectorELNS0_4arch9wavefront6targetE1EEEvSM_
	.p2align	8
	.type	_ZN7rocprim17ROCPRIM_400000_NS6detail17trampoline_kernelINS0_14default_configENS1_22reduce_config_selectorIlEEZNS1_11reduce_implILb1ES3_PlS7_lN6hipcub16HIPCUB_304000_NS6detail34convert_binary_result_type_wrapperINS9_3SumENS9_22TransformInputIteratorIb7NonZeroIiEPilEElEEEE10hipError_tPvRmT1_T2_T3_mT4_P12ihipStream_tbEUlT_E0_NS1_11comp_targetILNS1_3genE3ELNS1_11target_archE908ELNS1_3gpuE7ELNS1_3repE0EEENS1_30default_config_static_selectorELNS0_4arch9wavefront6targetE1EEEvSM_,@function
_ZN7rocprim17ROCPRIM_400000_NS6detail17trampoline_kernelINS0_14default_configENS1_22reduce_config_selectorIlEEZNS1_11reduce_implILb1ES3_PlS7_lN6hipcub16HIPCUB_304000_NS6detail34convert_binary_result_type_wrapperINS9_3SumENS9_22TransformInputIteratorIb7NonZeroIiEPilEElEEEE10hipError_tPvRmT1_T2_T3_mT4_P12ihipStream_tbEUlT_E0_NS1_11comp_targetILNS1_3genE3ELNS1_11target_archE908ELNS1_3gpuE7ELNS1_3repE0EEENS1_30default_config_static_selectorELNS0_4arch9wavefront6targetE1EEEvSM_: ; @_ZN7rocprim17ROCPRIM_400000_NS6detail17trampoline_kernelINS0_14default_configENS1_22reduce_config_selectorIlEEZNS1_11reduce_implILb1ES3_PlS7_lN6hipcub16HIPCUB_304000_NS6detail34convert_binary_result_type_wrapperINS9_3SumENS9_22TransformInputIteratorIb7NonZeroIiEPilEElEEEE10hipError_tPvRmT1_T2_T3_mT4_P12ihipStream_tbEUlT_E0_NS1_11comp_targetILNS1_3genE3ELNS1_11target_archE908ELNS1_3gpuE7ELNS1_3repE0EEENS1_30default_config_static_selectorELNS0_4arch9wavefront6targetE1EEEvSM_
; %bb.0:
	.section	.rodata,"a",@progbits
	.p2align	6, 0x0
	.amdhsa_kernel _ZN7rocprim17ROCPRIM_400000_NS6detail17trampoline_kernelINS0_14default_configENS1_22reduce_config_selectorIlEEZNS1_11reduce_implILb1ES3_PlS7_lN6hipcub16HIPCUB_304000_NS6detail34convert_binary_result_type_wrapperINS9_3SumENS9_22TransformInputIteratorIb7NonZeroIiEPilEElEEEE10hipError_tPvRmT1_T2_T3_mT4_P12ihipStream_tbEUlT_E0_NS1_11comp_targetILNS1_3genE3ELNS1_11target_archE908ELNS1_3gpuE7ELNS1_3repE0EEENS1_30default_config_static_selectorELNS0_4arch9wavefront6targetE1EEEvSM_
		.amdhsa_group_segment_fixed_size 0
		.amdhsa_private_segment_fixed_size 0
		.amdhsa_kernarg_size 64
		.amdhsa_user_sgpr_count 6
		.amdhsa_user_sgpr_private_segment_buffer 1
		.amdhsa_user_sgpr_dispatch_ptr 0
		.amdhsa_user_sgpr_queue_ptr 0
		.amdhsa_user_sgpr_kernarg_segment_ptr 1
		.amdhsa_user_sgpr_dispatch_id 0
		.amdhsa_user_sgpr_flat_scratch_init 0
		.amdhsa_user_sgpr_private_segment_size 0
		.amdhsa_uses_dynamic_stack 0
		.amdhsa_system_sgpr_private_segment_wavefront_offset 0
		.amdhsa_system_sgpr_workgroup_id_x 1
		.amdhsa_system_sgpr_workgroup_id_y 0
		.amdhsa_system_sgpr_workgroup_id_z 0
		.amdhsa_system_sgpr_workgroup_info 0
		.amdhsa_system_vgpr_workitem_id 0
		.amdhsa_next_free_vgpr 1
		.amdhsa_next_free_sgpr 0
		.amdhsa_reserve_vcc 0
		.amdhsa_reserve_flat_scratch 0
		.amdhsa_float_round_mode_32 0
		.amdhsa_float_round_mode_16_64 0
		.amdhsa_float_denorm_mode_32 3
		.amdhsa_float_denorm_mode_16_64 3
		.amdhsa_dx10_clamp 1
		.amdhsa_ieee_mode 1
		.amdhsa_fp16_overflow 0
		.amdhsa_exception_fp_ieee_invalid_op 0
		.amdhsa_exception_fp_denorm_src 0
		.amdhsa_exception_fp_ieee_div_zero 0
		.amdhsa_exception_fp_ieee_overflow 0
		.amdhsa_exception_fp_ieee_underflow 0
		.amdhsa_exception_fp_ieee_inexact 0
		.amdhsa_exception_int_div_zero 0
	.end_amdhsa_kernel
	.section	.text._ZN7rocprim17ROCPRIM_400000_NS6detail17trampoline_kernelINS0_14default_configENS1_22reduce_config_selectorIlEEZNS1_11reduce_implILb1ES3_PlS7_lN6hipcub16HIPCUB_304000_NS6detail34convert_binary_result_type_wrapperINS9_3SumENS9_22TransformInputIteratorIb7NonZeroIiEPilEElEEEE10hipError_tPvRmT1_T2_T3_mT4_P12ihipStream_tbEUlT_E0_NS1_11comp_targetILNS1_3genE3ELNS1_11target_archE908ELNS1_3gpuE7ELNS1_3repE0EEENS1_30default_config_static_selectorELNS0_4arch9wavefront6targetE1EEEvSM_,"axG",@progbits,_ZN7rocprim17ROCPRIM_400000_NS6detail17trampoline_kernelINS0_14default_configENS1_22reduce_config_selectorIlEEZNS1_11reduce_implILb1ES3_PlS7_lN6hipcub16HIPCUB_304000_NS6detail34convert_binary_result_type_wrapperINS9_3SumENS9_22TransformInputIteratorIb7NonZeroIiEPilEElEEEE10hipError_tPvRmT1_T2_T3_mT4_P12ihipStream_tbEUlT_E0_NS1_11comp_targetILNS1_3genE3ELNS1_11target_archE908ELNS1_3gpuE7ELNS1_3repE0EEENS1_30default_config_static_selectorELNS0_4arch9wavefront6targetE1EEEvSM_,comdat
.Lfunc_end152:
	.size	_ZN7rocprim17ROCPRIM_400000_NS6detail17trampoline_kernelINS0_14default_configENS1_22reduce_config_selectorIlEEZNS1_11reduce_implILb1ES3_PlS7_lN6hipcub16HIPCUB_304000_NS6detail34convert_binary_result_type_wrapperINS9_3SumENS9_22TransformInputIteratorIb7NonZeroIiEPilEElEEEE10hipError_tPvRmT1_T2_T3_mT4_P12ihipStream_tbEUlT_E0_NS1_11comp_targetILNS1_3genE3ELNS1_11target_archE908ELNS1_3gpuE7ELNS1_3repE0EEENS1_30default_config_static_selectorELNS0_4arch9wavefront6targetE1EEEvSM_, .Lfunc_end152-_ZN7rocprim17ROCPRIM_400000_NS6detail17trampoline_kernelINS0_14default_configENS1_22reduce_config_selectorIlEEZNS1_11reduce_implILb1ES3_PlS7_lN6hipcub16HIPCUB_304000_NS6detail34convert_binary_result_type_wrapperINS9_3SumENS9_22TransformInputIteratorIb7NonZeroIiEPilEElEEEE10hipError_tPvRmT1_T2_T3_mT4_P12ihipStream_tbEUlT_E0_NS1_11comp_targetILNS1_3genE3ELNS1_11target_archE908ELNS1_3gpuE7ELNS1_3repE0EEENS1_30default_config_static_selectorELNS0_4arch9wavefront6targetE1EEEvSM_
                                        ; -- End function
	.set _ZN7rocprim17ROCPRIM_400000_NS6detail17trampoline_kernelINS0_14default_configENS1_22reduce_config_selectorIlEEZNS1_11reduce_implILb1ES3_PlS7_lN6hipcub16HIPCUB_304000_NS6detail34convert_binary_result_type_wrapperINS9_3SumENS9_22TransformInputIteratorIb7NonZeroIiEPilEElEEEE10hipError_tPvRmT1_T2_T3_mT4_P12ihipStream_tbEUlT_E0_NS1_11comp_targetILNS1_3genE3ELNS1_11target_archE908ELNS1_3gpuE7ELNS1_3repE0EEENS1_30default_config_static_selectorELNS0_4arch9wavefront6targetE1EEEvSM_.num_vgpr, 0
	.set _ZN7rocprim17ROCPRIM_400000_NS6detail17trampoline_kernelINS0_14default_configENS1_22reduce_config_selectorIlEEZNS1_11reduce_implILb1ES3_PlS7_lN6hipcub16HIPCUB_304000_NS6detail34convert_binary_result_type_wrapperINS9_3SumENS9_22TransformInputIteratorIb7NonZeroIiEPilEElEEEE10hipError_tPvRmT1_T2_T3_mT4_P12ihipStream_tbEUlT_E0_NS1_11comp_targetILNS1_3genE3ELNS1_11target_archE908ELNS1_3gpuE7ELNS1_3repE0EEENS1_30default_config_static_selectorELNS0_4arch9wavefront6targetE1EEEvSM_.num_agpr, 0
	.set _ZN7rocprim17ROCPRIM_400000_NS6detail17trampoline_kernelINS0_14default_configENS1_22reduce_config_selectorIlEEZNS1_11reduce_implILb1ES3_PlS7_lN6hipcub16HIPCUB_304000_NS6detail34convert_binary_result_type_wrapperINS9_3SumENS9_22TransformInputIteratorIb7NonZeroIiEPilEElEEEE10hipError_tPvRmT1_T2_T3_mT4_P12ihipStream_tbEUlT_E0_NS1_11comp_targetILNS1_3genE3ELNS1_11target_archE908ELNS1_3gpuE7ELNS1_3repE0EEENS1_30default_config_static_selectorELNS0_4arch9wavefront6targetE1EEEvSM_.numbered_sgpr, 0
	.set _ZN7rocprim17ROCPRIM_400000_NS6detail17trampoline_kernelINS0_14default_configENS1_22reduce_config_selectorIlEEZNS1_11reduce_implILb1ES3_PlS7_lN6hipcub16HIPCUB_304000_NS6detail34convert_binary_result_type_wrapperINS9_3SumENS9_22TransformInputIteratorIb7NonZeroIiEPilEElEEEE10hipError_tPvRmT1_T2_T3_mT4_P12ihipStream_tbEUlT_E0_NS1_11comp_targetILNS1_3genE3ELNS1_11target_archE908ELNS1_3gpuE7ELNS1_3repE0EEENS1_30default_config_static_selectorELNS0_4arch9wavefront6targetE1EEEvSM_.num_named_barrier, 0
	.set _ZN7rocprim17ROCPRIM_400000_NS6detail17trampoline_kernelINS0_14default_configENS1_22reduce_config_selectorIlEEZNS1_11reduce_implILb1ES3_PlS7_lN6hipcub16HIPCUB_304000_NS6detail34convert_binary_result_type_wrapperINS9_3SumENS9_22TransformInputIteratorIb7NonZeroIiEPilEElEEEE10hipError_tPvRmT1_T2_T3_mT4_P12ihipStream_tbEUlT_E0_NS1_11comp_targetILNS1_3genE3ELNS1_11target_archE908ELNS1_3gpuE7ELNS1_3repE0EEENS1_30default_config_static_selectorELNS0_4arch9wavefront6targetE1EEEvSM_.private_seg_size, 0
	.set _ZN7rocprim17ROCPRIM_400000_NS6detail17trampoline_kernelINS0_14default_configENS1_22reduce_config_selectorIlEEZNS1_11reduce_implILb1ES3_PlS7_lN6hipcub16HIPCUB_304000_NS6detail34convert_binary_result_type_wrapperINS9_3SumENS9_22TransformInputIteratorIb7NonZeroIiEPilEElEEEE10hipError_tPvRmT1_T2_T3_mT4_P12ihipStream_tbEUlT_E0_NS1_11comp_targetILNS1_3genE3ELNS1_11target_archE908ELNS1_3gpuE7ELNS1_3repE0EEENS1_30default_config_static_selectorELNS0_4arch9wavefront6targetE1EEEvSM_.uses_vcc, 0
	.set _ZN7rocprim17ROCPRIM_400000_NS6detail17trampoline_kernelINS0_14default_configENS1_22reduce_config_selectorIlEEZNS1_11reduce_implILb1ES3_PlS7_lN6hipcub16HIPCUB_304000_NS6detail34convert_binary_result_type_wrapperINS9_3SumENS9_22TransformInputIteratorIb7NonZeroIiEPilEElEEEE10hipError_tPvRmT1_T2_T3_mT4_P12ihipStream_tbEUlT_E0_NS1_11comp_targetILNS1_3genE3ELNS1_11target_archE908ELNS1_3gpuE7ELNS1_3repE0EEENS1_30default_config_static_selectorELNS0_4arch9wavefront6targetE1EEEvSM_.uses_flat_scratch, 0
	.set _ZN7rocprim17ROCPRIM_400000_NS6detail17trampoline_kernelINS0_14default_configENS1_22reduce_config_selectorIlEEZNS1_11reduce_implILb1ES3_PlS7_lN6hipcub16HIPCUB_304000_NS6detail34convert_binary_result_type_wrapperINS9_3SumENS9_22TransformInputIteratorIb7NonZeroIiEPilEElEEEE10hipError_tPvRmT1_T2_T3_mT4_P12ihipStream_tbEUlT_E0_NS1_11comp_targetILNS1_3genE3ELNS1_11target_archE908ELNS1_3gpuE7ELNS1_3repE0EEENS1_30default_config_static_selectorELNS0_4arch9wavefront6targetE1EEEvSM_.has_dyn_sized_stack, 0
	.set _ZN7rocprim17ROCPRIM_400000_NS6detail17trampoline_kernelINS0_14default_configENS1_22reduce_config_selectorIlEEZNS1_11reduce_implILb1ES3_PlS7_lN6hipcub16HIPCUB_304000_NS6detail34convert_binary_result_type_wrapperINS9_3SumENS9_22TransformInputIteratorIb7NonZeroIiEPilEElEEEE10hipError_tPvRmT1_T2_T3_mT4_P12ihipStream_tbEUlT_E0_NS1_11comp_targetILNS1_3genE3ELNS1_11target_archE908ELNS1_3gpuE7ELNS1_3repE0EEENS1_30default_config_static_selectorELNS0_4arch9wavefront6targetE1EEEvSM_.has_recursion, 0
	.set _ZN7rocprim17ROCPRIM_400000_NS6detail17trampoline_kernelINS0_14default_configENS1_22reduce_config_selectorIlEEZNS1_11reduce_implILb1ES3_PlS7_lN6hipcub16HIPCUB_304000_NS6detail34convert_binary_result_type_wrapperINS9_3SumENS9_22TransformInputIteratorIb7NonZeroIiEPilEElEEEE10hipError_tPvRmT1_T2_T3_mT4_P12ihipStream_tbEUlT_E0_NS1_11comp_targetILNS1_3genE3ELNS1_11target_archE908ELNS1_3gpuE7ELNS1_3repE0EEENS1_30default_config_static_selectorELNS0_4arch9wavefront6targetE1EEEvSM_.has_indirect_call, 0
	.section	.AMDGPU.csdata,"",@progbits
; Kernel info:
; codeLenInByte = 0
; TotalNumSgprs: 4
; NumVgprs: 0
; ScratchSize: 0
; MemoryBound: 0
; FloatMode: 240
; IeeeMode: 1
; LDSByteSize: 0 bytes/workgroup (compile time only)
; SGPRBlocks: 0
; VGPRBlocks: 0
; NumSGPRsForWavesPerEU: 4
; NumVGPRsForWavesPerEU: 1
; Occupancy: 10
; WaveLimiterHint : 0
; COMPUTE_PGM_RSRC2:SCRATCH_EN: 0
; COMPUTE_PGM_RSRC2:USER_SGPR: 6
; COMPUTE_PGM_RSRC2:TRAP_HANDLER: 0
; COMPUTE_PGM_RSRC2:TGID_X_EN: 1
; COMPUTE_PGM_RSRC2:TGID_Y_EN: 0
; COMPUTE_PGM_RSRC2:TGID_Z_EN: 0
; COMPUTE_PGM_RSRC2:TIDIG_COMP_CNT: 0
	.section	.text._ZN7rocprim17ROCPRIM_400000_NS6detail17trampoline_kernelINS0_14default_configENS1_22reduce_config_selectorIlEEZNS1_11reduce_implILb1ES3_PlS7_lN6hipcub16HIPCUB_304000_NS6detail34convert_binary_result_type_wrapperINS9_3SumENS9_22TransformInputIteratorIb7NonZeroIiEPilEElEEEE10hipError_tPvRmT1_T2_T3_mT4_P12ihipStream_tbEUlT_E0_NS1_11comp_targetILNS1_3genE2ELNS1_11target_archE906ELNS1_3gpuE6ELNS1_3repE0EEENS1_30default_config_static_selectorELNS0_4arch9wavefront6targetE1EEEvSM_,"axG",@progbits,_ZN7rocprim17ROCPRIM_400000_NS6detail17trampoline_kernelINS0_14default_configENS1_22reduce_config_selectorIlEEZNS1_11reduce_implILb1ES3_PlS7_lN6hipcub16HIPCUB_304000_NS6detail34convert_binary_result_type_wrapperINS9_3SumENS9_22TransformInputIteratorIb7NonZeroIiEPilEElEEEE10hipError_tPvRmT1_T2_T3_mT4_P12ihipStream_tbEUlT_E0_NS1_11comp_targetILNS1_3genE2ELNS1_11target_archE906ELNS1_3gpuE6ELNS1_3repE0EEENS1_30default_config_static_selectorELNS0_4arch9wavefront6targetE1EEEvSM_,comdat
	.protected	_ZN7rocprim17ROCPRIM_400000_NS6detail17trampoline_kernelINS0_14default_configENS1_22reduce_config_selectorIlEEZNS1_11reduce_implILb1ES3_PlS7_lN6hipcub16HIPCUB_304000_NS6detail34convert_binary_result_type_wrapperINS9_3SumENS9_22TransformInputIteratorIb7NonZeroIiEPilEElEEEE10hipError_tPvRmT1_T2_T3_mT4_P12ihipStream_tbEUlT_E0_NS1_11comp_targetILNS1_3genE2ELNS1_11target_archE906ELNS1_3gpuE6ELNS1_3repE0EEENS1_30default_config_static_selectorELNS0_4arch9wavefront6targetE1EEEvSM_ ; -- Begin function _ZN7rocprim17ROCPRIM_400000_NS6detail17trampoline_kernelINS0_14default_configENS1_22reduce_config_selectorIlEEZNS1_11reduce_implILb1ES3_PlS7_lN6hipcub16HIPCUB_304000_NS6detail34convert_binary_result_type_wrapperINS9_3SumENS9_22TransformInputIteratorIb7NonZeroIiEPilEElEEEE10hipError_tPvRmT1_T2_T3_mT4_P12ihipStream_tbEUlT_E0_NS1_11comp_targetILNS1_3genE2ELNS1_11target_archE906ELNS1_3gpuE6ELNS1_3repE0EEENS1_30default_config_static_selectorELNS0_4arch9wavefront6targetE1EEEvSM_
	.globl	_ZN7rocprim17ROCPRIM_400000_NS6detail17trampoline_kernelINS0_14default_configENS1_22reduce_config_selectorIlEEZNS1_11reduce_implILb1ES3_PlS7_lN6hipcub16HIPCUB_304000_NS6detail34convert_binary_result_type_wrapperINS9_3SumENS9_22TransformInputIteratorIb7NonZeroIiEPilEElEEEE10hipError_tPvRmT1_T2_T3_mT4_P12ihipStream_tbEUlT_E0_NS1_11comp_targetILNS1_3genE2ELNS1_11target_archE906ELNS1_3gpuE6ELNS1_3repE0EEENS1_30default_config_static_selectorELNS0_4arch9wavefront6targetE1EEEvSM_
	.p2align	8
	.type	_ZN7rocprim17ROCPRIM_400000_NS6detail17trampoline_kernelINS0_14default_configENS1_22reduce_config_selectorIlEEZNS1_11reduce_implILb1ES3_PlS7_lN6hipcub16HIPCUB_304000_NS6detail34convert_binary_result_type_wrapperINS9_3SumENS9_22TransformInputIteratorIb7NonZeroIiEPilEElEEEE10hipError_tPvRmT1_T2_T3_mT4_P12ihipStream_tbEUlT_E0_NS1_11comp_targetILNS1_3genE2ELNS1_11target_archE906ELNS1_3gpuE6ELNS1_3repE0EEENS1_30default_config_static_selectorELNS0_4arch9wavefront6targetE1EEEvSM_,@function
_ZN7rocprim17ROCPRIM_400000_NS6detail17trampoline_kernelINS0_14default_configENS1_22reduce_config_selectorIlEEZNS1_11reduce_implILb1ES3_PlS7_lN6hipcub16HIPCUB_304000_NS6detail34convert_binary_result_type_wrapperINS9_3SumENS9_22TransformInputIteratorIb7NonZeroIiEPilEElEEEE10hipError_tPvRmT1_T2_T3_mT4_P12ihipStream_tbEUlT_E0_NS1_11comp_targetILNS1_3genE2ELNS1_11target_archE906ELNS1_3gpuE6ELNS1_3repE0EEENS1_30default_config_static_selectorELNS0_4arch9wavefront6targetE1EEEvSM_: ; @_ZN7rocprim17ROCPRIM_400000_NS6detail17trampoline_kernelINS0_14default_configENS1_22reduce_config_selectorIlEEZNS1_11reduce_implILb1ES3_PlS7_lN6hipcub16HIPCUB_304000_NS6detail34convert_binary_result_type_wrapperINS9_3SumENS9_22TransformInputIteratorIb7NonZeroIiEPilEElEEEE10hipError_tPvRmT1_T2_T3_mT4_P12ihipStream_tbEUlT_E0_NS1_11comp_targetILNS1_3genE2ELNS1_11target_archE906ELNS1_3gpuE6ELNS1_3repE0EEENS1_30default_config_static_selectorELNS0_4arch9wavefront6targetE1EEEvSM_
; %bb.0:
	s_load_dwordx8 s[8:15], s[4:5], 0x0
	s_load_dwordx4 s[0:3], s[4:5], 0x20
	s_load_dwordx2 s[16:17], s[4:5], 0x30
	v_lshlrev_b32_e32 v6, 3, v0
	v_mbcnt_lo_u32_b32 v5, -1, 0
	s_waitcnt lgkmcnt(0)
	s_lshl_b64 s[4:5], s[10:11], 3
	s_add_u32 s18, s8, s4
	s_addc_u32 s19, s9, s5
	s_lshl_b32 s8, s6, 9
	s_mov_b32 s9, 0
	s_lshr_b64 s[10:11], s[12:13], 9
	s_lshl_b64 s[4:5], s[8:9], 3
	s_add_u32 s4, s18, s4
	s_mov_b32 s7, s9
	s_addc_u32 s5, s19, s5
	s_cmp_lg_u64 s[10:11], s[6:7]
	s_cbranch_scc0 .LBB153_6
; %bb.1:
	global_load_dwordx2 v[1:2], v6, s[4:5]
	global_load_dwordx2 v[7:8], v6, s[4:5] offset:2048
	v_mbcnt_hi_u32_b32 v3, -1, v5
	v_lshlrev_b32_e32 v4, 2, v3
	v_or_b32_e32 v9, 0xfc, v4
	s_waitcnt vmcnt(0)
	v_add_co_u32_e32 v1, vcc, v7, v1
	v_addc_co_u32_e32 v2, vcc, v8, v2, vcc
	s_nop 0
	v_mov_b32_dpp v7, v1 quad_perm:[1,0,3,2] row_mask:0xf bank_mask:0xf bound_ctrl:1
	v_add_co_u32_e32 v1, vcc, v1, v7
	v_mov_b32_dpp v8, v2 quad_perm:[1,0,3,2] row_mask:0xf bank_mask:0xf bound_ctrl:1
	v_addc_co_u32_e32 v2, vcc, 0, v2, vcc
	v_add_co_u32_e32 v7, vcc, 0, v1
	v_addc_co_u32_e32 v2, vcc, v8, v2, vcc
	v_mov_b32_dpp v1, v1 quad_perm:[2,3,0,1] row_mask:0xf bank_mask:0xf bound_ctrl:1
	v_add_co_u32_e32 v1, vcc, v7, v1
	v_mov_b32_dpp v8, v2 quad_perm:[2,3,0,1] row_mask:0xf bank_mask:0xf bound_ctrl:1
	v_addc_co_u32_e32 v2, vcc, 0, v2, vcc
	v_add_co_u32_e32 v7, vcc, 0, v1
	v_addc_co_u32_e32 v2, vcc, v2, v8, vcc
	v_mov_b32_dpp v1, v1 row_ror:4 row_mask:0xf bank_mask:0xf bound_ctrl:1
	v_add_co_u32_e32 v1, vcc, v7, v1
	v_mov_b32_dpp v8, v2 row_ror:4 row_mask:0xf bank_mask:0xf bound_ctrl:1
	v_addc_co_u32_e32 v2, vcc, 0, v2, vcc
	v_add_co_u32_e32 v7, vcc, 0, v1
	v_addc_co_u32_e32 v2, vcc, v2, v8, vcc
	v_mov_b32_dpp v1, v1 row_ror:8 row_mask:0xf bank_mask:0xf bound_ctrl:1
	v_add_co_u32_e32 v1, vcc, v7, v1
	v_mov_b32_dpp v8, v2 row_ror:8 row_mask:0xf bank_mask:0xf bound_ctrl:1
	v_addc_co_u32_e32 v2, vcc, 0, v2, vcc
	v_add_co_u32_e32 v7, vcc, 0, v1
	v_addc_co_u32_e32 v2, vcc, v2, v8, vcc
	v_mov_b32_dpp v1, v1 row_bcast:15 row_mask:0xf bank_mask:0xf bound_ctrl:1
	v_add_co_u32_e32 v1, vcc, v7, v1
	v_mov_b32_dpp v8, v2 row_bcast:15 row_mask:0xf bank_mask:0xf bound_ctrl:1
	v_addc_co_u32_e32 v2, vcc, 0, v2, vcc
	v_add_co_u32_e32 v7, vcc, 0, v1
	v_addc_co_u32_e32 v2, vcc, v2, v8, vcc
	v_mov_b32_dpp v1, v1 row_bcast:31 row_mask:0xf bank_mask:0xf bound_ctrl:1
	v_add_co_u32_e32 v1, vcc, v7, v1
	v_addc_co_u32_e32 v7, vcc, 0, v2, vcc
	ds_bpermute_b32 v1, v9, v1
	s_nop 0
	v_add_u32_dpp v2, v2, v7 row_bcast:31 row_mask:0xf bank_mask:0xf bound_ctrl:1
	ds_bpermute_b32 v2, v9, v2
	v_cmp_eq_u32_e32 vcc, 0, v3
	s_and_saveexec_b64 s[10:11], vcc
	s_cbranch_execz .LBB153_3
; %bb.2:
	v_lshrrev_b32_e32 v7, 3, v0
	v_and_b32_e32 v7, 24, v7
	s_waitcnt lgkmcnt(0)
	ds_write_b64 v7, v[1:2]
.LBB153_3:
	s_or_b64 exec, exec, s[10:11]
	v_cmp_gt_u32_e32 vcc, 64, v0
	s_waitcnt lgkmcnt(0)
	s_barrier
	s_and_saveexec_b64 s[10:11], vcc
	s_cbranch_execz .LBB153_5
; %bb.4:
	v_and_b32_e32 v7, 3, v3
	v_lshlrev_b32_e32 v1, 3, v7
	ds_read_b64 v[1:2], v1
	v_cmp_ne_u32_e32 vcc, 3, v7
	v_addc_co_u32_e32 v3, vcc, 0, v3, vcc
	v_lshlrev_b32_e32 v3, 2, v3
	s_waitcnt lgkmcnt(0)
	ds_bpermute_b32 v7, v3, v1
	ds_bpermute_b32 v3, v3, v2
	v_or_b32_e32 v4, 8, v4
	s_waitcnt lgkmcnt(1)
	v_add_co_u32_e32 v1, vcc, v1, v7
	v_addc_co_u32_e32 v2, vcc, 0, v2, vcc
	ds_bpermute_b32 v7, v4, v1
	v_add_co_u32_e32 v1, vcc, 0, v1
	s_waitcnt lgkmcnt(1)
	v_addc_co_u32_e32 v2, vcc, v3, v2, vcc
	ds_bpermute_b32 v3, v4, v2
	s_waitcnt lgkmcnt(1)
	v_add_co_u32_e32 v1, vcc, v1, v7
	v_addc_co_u32_e32 v2, vcc, 0, v2, vcc
	v_add_co_u32_e32 v1, vcc, 0, v1
	s_waitcnt lgkmcnt(0)
	v_addc_co_u32_e32 v2, vcc, v2, v3, vcc
.LBB153_5:
	s_or_b64 exec, exec, s[10:11]
	s_branch .LBB153_28
.LBB153_6:
                                        ; implicit-def: $vgpr1_vgpr2
	s_cbranch_execz .LBB153_28
; %bb.7:
	s_sub_i32 s10, s12, s8
	v_mov_b32_e32 v1, 0
	v_cmp_gt_u32_e32 vcc, s10, v0
	v_mov_b32_e32 v2, v1
	v_mov_b32_e32 v3, v1
	;; [unrolled: 1-line block ×3, first 2 shown]
	s_and_saveexec_b64 s[8:9], vcc
	s_cbranch_execz .LBB153_9
; %bb.8:
	global_load_dwordx2 v[7:8], v6, s[4:5]
	v_mov_b32_e32 v9, v1
	v_mov_b32_e32 v10, v1
	s_waitcnt vmcnt(0)
	v_mov_b32_e32 v1, v7
	v_mov_b32_e32 v2, v8
	;; [unrolled: 1-line block ×4, first 2 shown]
.LBB153_9:
	s_or_b64 exec, exec, s[8:9]
	v_or_b32_e32 v7, 0x100, v0
	v_cmp_gt_u32_e32 vcc, s10, v7
	s_and_saveexec_b64 s[8:9], vcc
	s_cbranch_execz .LBB153_11
; %bb.10:
	global_load_dwordx2 v[3:4], v6, s[4:5] offset:2048
.LBB153_11:
	s_or_b64 exec, exec, s[8:9]
	s_waitcnt vmcnt(0)
	v_cndmask_b32_e32 v3, 0, v3, vcc
	v_cndmask_b32_e32 v4, 0, v4, vcc
	v_add_co_u32_e32 v1, vcc, v3, v1
	v_mbcnt_hi_u32_b32 v3, -1, v5
	v_addc_co_u32_e32 v2, vcc, v4, v2, vcc
	v_and_b32_e32 v4, 63, v3
	v_cmp_ne_u32_e32 vcc, 63, v4
	v_addc_co_u32_e32 v6, vcc, 0, v3, vcc
	v_lshlrev_b32_e32 v6, 2, v6
	ds_bpermute_b32 v8, v6, v1
	ds_bpermute_b32 v7, v6, v2
	s_min_u32 s8, s10, 0x100
	v_and_b32_e32 v5, 0xc0, v0
	v_sub_u32_e64 v5, s8, v5 clamp
	v_add_u32_e32 v6, 1, v4
	v_cmp_lt_u32_e32 vcc, v6, v5
	v_mov_b32_e32 v6, v1
	s_and_saveexec_b64 s[4:5], vcc
	s_cbranch_execz .LBB153_13
; %bb.12:
	s_waitcnt lgkmcnt(1)
	v_add_co_u32_e32 v6, vcc, v1, v8
	v_addc_co_u32_e32 v2, vcc, 0, v2, vcc
	v_add_co_u32_e32 v1, vcc, 0, v6
	s_waitcnt lgkmcnt(0)
	v_addc_co_u32_e32 v2, vcc, v7, v2, vcc
.LBB153_13:
	s_or_b64 exec, exec, s[4:5]
	v_cmp_gt_u32_e32 vcc, 62, v4
	s_waitcnt lgkmcnt(0)
	v_cndmask_b32_e64 v7, 0, 2, vcc
	v_add_lshl_u32 v7, v7, v3, 2
	ds_bpermute_b32 v8, v7, v6
	ds_bpermute_b32 v7, v7, v2
	v_add_u32_e32 v9, 2, v4
	v_cmp_lt_u32_e32 vcc, v9, v5
	s_and_saveexec_b64 s[4:5], vcc
	s_cbranch_execz .LBB153_15
; %bb.14:
	s_waitcnt lgkmcnt(1)
	v_add_co_u32_e32 v6, vcc, v1, v8
	v_addc_co_u32_e32 v2, vcc, 0, v2, vcc
	v_add_co_u32_e32 v1, vcc, 0, v6
	s_waitcnt lgkmcnt(0)
	v_addc_co_u32_e32 v2, vcc, v7, v2, vcc
.LBB153_15:
	s_or_b64 exec, exec, s[4:5]
	v_cmp_gt_u32_e32 vcc, 60, v4
	s_waitcnt lgkmcnt(0)
	v_cndmask_b32_e64 v7, 0, 4, vcc
	v_add_lshl_u32 v7, v7, v3, 2
	ds_bpermute_b32 v8, v7, v6
	ds_bpermute_b32 v7, v7, v2
	v_add_u32_e32 v9, 4, v4
	v_cmp_lt_u32_e32 vcc, v9, v5
	;; [unrolled: 19-line block ×4, first 2 shown]
	s_and_saveexec_b64 s[4:5], vcc
	s_cbranch_execz .LBB153_21
; %bb.20:
	s_waitcnt lgkmcnt(1)
	v_add_co_u32_e32 v6, vcc, v1, v8
	v_addc_co_u32_e32 v2, vcc, 0, v2, vcc
	v_add_co_u32_e32 v1, vcc, 0, v6
	s_waitcnt lgkmcnt(0)
	v_addc_co_u32_e32 v2, vcc, v7, v2, vcc
.LBB153_21:
	s_or_b64 exec, exec, s[4:5]
	s_waitcnt lgkmcnt(0)
	v_lshlrev_b32_e32 v7, 2, v3
	v_or_b32_e32 v8, 0x80, v7
	ds_bpermute_b32 v6, v8, v6
	ds_bpermute_b32 v8, v8, v2
	v_add_u32_e32 v4, 32, v4
	s_waitcnt lgkmcnt(1)
	v_add_co_u32_e32 v6, vcc, v1, v6
	v_addc_co_u32_e32 v9, vcc, 0, v2, vcc
	v_add_co_u32_e32 v6, vcc, 0, v6
	s_waitcnt lgkmcnt(0)
	v_addc_co_u32_e32 v8, vcc, v9, v8, vcc
	v_cmp_lt_u32_e32 vcc, v4, v5
	v_cndmask_b32_e32 v2, v2, v8, vcc
	v_cndmask_b32_e32 v1, v1, v6, vcc
	v_cmp_eq_u32_e32 vcc, 0, v3
	s_and_saveexec_b64 s[4:5], vcc
; %bb.22:
	v_lshrrev_b32_e32 v4, 3, v0
	v_and_b32_e32 v4, 24, v4
	ds_write_b64 v4, v[1:2] offset:32
; %bb.23:
	s_or_b64 exec, exec, s[4:5]
	v_cmp_gt_u32_e32 vcc, 4, v0
	s_waitcnt lgkmcnt(0)
	s_barrier
	s_and_saveexec_b64 s[4:5], vcc
	s_cbranch_execz .LBB153_27
; %bb.24:
	v_lshlrev_b32_e32 v1, 3, v3
	ds_read_b64 v[1:2], v1 offset:32
	v_and_b32_e32 v4, 3, v3
	v_cmp_ne_u32_e32 vcc, 3, v4
	v_addc_co_u32_e32 v3, vcc, 0, v3, vcc
	v_lshlrev_b32_e32 v3, 2, v3
	s_waitcnt lgkmcnt(0)
	ds_bpermute_b32 v6, v3, v1
	ds_bpermute_b32 v5, v3, v2
	s_add_i32 s8, s8, 63
	s_lshr_b32 s10, s8, 6
	v_add_u32_e32 v3, 1, v4
	v_cmp_gt_u32_e32 vcc, s10, v3
	v_mov_b32_e32 v3, v1
	s_and_saveexec_b64 s[8:9], vcc
	s_cbranch_execz .LBB153_26
; %bb.25:
	s_waitcnt lgkmcnt(1)
	v_add_co_u32_e32 v3, vcc, v1, v6
	v_addc_co_u32_e32 v2, vcc, 0, v2, vcc
	v_add_co_u32_e32 v1, vcc, 0, v3
	s_waitcnt lgkmcnt(0)
	v_addc_co_u32_e32 v2, vcc, v5, v2, vcc
.LBB153_26:
	s_or_b64 exec, exec, s[8:9]
	s_waitcnt lgkmcnt(0)
	v_or_b32_e32 v5, 8, v7
	ds_bpermute_b32 v3, v5, v3
	ds_bpermute_b32 v5, v5, v2
	v_add_u32_e32 v4, 2, v4
	s_waitcnt lgkmcnt(1)
	v_add_co_u32_e32 v3, vcc, v1, v3
	v_addc_co_u32_e32 v6, vcc, 0, v2, vcc
	v_add_co_u32_e32 v3, vcc, 0, v3
	s_waitcnt lgkmcnt(0)
	v_addc_co_u32_e32 v5, vcc, v6, v5, vcc
	v_cmp_gt_u32_e32 vcc, s10, v4
	v_cndmask_b32_e32 v2, v2, v5, vcc
	v_cndmask_b32_e32 v1, v1, v3, vcc
.LBB153_27:
	s_or_b64 exec, exec, s[4:5]
.LBB153_28:
	v_cmp_eq_u32_e32 vcc, 0, v0
	s_and_saveexec_b64 s[4:5], vcc
	s_cbranch_execnz .LBB153_30
; %bb.29:
	s_endpgm
.LBB153_30:
	s_mul_i32 s1, s2, s1
	s_mul_hi_u32 s4, s2, s0
	s_add_i32 s1, s4, s1
	s_mul_i32 s3, s3, s0
	s_add_i32 s1, s1, s3
	s_mul_i32 s0, s2, s0
	s_lshl_b64 s[0:1], s[0:1], 3
	s_add_u32 s2, s14, s0
	s_addc_u32 s3, s15, s1
	s_cmp_eq_u64 s[12:13], 0
	v_mov_b32_e32 v0, s17
	s_cselect_b64 vcc, -1, 0
	s_lshl_b64 s[0:1], s[6:7], 3
	v_cndmask_b32_e32 v2, v2, v0, vcc
	v_mov_b32_e32 v0, s16
	s_add_u32 s0, s2, s0
	v_cndmask_b32_e32 v1, v1, v0, vcc
	s_addc_u32 s1, s3, s1
	v_mov_b32_e32 v0, 0
	global_store_dwordx2 v0, v[1:2], s[0:1]
	s_endpgm
	.section	.rodata,"a",@progbits
	.p2align	6, 0x0
	.amdhsa_kernel _ZN7rocprim17ROCPRIM_400000_NS6detail17trampoline_kernelINS0_14default_configENS1_22reduce_config_selectorIlEEZNS1_11reduce_implILb1ES3_PlS7_lN6hipcub16HIPCUB_304000_NS6detail34convert_binary_result_type_wrapperINS9_3SumENS9_22TransformInputIteratorIb7NonZeroIiEPilEElEEEE10hipError_tPvRmT1_T2_T3_mT4_P12ihipStream_tbEUlT_E0_NS1_11comp_targetILNS1_3genE2ELNS1_11target_archE906ELNS1_3gpuE6ELNS1_3repE0EEENS1_30default_config_static_selectorELNS0_4arch9wavefront6targetE1EEEvSM_
		.amdhsa_group_segment_fixed_size 64
		.amdhsa_private_segment_fixed_size 0
		.amdhsa_kernarg_size 64
		.amdhsa_user_sgpr_count 6
		.amdhsa_user_sgpr_private_segment_buffer 1
		.amdhsa_user_sgpr_dispatch_ptr 0
		.amdhsa_user_sgpr_queue_ptr 0
		.amdhsa_user_sgpr_kernarg_segment_ptr 1
		.amdhsa_user_sgpr_dispatch_id 0
		.amdhsa_user_sgpr_flat_scratch_init 0
		.amdhsa_user_sgpr_private_segment_size 0
		.amdhsa_uses_dynamic_stack 0
		.amdhsa_system_sgpr_private_segment_wavefront_offset 0
		.amdhsa_system_sgpr_workgroup_id_x 1
		.amdhsa_system_sgpr_workgroup_id_y 0
		.amdhsa_system_sgpr_workgroup_id_z 0
		.amdhsa_system_sgpr_workgroup_info 0
		.amdhsa_system_vgpr_workitem_id 0
		.amdhsa_next_free_vgpr 11
		.amdhsa_next_free_sgpr 20
		.amdhsa_reserve_vcc 1
		.amdhsa_reserve_flat_scratch 0
		.amdhsa_float_round_mode_32 0
		.amdhsa_float_round_mode_16_64 0
		.amdhsa_float_denorm_mode_32 3
		.amdhsa_float_denorm_mode_16_64 3
		.amdhsa_dx10_clamp 1
		.amdhsa_ieee_mode 1
		.amdhsa_fp16_overflow 0
		.amdhsa_exception_fp_ieee_invalid_op 0
		.amdhsa_exception_fp_denorm_src 0
		.amdhsa_exception_fp_ieee_div_zero 0
		.amdhsa_exception_fp_ieee_overflow 0
		.amdhsa_exception_fp_ieee_underflow 0
		.amdhsa_exception_fp_ieee_inexact 0
		.amdhsa_exception_int_div_zero 0
	.end_amdhsa_kernel
	.section	.text._ZN7rocprim17ROCPRIM_400000_NS6detail17trampoline_kernelINS0_14default_configENS1_22reduce_config_selectorIlEEZNS1_11reduce_implILb1ES3_PlS7_lN6hipcub16HIPCUB_304000_NS6detail34convert_binary_result_type_wrapperINS9_3SumENS9_22TransformInputIteratorIb7NonZeroIiEPilEElEEEE10hipError_tPvRmT1_T2_T3_mT4_P12ihipStream_tbEUlT_E0_NS1_11comp_targetILNS1_3genE2ELNS1_11target_archE906ELNS1_3gpuE6ELNS1_3repE0EEENS1_30default_config_static_selectorELNS0_4arch9wavefront6targetE1EEEvSM_,"axG",@progbits,_ZN7rocprim17ROCPRIM_400000_NS6detail17trampoline_kernelINS0_14default_configENS1_22reduce_config_selectorIlEEZNS1_11reduce_implILb1ES3_PlS7_lN6hipcub16HIPCUB_304000_NS6detail34convert_binary_result_type_wrapperINS9_3SumENS9_22TransformInputIteratorIb7NonZeroIiEPilEElEEEE10hipError_tPvRmT1_T2_T3_mT4_P12ihipStream_tbEUlT_E0_NS1_11comp_targetILNS1_3genE2ELNS1_11target_archE906ELNS1_3gpuE6ELNS1_3repE0EEENS1_30default_config_static_selectorELNS0_4arch9wavefront6targetE1EEEvSM_,comdat
.Lfunc_end153:
	.size	_ZN7rocprim17ROCPRIM_400000_NS6detail17trampoline_kernelINS0_14default_configENS1_22reduce_config_selectorIlEEZNS1_11reduce_implILb1ES3_PlS7_lN6hipcub16HIPCUB_304000_NS6detail34convert_binary_result_type_wrapperINS9_3SumENS9_22TransformInputIteratorIb7NonZeroIiEPilEElEEEE10hipError_tPvRmT1_T2_T3_mT4_P12ihipStream_tbEUlT_E0_NS1_11comp_targetILNS1_3genE2ELNS1_11target_archE906ELNS1_3gpuE6ELNS1_3repE0EEENS1_30default_config_static_selectorELNS0_4arch9wavefront6targetE1EEEvSM_, .Lfunc_end153-_ZN7rocprim17ROCPRIM_400000_NS6detail17trampoline_kernelINS0_14default_configENS1_22reduce_config_selectorIlEEZNS1_11reduce_implILb1ES3_PlS7_lN6hipcub16HIPCUB_304000_NS6detail34convert_binary_result_type_wrapperINS9_3SumENS9_22TransformInputIteratorIb7NonZeroIiEPilEElEEEE10hipError_tPvRmT1_T2_T3_mT4_P12ihipStream_tbEUlT_E0_NS1_11comp_targetILNS1_3genE2ELNS1_11target_archE906ELNS1_3gpuE6ELNS1_3repE0EEENS1_30default_config_static_selectorELNS0_4arch9wavefront6targetE1EEEvSM_
                                        ; -- End function
	.set _ZN7rocprim17ROCPRIM_400000_NS6detail17trampoline_kernelINS0_14default_configENS1_22reduce_config_selectorIlEEZNS1_11reduce_implILb1ES3_PlS7_lN6hipcub16HIPCUB_304000_NS6detail34convert_binary_result_type_wrapperINS9_3SumENS9_22TransformInputIteratorIb7NonZeroIiEPilEElEEEE10hipError_tPvRmT1_T2_T3_mT4_P12ihipStream_tbEUlT_E0_NS1_11comp_targetILNS1_3genE2ELNS1_11target_archE906ELNS1_3gpuE6ELNS1_3repE0EEENS1_30default_config_static_selectorELNS0_4arch9wavefront6targetE1EEEvSM_.num_vgpr, 11
	.set _ZN7rocprim17ROCPRIM_400000_NS6detail17trampoline_kernelINS0_14default_configENS1_22reduce_config_selectorIlEEZNS1_11reduce_implILb1ES3_PlS7_lN6hipcub16HIPCUB_304000_NS6detail34convert_binary_result_type_wrapperINS9_3SumENS9_22TransformInputIteratorIb7NonZeroIiEPilEElEEEE10hipError_tPvRmT1_T2_T3_mT4_P12ihipStream_tbEUlT_E0_NS1_11comp_targetILNS1_3genE2ELNS1_11target_archE906ELNS1_3gpuE6ELNS1_3repE0EEENS1_30default_config_static_selectorELNS0_4arch9wavefront6targetE1EEEvSM_.num_agpr, 0
	.set _ZN7rocprim17ROCPRIM_400000_NS6detail17trampoline_kernelINS0_14default_configENS1_22reduce_config_selectorIlEEZNS1_11reduce_implILb1ES3_PlS7_lN6hipcub16HIPCUB_304000_NS6detail34convert_binary_result_type_wrapperINS9_3SumENS9_22TransformInputIteratorIb7NonZeroIiEPilEElEEEE10hipError_tPvRmT1_T2_T3_mT4_P12ihipStream_tbEUlT_E0_NS1_11comp_targetILNS1_3genE2ELNS1_11target_archE906ELNS1_3gpuE6ELNS1_3repE0EEENS1_30default_config_static_selectorELNS0_4arch9wavefront6targetE1EEEvSM_.numbered_sgpr, 20
	.set _ZN7rocprim17ROCPRIM_400000_NS6detail17trampoline_kernelINS0_14default_configENS1_22reduce_config_selectorIlEEZNS1_11reduce_implILb1ES3_PlS7_lN6hipcub16HIPCUB_304000_NS6detail34convert_binary_result_type_wrapperINS9_3SumENS9_22TransformInputIteratorIb7NonZeroIiEPilEElEEEE10hipError_tPvRmT1_T2_T3_mT4_P12ihipStream_tbEUlT_E0_NS1_11comp_targetILNS1_3genE2ELNS1_11target_archE906ELNS1_3gpuE6ELNS1_3repE0EEENS1_30default_config_static_selectorELNS0_4arch9wavefront6targetE1EEEvSM_.num_named_barrier, 0
	.set _ZN7rocprim17ROCPRIM_400000_NS6detail17trampoline_kernelINS0_14default_configENS1_22reduce_config_selectorIlEEZNS1_11reduce_implILb1ES3_PlS7_lN6hipcub16HIPCUB_304000_NS6detail34convert_binary_result_type_wrapperINS9_3SumENS9_22TransformInputIteratorIb7NonZeroIiEPilEElEEEE10hipError_tPvRmT1_T2_T3_mT4_P12ihipStream_tbEUlT_E0_NS1_11comp_targetILNS1_3genE2ELNS1_11target_archE906ELNS1_3gpuE6ELNS1_3repE0EEENS1_30default_config_static_selectorELNS0_4arch9wavefront6targetE1EEEvSM_.private_seg_size, 0
	.set _ZN7rocprim17ROCPRIM_400000_NS6detail17trampoline_kernelINS0_14default_configENS1_22reduce_config_selectorIlEEZNS1_11reduce_implILb1ES3_PlS7_lN6hipcub16HIPCUB_304000_NS6detail34convert_binary_result_type_wrapperINS9_3SumENS9_22TransformInputIteratorIb7NonZeroIiEPilEElEEEE10hipError_tPvRmT1_T2_T3_mT4_P12ihipStream_tbEUlT_E0_NS1_11comp_targetILNS1_3genE2ELNS1_11target_archE906ELNS1_3gpuE6ELNS1_3repE0EEENS1_30default_config_static_selectorELNS0_4arch9wavefront6targetE1EEEvSM_.uses_vcc, 1
	.set _ZN7rocprim17ROCPRIM_400000_NS6detail17trampoline_kernelINS0_14default_configENS1_22reduce_config_selectorIlEEZNS1_11reduce_implILb1ES3_PlS7_lN6hipcub16HIPCUB_304000_NS6detail34convert_binary_result_type_wrapperINS9_3SumENS9_22TransformInputIteratorIb7NonZeroIiEPilEElEEEE10hipError_tPvRmT1_T2_T3_mT4_P12ihipStream_tbEUlT_E0_NS1_11comp_targetILNS1_3genE2ELNS1_11target_archE906ELNS1_3gpuE6ELNS1_3repE0EEENS1_30default_config_static_selectorELNS0_4arch9wavefront6targetE1EEEvSM_.uses_flat_scratch, 0
	.set _ZN7rocprim17ROCPRIM_400000_NS6detail17trampoline_kernelINS0_14default_configENS1_22reduce_config_selectorIlEEZNS1_11reduce_implILb1ES3_PlS7_lN6hipcub16HIPCUB_304000_NS6detail34convert_binary_result_type_wrapperINS9_3SumENS9_22TransformInputIteratorIb7NonZeroIiEPilEElEEEE10hipError_tPvRmT1_T2_T3_mT4_P12ihipStream_tbEUlT_E0_NS1_11comp_targetILNS1_3genE2ELNS1_11target_archE906ELNS1_3gpuE6ELNS1_3repE0EEENS1_30default_config_static_selectorELNS0_4arch9wavefront6targetE1EEEvSM_.has_dyn_sized_stack, 0
	.set _ZN7rocprim17ROCPRIM_400000_NS6detail17trampoline_kernelINS0_14default_configENS1_22reduce_config_selectorIlEEZNS1_11reduce_implILb1ES3_PlS7_lN6hipcub16HIPCUB_304000_NS6detail34convert_binary_result_type_wrapperINS9_3SumENS9_22TransformInputIteratorIb7NonZeroIiEPilEElEEEE10hipError_tPvRmT1_T2_T3_mT4_P12ihipStream_tbEUlT_E0_NS1_11comp_targetILNS1_3genE2ELNS1_11target_archE906ELNS1_3gpuE6ELNS1_3repE0EEENS1_30default_config_static_selectorELNS0_4arch9wavefront6targetE1EEEvSM_.has_recursion, 0
	.set _ZN7rocprim17ROCPRIM_400000_NS6detail17trampoline_kernelINS0_14default_configENS1_22reduce_config_selectorIlEEZNS1_11reduce_implILb1ES3_PlS7_lN6hipcub16HIPCUB_304000_NS6detail34convert_binary_result_type_wrapperINS9_3SumENS9_22TransformInputIteratorIb7NonZeroIiEPilEElEEEE10hipError_tPvRmT1_T2_T3_mT4_P12ihipStream_tbEUlT_E0_NS1_11comp_targetILNS1_3genE2ELNS1_11target_archE906ELNS1_3gpuE6ELNS1_3repE0EEENS1_30default_config_static_selectorELNS0_4arch9wavefront6targetE1EEEvSM_.has_indirect_call, 0
	.section	.AMDGPU.csdata,"",@progbits
; Kernel info:
; codeLenInByte = 1496
; TotalNumSgprs: 24
; NumVgprs: 11
; ScratchSize: 0
; MemoryBound: 0
; FloatMode: 240
; IeeeMode: 1
; LDSByteSize: 64 bytes/workgroup (compile time only)
; SGPRBlocks: 2
; VGPRBlocks: 2
; NumSGPRsForWavesPerEU: 24
; NumVGPRsForWavesPerEU: 11
; Occupancy: 10
; WaveLimiterHint : 1
; COMPUTE_PGM_RSRC2:SCRATCH_EN: 0
; COMPUTE_PGM_RSRC2:USER_SGPR: 6
; COMPUTE_PGM_RSRC2:TRAP_HANDLER: 0
; COMPUTE_PGM_RSRC2:TGID_X_EN: 1
; COMPUTE_PGM_RSRC2:TGID_Y_EN: 0
; COMPUTE_PGM_RSRC2:TGID_Z_EN: 0
; COMPUTE_PGM_RSRC2:TIDIG_COMP_CNT: 0
	.section	.text._ZN7rocprim17ROCPRIM_400000_NS6detail17trampoline_kernelINS0_14default_configENS1_22reduce_config_selectorIlEEZNS1_11reduce_implILb1ES3_PlS7_lN6hipcub16HIPCUB_304000_NS6detail34convert_binary_result_type_wrapperINS9_3SumENS9_22TransformInputIteratorIb7NonZeroIiEPilEElEEEE10hipError_tPvRmT1_T2_T3_mT4_P12ihipStream_tbEUlT_E0_NS1_11comp_targetILNS1_3genE10ELNS1_11target_archE1201ELNS1_3gpuE5ELNS1_3repE0EEENS1_30default_config_static_selectorELNS0_4arch9wavefront6targetE1EEEvSM_,"axG",@progbits,_ZN7rocprim17ROCPRIM_400000_NS6detail17trampoline_kernelINS0_14default_configENS1_22reduce_config_selectorIlEEZNS1_11reduce_implILb1ES3_PlS7_lN6hipcub16HIPCUB_304000_NS6detail34convert_binary_result_type_wrapperINS9_3SumENS9_22TransformInputIteratorIb7NonZeroIiEPilEElEEEE10hipError_tPvRmT1_T2_T3_mT4_P12ihipStream_tbEUlT_E0_NS1_11comp_targetILNS1_3genE10ELNS1_11target_archE1201ELNS1_3gpuE5ELNS1_3repE0EEENS1_30default_config_static_selectorELNS0_4arch9wavefront6targetE1EEEvSM_,comdat
	.protected	_ZN7rocprim17ROCPRIM_400000_NS6detail17trampoline_kernelINS0_14default_configENS1_22reduce_config_selectorIlEEZNS1_11reduce_implILb1ES3_PlS7_lN6hipcub16HIPCUB_304000_NS6detail34convert_binary_result_type_wrapperINS9_3SumENS9_22TransformInputIteratorIb7NonZeroIiEPilEElEEEE10hipError_tPvRmT1_T2_T3_mT4_P12ihipStream_tbEUlT_E0_NS1_11comp_targetILNS1_3genE10ELNS1_11target_archE1201ELNS1_3gpuE5ELNS1_3repE0EEENS1_30default_config_static_selectorELNS0_4arch9wavefront6targetE1EEEvSM_ ; -- Begin function _ZN7rocprim17ROCPRIM_400000_NS6detail17trampoline_kernelINS0_14default_configENS1_22reduce_config_selectorIlEEZNS1_11reduce_implILb1ES3_PlS7_lN6hipcub16HIPCUB_304000_NS6detail34convert_binary_result_type_wrapperINS9_3SumENS9_22TransformInputIteratorIb7NonZeroIiEPilEElEEEE10hipError_tPvRmT1_T2_T3_mT4_P12ihipStream_tbEUlT_E0_NS1_11comp_targetILNS1_3genE10ELNS1_11target_archE1201ELNS1_3gpuE5ELNS1_3repE0EEENS1_30default_config_static_selectorELNS0_4arch9wavefront6targetE1EEEvSM_
	.globl	_ZN7rocprim17ROCPRIM_400000_NS6detail17trampoline_kernelINS0_14default_configENS1_22reduce_config_selectorIlEEZNS1_11reduce_implILb1ES3_PlS7_lN6hipcub16HIPCUB_304000_NS6detail34convert_binary_result_type_wrapperINS9_3SumENS9_22TransformInputIteratorIb7NonZeroIiEPilEElEEEE10hipError_tPvRmT1_T2_T3_mT4_P12ihipStream_tbEUlT_E0_NS1_11comp_targetILNS1_3genE10ELNS1_11target_archE1201ELNS1_3gpuE5ELNS1_3repE0EEENS1_30default_config_static_selectorELNS0_4arch9wavefront6targetE1EEEvSM_
	.p2align	8
	.type	_ZN7rocprim17ROCPRIM_400000_NS6detail17trampoline_kernelINS0_14default_configENS1_22reduce_config_selectorIlEEZNS1_11reduce_implILb1ES3_PlS7_lN6hipcub16HIPCUB_304000_NS6detail34convert_binary_result_type_wrapperINS9_3SumENS9_22TransformInputIteratorIb7NonZeroIiEPilEElEEEE10hipError_tPvRmT1_T2_T3_mT4_P12ihipStream_tbEUlT_E0_NS1_11comp_targetILNS1_3genE10ELNS1_11target_archE1201ELNS1_3gpuE5ELNS1_3repE0EEENS1_30default_config_static_selectorELNS0_4arch9wavefront6targetE1EEEvSM_,@function
_ZN7rocprim17ROCPRIM_400000_NS6detail17trampoline_kernelINS0_14default_configENS1_22reduce_config_selectorIlEEZNS1_11reduce_implILb1ES3_PlS7_lN6hipcub16HIPCUB_304000_NS6detail34convert_binary_result_type_wrapperINS9_3SumENS9_22TransformInputIteratorIb7NonZeroIiEPilEElEEEE10hipError_tPvRmT1_T2_T3_mT4_P12ihipStream_tbEUlT_E0_NS1_11comp_targetILNS1_3genE10ELNS1_11target_archE1201ELNS1_3gpuE5ELNS1_3repE0EEENS1_30default_config_static_selectorELNS0_4arch9wavefront6targetE1EEEvSM_: ; @_ZN7rocprim17ROCPRIM_400000_NS6detail17trampoline_kernelINS0_14default_configENS1_22reduce_config_selectorIlEEZNS1_11reduce_implILb1ES3_PlS7_lN6hipcub16HIPCUB_304000_NS6detail34convert_binary_result_type_wrapperINS9_3SumENS9_22TransformInputIteratorIb7NonZeroIiEPilEElEEEE10hipError_tPvRmT1_T2_T3_mT4_P12ihipStream_tbEUlT_E0_NS1_11comp_targetILNS1_3genE10ELNS1_11target_archE1201ELNS1_3gpuE5ELNS1_3repE0EEENS1_30default_config_static_selectorELNS0_4arch9wavefront6targetE1EEEvSM_
; %bb.0:
	.section	.rodata,"a",@progbits
	.p2align	6, 0x0
	.amdhsa_kernel _ZN7rocprim17ROCPRIM_400000_NS6detail17trampoline_kernelINS0_14default_configENS1_22reduce_config_selectorIlEEZNS1_11reduce_implILb1ES3_PlS7_lN6hipcub16HIPCUB_304000_NS6detail34convert_binary_result_type_wrapperINS9_3SumENS9_22TransformInputIteratorIb7NonZeroIiEPilEElEEEE10hipError_tPvRmT1_T2_T3_mT4_P12ihipStream_tbEUlT_E0_NS1_11comp_targetILNS1_3genE10ELNS1_11target_archE1201ELNS1_3gpuE5ELNS1_3repE0EEENS1_30default_config_static_selectorELNS0_4arch9wavefront6targetE1EEEvSM_
		.amdhsa_group_segment_fixed_size 0
		.amdhsa_private_segment_fixed_size 0
		.amdhsa_kernarg_size 64
		.amdhsa_user_sgpr_count 6
		.amdhsa_user_sgpr_private_segment_buffer 1
		.amdhsa_user_sgpr_dispatch_ptr 0
		.amdhsa_user_sgpr_queue_ptr 0
		.amdhsa_user_sgpr_kernarg_segment_ptr 1
		.amdhsa_user_sgpr_dispatch_id 0
		.amdhsa_user_sgpr_flat_scratch_init 0
		.amdhsa_user_sgpr_private_segment_size 0
		.amdhsa_uses_dynamic_stack 0
		.amdhsa_system_sgpr_private_segment_wavefront_offset 0
		.amdhsa_system_sgpr_workgroup_id_x 1
		.amdhsa_system_sgpr_workgroup_id_y 0
		.amdhsa_system_sgpr_workgroup_id_z 0
		.amdhsa_system_sgpr_workgroup_info 0
		.amdhsa_system_vgpr_workitem_id 0
		.amdhsa_next_free_vgpr 1
		.amdhsa_next_free_sgpr 0
		.amdhsa_reserve_vcc 0
		.amdhsa_reserve_flat_scratch 0
		.amdhsa_float_round_mode_32 0
		.amdhsa_float_round_mode_16_64 0
		.amdhsa_float_denorm_mode_32 3
		.amdhsa_float_denorm_mode_16_64 3
		.amdhsa_dx10_clamp 1
		.amdhsa_ieee_mode 1
		.amdhsa_fp16_overflow 0
		.amdhsa_exception_fp_ieee_invalid_op 0
		.amdhsa_exception_fp_denorm_src 0
		.amdhsa_exception_fp_ieee_div_zero 0
		.amdhsa_exception_fp_ieee_overflow 0
		.amdhsa_exception_fp_ieee_underflow 0
		.amdhsa_exception_fp_ieee_inexact 0
		.amdhsa_exception_int_div_zero 0
	.end_amdhsa_kernel
	.section	.text._ZN7rocprim17ROCPRIM_400000_NS6detail17trampoline_kernelINS0_14default_configENS1_22reduce_config_selectorIlEEZNS1_11reduce_implILb1ES3_PlS7_lN6hipcub16HIPCUB_304000_NS6detail34convert_binary_result_type_wrapperINS9_3SumENS9_22TransformInputIteratorIb7NonZeroIiEPilEElEEEE10hipError_tPvRmT1_T2_T3_mT4_P12ihipStream_tbEUlT_E0_NS1_11comp_targetILNS1_3genE10ELNS1_11target_archE1201ELNS1_3gpuE5ELNS1_3repE0EEENS1_30default_config_static_selectorELNS0_4arch9wavefront6targetE1EEEvSM_,"axG",@progbits,_ZN7rocprim17ROCPRIM_400000_NS6detail17trampoline_kernelINS0_14default_configENS1_22reduce_config_selectorIlEEZNS1_11reduce_implILb1ES3_PlS7_lN6hipcub16HIPCUB_304000_NS6detail34convert_binary_result_type_wrapperINS9_3SumENS9_22TransformInputIteratorIb7NonZeroIiEPilEElEEEE10hipError_tPvRmT1_T2_T3_mT4_P12ihipStream_tbEUlT_E0_NS1_11comp_targetILNS1_3genE10ELNS1_11target_archE1201ELNS1_3gpuE5ELNS1_3repE0EEENS1_30default_config_static_selectorELNS0_4arch9wavefront6targetE1EEEvSM_,comdat
.Lfunc_end154:
	.size	_ZN7rocprim17ROCPRIM_400000_NS6detail17trampoline_kernelINS0_14default_configENS1_22reduce_config_selectorIlEEZNS1_11reduce_implILb1ES3_PlS7_lN6hipcub16HIPCUB_304000_NS6detail34convert_binary_result_type_wrapperINS9_3SumENS9_22TransformInputIteratorIb7NonZeroIiEPilEElEEEE10hipError_tPvRmT1_T2_T3_mT4_P12ihipStream_tbEUlT_E0_NS1_11comp_targetILNS1_3genE10ELNS1_11target_archE1201ELNS1_3gpuE5ELNS1_3repE0EEENS1_30default_config_static_selectorELNS0_4arch9wavefront6targetE1EEEvSM_, .Lfunc_end154-_ZN7rocprim17ROCPRIM_400000_NS6detail17trampoline_kernelINS0_14default_configENS1_22reduce_config_selectorIlEEZNS1_11reduce_implILb1ES3_PlS7_lN6hipcub16HIPCUB_304000_NS6detail34convert_binary_result_type_wrapperINS9_3SumENS9_22TransformInputIteratorIb7NonZeroIiEPilEElEEEE10hipError_tPvRmT1_T2_T3_mT4_P12ihipStream_tbEUlT_E0_NS1_11comp_targetILNS1_3genE10ELNS1_11target_archE1201ELNS1_3gpuE5ELNS1_3repE0EEENS1_30default_config_static_selectorELNS0_4arch9wavefront6targetE1EEEvSM_
                                        ; -- End function
	.set _ZN7rocprim17ROCPRIM_400000_NS6detail17trampoline_kernelINS0_14default_configENS1_22reduce_config_selectorIlEEZNS1_11reduce_implILb1ES3_PlS7_lN6hipcub16HIPCUB_304000_NS6detail34convert_binary_result_type_wrapperINS9_3SumENS9_22TransformInputIteratorIb7NonZeroIiEPilEElEEEE10hipError_tPvRmT1_T2_T3_mT4_P12ihipStream_tbEUlT_E0_NS1_11comp_targetILNS1_3genE10ELNS1_11target_archE1201ELNS1_3gpuE5ELNS1_3repE0EEENS1_30default_config_static_selectorELNS0_4arch9wavefront6targetE1EEEvSM_.num_vgpr, 0
	.set _ZN7rocprim17ROCPRIM_400000_NS6detail17trampoline_kernelINS0_14default_configENS1_22reduce_config_selectorIlEEZNS1_11reduce_implILb1ES3_PlS7_lN6hipcub16HIPCUB_304000_NS6detail34convert_binary_result_type_wrapperINS9_3SumENS9_22TransformInputIteratorIb7NonZeroIiEPilEElEEEE10hipError_tPvRmT1_T2_T3_mT4_P12ihipStream_tbEUlT_E0_NS1_11comp_targetILNS1_3genE10ELNS1_11target_archE1201ELNS1_3gpuE5ELNS1_3repE0EEENS1_30default_config_static_selectorELNS0_4arch9wavefront6targetE1EEEvSM_.num_agpr, 0
	.set _ZN7rocprim17ROCPRIM_400000_NS6detail17trampoline_kernelINS0_14default_configENS1_22reduce_config_selectorIlEEZNS1_11reduce_implILb1ES3_PlS7_lN6hipcub16HIPCUB_304000_NS6detail34convert_binary_result_type_wrapperINS9_3SumENS9_22TransformInputIteratorIb7NonZeroIiEPilEElEEEE10hipError_tPvRmT1_T2_T3_mT4_P12ihipStream_tbEUlT_E0_NS1_11comp_targetILNS1_3genE10ELNS1_11target_archE1201ELNS1_3gpuE5ELNS1_3repE0EEENS1_30default_config_static_selectorELNS0_4arch9wavefront6targetE1EEEvSM_.numbered_sgpr, 0
	.set _ZN7rocprim17ROCPRIM_400000_NS6detail17trampoline_kernelINS0_14default_configENS1_22reduce_config_selectorIlEEZNS1_11reduce_implILb1ES3_PlS7_lN6hipcub16HIPCUB_304000_NS6detail34convert_binary_result_type_wrapperINS9_3SumENS9_22TransformInputIteratorIb7NonZeroIiEPilEElEEEE10hipError_tPvRmT1_T2_T3_mT4_P12ihipStream_tbEUlT_E0_NS1_11comp_targetILNS1_3genE10ELNS1_11target_archE1201ELNS1_3gpuE5ELNS1_3repE0EEENS1_30default_config_static_selectorELNS0_4arch9wavefront6targetE1EEEvSM_.num_named_barrier, 0
	.set _ZN7rocprim17ROCPRIM_400000_NS6detail17trampoline_kernelINS0_14default_configENS1_22reduce_config_selectorIlEEZNS1_11reduce_implILb1ES3_PlS7_lN6hipcub16HIPCUB_304000_NS6detail34convert_binary_result_type_wrapperINS9_3SumENS9_22TransformInputIteratorIb7NonZeroIiEPilEElEEEE10hipError_tPvRmT1_T2_T3_mT4_P12ihipStream_tbEUlT_E0_NS1_11comp_targetILNS1_3genE10ELNS1_11target_archE1201ELNS1_3gpuE5ELNS1_3repE0EEENS1_30default_config_static_selectorELNS0_4arch9wavefront6targetE1EEEvSM_.private_seg_size, 0
	.set _ZN7rocprim17ROCPRIM_400000_NS6detail17trampoline_kernelINS0_14default_configENS1_22reduce_config_selectorIlEEZNS1_11reduce_implILb1ES3_PlS7_lN6hipcub16HIPCUB_304000_NS6detail34convert_binary_result_type_wrapperINS9_3SumENS9_22TransformInputIteratorIb7NonZeroIiEPilEElEEEE10hipError_tPvRmT1_T2_T3_mT4_P12ihipStream_tbEUlT_E0_NS1_11comp_targetILNS1_3genE10ELNS1_11target_archE1201ELNS1_3gpuE5ELNS1_3repE0EEENS1_30default_config_static_selectorELNS0_4arch9wavefront6targetE1EEEvSM_.uses_vcc, 0
	.set _ZN7rocprim17ROCPRIM_400000_NS6detail17trampoline_kernelINS0_14default_configENS1_22reduce_config_selectorIlEEZNS1_11reduce_implILb1ES3_PlS7_lN6hipcub16HIPCUB_304000_NS6detail34convert_binary_result_type_wrapperINS9_3SumENS9_22TransformInputIteratorIb7NonZeroIiEPilEElEEEE10hipError_tPvRmT1_T2_T3_mT4_P12ihipStream_tbEUlT_E0_NS1_11comp_targetILNS1_3genE10ELNS1_11target_archE1201ELNS1_3gpuE5ELNS1_3repE0EEENS1_30default_config_static_selectorELNS0_4arch9wavefront6targetE1EEEvSM_.uses_flat_scratch, 0
	.set _ZN7rocprim17ROCPRIM_400000_NS6detail17trampoline_kernelINS0_14default_configENS1_22reduce_config_selectorIlEEZNS1_11reduce_implILb1ES3_PlS7_lN6hipcub16HIPCUB_304000_NS6detail34convert_binary_result_type_wrapperINS9_3SumENS9_22TransformInputIteratorIb7NonZeroIiEPilEElEEEE10hipError_tPvRmT1_T2_T3_mT4_P12ihipStream_tbEUlT_E0_NS1_11comp_targetILNS1_3genE10ELNS1_11target_archE1201ELNS1_3gpuE5ELNS1_3repE0EEENS1_30default_config_static_selectorELNS0_4arch9wavefront6targetE1EEEvSM_.has_dyn_sized_stack, 0
	.set _ZN7rocprim17ROCPRIM_400000_NS6detail17trampoline_kernelINS0_14default_configENS1_22reduce_config_selectorIlEEZNS1_11reduce_implILb1ES3_PlS7_lN6hipcub16HIPCUB_304000_NS6detail34convert_binary_result_type_wrapperINS9_3SumENS9_22TransformInputIteratorIb7NonZeroIiEPilEElEEEE10hipError_tPvRmT1_T2_T3_mT4_P12ihipStream_tbEUlT_E0_NS1_11comp_targetILNS1_3genE10ELNS1_11target_archE1201ELNS1_3gpuE5ELNS1_3repE0EEENS1_30default_config_static_selectorELNS0_4arch9wavefront6targetE1EEEvSM_.has_recursion, 0
	.set _ZN7rocprim17ROCPRIM_400000_NS6detail17trampoline_kernelINS0_14default_configENS1_22reduce_config_selectorIlEEZNS1_11reduce_implILb1ES3_PlS7_lN6hipcub16HIPCUB_304000_NS6detail34convert_binary_result_type_wrapperINS9_3SumENS9_22TransformInputIteratorIb7NonZeroIiEPilEElEEEE10hipError_tPvRmT1_T2_T3_mT4_P12ihipStream_tbEUlT_E0_NS1_11comp_targetILNS1_3genE10ELNS1_11target_archE1201ELNS1_3gpuE5ELNS1_3repE0EEENS1_30default_config_static_selectorELNS0_4arch9wavefront6targetE1EEEvSM_.has_indirect_call, 0
	.section	.AMDGPU.csdata,"",@progbits
; Kernel info:
; codeLenInByte = 0
; TotalNumSgprs: 4
; NumVgprs: 0
; ScratchSize: 0
; MemoryBound: 0
; FloatMode: 240
; IeeeMode: 1
; LDSByteSize: 0 bytes/workgroup (compile time only)
; SGPRBlocks: 0
; VGPRBlocks: 0
; NumSGPRsForWavesPerEU: 4
; NumVGPRsForWavesPerEU: 1
; Occupancy: 10
; WaveLimiterHint : 0
; COMPUTE_PGM_RSRC2:SCRATCH_EN: 0
; COMPUTE_PGM_RSRC2:USER_SGPR: 6
; COMPUTE_PGM_RSRC2:TRAP_HANDLER: 0
; COMPUTE_PGM_RSRC2:TGID_X_EN: 1
; COMPUTE_PGM_RSRC2:TGID_Y_EN: 0
; COMPUTE_PGM_RSRC2:TGID_Z_EN: 0
; COMPUTE_PGM_RSRC2:TIDIG_COMP_CNT: 0
	.section	.text._ZN7rocprim17ROCPRIM_400000_NS6detail17trampoline_kernelINS0_14default_configENS1_22reduce_config_selectorIlEEZNS1_11reduce_implILb1ES3_PlS7_lN6hipcub16HIPCUB_304000_NS6detail34convert_binary_result_type_wrapperINS9_3SumENS9_22TransformInputIteratorIb7NonZeroIiEPilEElEEEE10hipError_tPvRmT1_T2_T3_mT4_P12ihipStream_tbEUlT_E0_NS1_11comp_targetILNS1_3genE10ELNS1_11target_archE1200ELNS1_3gpuE4ELNS1_3repE0EEENS1_30default_config_static_selectorELNS0_4arch9wavefront6targetE1EEEvSM_,"axG",@progbits,_ZN7rocprim17ROCPRIM_400000_NS6detail17trampoline_kernelINS0_14default_configENS1_22reduce_config_selectorIlEEZNS1_11reduce_implILb1ES3_PlS7_lN6hipcub16HIPCUB_304000_NS6detail34convert_binary_result_type_wrapperINS9_3SumENS9_22TransformInputIteratorIb7NonZeroIiEPilEElEEEE10hipError_tPvRmT1_T2_T3_mT4_P12ihipStream_tbEUlT_E0_NS1_11comp_targetILNS1_3genE10ELNS1_11target_archE1200ELNS1_3gpuE4ELNS1_3repE0EEENS1_30default_config_static_selectorELNS0_4arch9wavefront6targetE1EEEvSM_,comdat
	.protected	_ZN7rocprim17ROCPRIM_400000_NS6detail17trampoline_kernelINS0_14default_configENS1_22reduce_config_selectorIlEEZNS1_11reduce_implILb1ES3_PlS7_lN6hipcub16HIPCUB_304000_NS6detail34convert_binary_result_type_wrapperINS9_3SumENS9_22TransformInputIteratorIb7NonZeroIiEPilEElEEEE10hipError_tPvRmT1_T2_T3_mT4_P12ihipStream_tbEUlT_E0_NS1_11comp_targetILNS1_3genE10ELNS1_11target_archE1200ELNS1_3gpuE4ELNS1_3repE0EEENS1_30default_config_static_selectorELNS0_4arch9wavefront6targetE1EEEvSM_ ; -- Begin function _ZN7rocprim17ROCPRIM_400000_NS6detail17trampoline_kernelINS0_14default_configENS1_22reduce_config_selectorIlEEZNS1_11reduce_implILb1ES3_PlS7_lN6hipcub16HIPCUB_304000_NS6detail34convert_binary_result_type_wrapperINS9_3SumENS9_22TransformInputIteratorIb7NonZeroIiEPilEElEEEE10hipError_tPvRmT1_T2_T3_mT4_P12ihipStream_tbEUlT_E0_NS1_11comp_targetILNS1_3genE10ELNS1_11target_archE1200ELNS1_3gpuE4ELNS1_3repE0EEENS1_30default_config_static_selectorELNS0_4arch9wavefront6targetE1EEEvSM_
	.globl	_ZN7rocprim17ROCPRIM_400000_NS6detail17trampoline_kernelINS0_14default_configENS1_22reduce_config_selectorIlEEZNS1_11reduce_implILb1ES3_PlS7_lN6hipcub16HIPCUB_304000_NS6detail34convert_binary_result_type_wrapperINS9_3SumENS9_22TransformInputIteratorIb7NonZeroIiEPilEElEEEE10hipError_tPvRmT1_T2_T3_mT4_P12ihipStream_tbEUlT_E0_NS1_11comp_targetILNS1_3genE10ELNS1_11target_archE1200ELNS1_3gpuE4ELNS1_3repE0EEENS1_30default_config_static_selectorELNS0_4arch9wavefront6targetE1EEEvSM_
	.p2align	8
	.type	_ZN7rocprim17ROCPRIM_400000_NS6detail17trampoline_kernelINS0_14default_configENS1_22reduce_config_selectorIlEEZNS1_11reduce_implILb1ES3_PlS7_lN6hipcub16HIPCUB_304000_NS6detail34convert_binary_result_type_wrapperINS9_3SumENS9_22TransformInputIteratorIb7NonZeroIiEPilEElEEEE10hipError_tPvRmT1_T2_T3_mT4_P12ihipStream_tbEUlT_E0_NS1_11comp_targetILNS1_3genE10ELNS1_11target_archE1200ELNS1_3gpuE4ELNS1_3repE0EEENS1_30default_config_static_selectorELNS0_4arch9wavefront6targetE1EEEvSM_,@function
_ZN7rocprim17ROCPRIM_400000_NS6detail17trampoline_kernelINS0_14default_configENS1_22reduce_config_selectorIlEEZNS1_11reduce_implILb1ES3_PlS7_lN6hipcub16HIPCUB_304000_NS6detail34convert_binary_result_type_wrapperINS9_3SumENS9_22TransformInputIteratorIb7NonZeroIiEPilEElEEEE10hipError_tPvRmT1_T2_T3_mT4_P12ihipStream_tbEUlT_E0_NS1_11comp_targetILNS1_3genE10ELNS1_11target_archE1200ELNS1_3gpuE4ELNS1_3repE0EEENS1_30default_config_static_selectorELNS0_4arch9wavefront6targetE1EEEvSM_: ; @_ZN7rocprim17ROCPRIM_400000_NS6detail17trampoline_kernelINS0_14default_configENS1_22reduce_config_selectorIlEEZNS1_11reduce_implILb1ES3_PlS7_lN6hipcub16HIPCUB_304000_NS6detail34convert_binary_result_type_wrapperINS9_3SumENS9_22TransformInputIteratorIb7NonZeroIiEPilEElEEEE10hipError_tPvRmT1_T2_T3_mT4_P12ihipStream_tbEUlT_E0_NS1_11comp_targetILNS1_3genE10ELNS1_11target_archE1200ELNS1_3gpuE4ELNS1_3repE0EEENS1_30default_config_static_selectorELNS0_4arch9wavefront6targetE1EEEvSM_
; %bb.0:
	.section	.rodata,"a",@progbits
	.p2align	6, 0x0
	.amdhsa_kernel _ZN7rocprim17ROCPRIM_400000_NS6detail17trampoline_kernelINS0_14default_configENS1_22reduce_config_selectorIlEEZNS1_11reduce_implILb1ES3_PlS7_lN6hipcub16HIPCUB_304000_NS6detail34convert_binary_result_type_wrapperINS9_3SumENS9_22TransformInputIteratorIb7NonZeroIiEPilEElEEEE10hipError_tPvRmT1_T2_T3_mT4_P12ihipStream_tbEUlT_E0_NS1_11comp_targetILNS1_3genE10ELNS1_11target_archE1200ELNS1_3gpuE4ELNS1_3repE0EEENS1_30default_config_static_selectorELNS0_4arch9wavefront6targetE1EEEvSM_
		.amdhsa_group_segment_fixed_size 0
		.amdhsa_private_segment_fixed_size 0
		.amdhsa_kernarg_size 64
		.amdhsa_user_sgpr_count 6
		.amdhsa_user_sgpr_private_segment_buffer 1
		.amdhsa_user_sgpr_dispatch_ptr 0
		.amdhsa_user_sgpr_queue_ptr 0
		.amdhsa_user_sgpr_kernarg_segment_ptr 1
		.amdhsa_user_sgpr_dispatch_id 0
		.amdhsa_user_sgpr_flat_scratch_init 0
		.amdhsa_user_sgpr_private_segment_size 0
		.amdhsa_uses_dynamic_stack 0
		.amdhsa_system_sgpr_private_segment_wavefront_offset 0
		.amdhsa_system_sgpr_workgroup_id_x 1
		.amdhsa_system_sgpr_workgroup_id_y 0
		.amdhsa_system_sgpr_workgroup_id_z 0
		.amdhsa_system_sgpr_workgroup_info 0
		.amdhsa_system_vgpr_workitem_id 0
		.amdhsa_next_free_vgpr 1
		.amdhsa_next_free_sgpr 0
		.amdhsa_reserve_vcc 0
		.amdhsa_reserve_flat_scratch 0
		.amdhsa_float_round_mode_32 0
		.amdhsa_float_round_mode_16_64 0
		.amdhsa_float_denorm_mode_32 3
		.amdhsa_float_denorm_mode_16_64 3
		.amdhsa_dx10_clamp 1
		.amdhsa_ieee_mode 1
		.amdhsa_fp16_overflow 0
		.amdhsa_exception_fp_ieee_invalid_op 0
		.amdhsa_exception_fp_denorm_src 0
		.amdhsa_exception_fp_ieee_div_zero 0
		.amdhsa_exception_fp_ieee_overflow 0
		.amdhsa_exception_fp_ieee_underflow 0
		.amdhsa_exception_fp_ieee_inexact 0
		.amdhsa_exception_int_div_zero 0
	.end_amdhsa_kernel
	.section	.text._ZN7rocprim17ROCPRIM_400000_NS6detail17trampoline_kernelINS0_14default_configENS1_22reduce_config_selectorIlEEZNS1_11reduce_implILb1ES3_PlS7_lN6hipcub16HIPCUB_304000_NS6detail34convert_binary_result_type_wrapperINS9_3SumENS9_22TransformInputIteratorIb7NonZeroIiEPilEElEEEE10hipError_tPvRmT1_T2_T3_mT4_P12ihipStream_tbEUlT_E0_NS1_11comp_targetILNS1_3genE10ELNS1_11target_archE1200ELNS1_3gpuE4ELNS1_3repE0EEENS1_30default_config_static_selectorELNS0_4arch9wavefront6targetE1EEEvSM_,"axG",@progbits,_ZN7rocprim17ROCPRIM_400000_NS6detail17trampoline_kernelINS0_14default_configENS1_22reduce_config_selectorIlEEZNS1_11reduce_implILb1ES3_PlS7_lN6hipcub16HIPCUB_304000_NS6detail34convert_binary_result_type_wrapperINS9_3SumENS9_22TransformInputIteratorIb7NonZeroIiEPilEElEEEE10hipError_tPvRmT1_T2_T3_mT4_P12ihipStream_tbEUlT_E0_NS1_11comp_targetILNS1_3genE10ELNS1_11target_archE1200ELNS1_3gpuE4ELNS1_3repE0EEENS1_30default_config_static_selectorELNS0_4arch9wavefront6targetE1EEEvSM_,comdat
.Lfunc_end155:
	.size	_ZN7rocprim17ROCPRIM_400000_NS6detail17trampoline_kernelINS0_14default_configENS1_22reduce_config_selectorIlEEZNS1_11reduce_implILb1ES3_PlS7_lN6hipcub16HIPCUB_304000_NS6detail34convert_binary_result_type_wrapperINS9_3SumENS9_22TransformInputIteratorIb7NonZeroIiEPilEElEEEE10hipError_tPvRmT1_T2_T3_mT4_P12ihipStream_tbEUlT_E0_NS1_11comp_targetILNS1_3genE10ELNS1_11target_archE1200ELNS1_3gpuE4ELNS1_3repE0EEENS1_30default_config_static_selectorELNS0_4arch9wavefront6targetE1EEEvSM_, .Lfunc_end155-_ZN7rocprim17ROCPRIM_400000_NS6detail17trampoline_kernelINS0_14default_configENS1_22reduce_config_selectorIlEEZNS1_11reduce_implILb1ES3_PlS7_lN6hipcub16HIPCUB_304000_NS6detail34convert_binary_result_type_wrapperINS9_3SumENS9_22TransformInputIteratorIb7NonZeroIiEPilEElEEEE10hipError_tPvRmT1_T2_T3_mT4_P12ihipStream_tbEUlT_E0_NS1_11comp_targetILNS1_3genE10ELNS1_11target_archE1200ELNS1_3gpuE4ELNS1_3repE0EEENS1_30default_config_static_selectorELNS0_4arch9wavefront6targetE1EEEvSM_
                                        ; -- End function
	.set _ZN7rocprim17ROCPRIM_400000_NS6detail17trampoline_kernelINS0_14default_configENS1_22reduce_config_selectorIlEEZNS1_11reduce_implILb1ES3_PlS7_lN6hipcub16HIPCUB_304000_NS6detail34convert_binary_result_type_wrapperINS9_3SumENS9_22TransformInputIteratorIb7NonZeroIiEPilEElEEEE10hipError_tPvRmT1_T2_T3_mT4_P12ihipStream_tbEUlT_E0_NS1_11comp_targetILNS1_3genE10ELNS1_11target_archE1200ELNS1_3gpuE4ELNS1_3repE0EEENS1_30default_config_static_selectorELNS0_4arch9wavefront6targetE1EEEvSM_.num_vgpr, 0
	.set _ZN7rocprim17ROCPRIM_400000_NS6detail17trampoline_kernelINS0_14default_configENS1_22reduce_config_selectorIlEEZNS1_11reduce_implILb1ES3_PlS7_lN6hipcub16HIPCUB_304000_NS6detail34convert_binary_result_type_wrapperINS9_3SumENS9_22TransformInputIteratorIb7NonZeroIiEPilEElEEEE10hipError_tPvRmT1_T2_T3_mT4_P12ihipStream_tbEUlT_E0_NS1_11comp_targetILNS1_3genE10ELNS1_11target_archE1200ELNS1_3gpuE4ELNS1_3repE0EEENS1_30default_config_static_selectorELNS0_4arch9wavefront6targetE1EEEvSM_.num_agpr, 0
	.set _ZN7rocprim17ROCPRIM_400000_NS6detail17trampoline_kernelINS0_14default_configENS1_22reduce_config_selectorIlEEZNS1_11reduce_implILb1ES3_PlS7_lN6hipcub16HIPCUB_304000_NS6detail34convert_binary_result_type_wrapperINS9_3SumENS9_22TransformInputIteratorIb7NonZeroIiEPilEElEEEE10hipError_tPvRmT1_T2_T3_mT4_P12ihipStream_tbEUlT_E0_NS1_11comp_targetILNS1_3genE10ELNS1_11target_archE1200ELNS1_3gpuE4ELNS1_3repE0EEENS1_30default_config_static_selectorELNS0_4arch9wavefront6targetE1EEEvSM_.numbered_sgpr, 0
	.set _ZN7rocprim17ROCPRIM_400000_NS6detail17trampoline_kernelINS0_14default_configENS1_22reduce_config_selectorIlEEZNS1_11reduce_implILb1ES3_PlS7_lN6hipcub16HIPCUB_304000_NS6detail34convert_binary_result_type_wrapperINS9_3SumENS9_22TransformInputIteratorIb7NonZeroIiEPilEElEEEE10hipError_tPvRmT1_T2_T3_mT4_P12ihipStream_tbEUlT_E0_NS1_11comp_targetILNS1_3genE10ELNS1_11target_archE1200ELNS1_3gpuE4ELNS1_3repE0EEENS1_30default_config_static_selectorELNS0_4arch9wavefront6targetE1EEEvSM_.num_named_barrier, 0
	.set _ZN7rocprim17ROCPRIM_400000_NS6detail17trampoline_kernelINS0_14default_configENS1_22reduce_config_selectorIlEEZNS1_11reduce_implILb1ES3_PlS7_lN6hipcub16HIPCUB_304000_NS6detail34convert_binary_result_type_wrapperINS9_3SumENS9_22TransformInputIteratorIb7NonZeroIiEPilEElEEEE10hipError_tPvRmT1_T2_T3_mT4_P12ihipStream_tbEUlT_E0_NS1_11comp_targetILNS1_3genE10ELNS1_11target_archE1200ELNS1_3gpuE4ELNS1_3repE0EEENS1_30default_config_static_selectorELNS0_4arch9wavefront6targetE1EEEvSM_.private_seg_size, 0
	.set _ZN7rocprim17ROCPRIM_400000_NS6detail17trampoline_kernelINS0_14default_configENS1_22reduce_config_selectorIlEEZNS1_11reduce_implILb1ES3_PlS7_lN6hipcub16HIPCUB_304000_NS6detail34convert_binary_result_type_wrapperINS9_3SumENS9_22TransformInputIteratorIb7NonZeroIiEPilEElEEEE10hipError_tPvRmT1_T2_T3_mT4_P12ihipStream_tbEUlT_E0_NS1_11comp_targetILNS1_3genE10ELNS1_11target_archE1200ELNS1_3gpuE4ELNS1_3repE0EEENS1_30default_config_static_selectorELNS0_4arch9wavefront6targetE1EEEvSM_.uses_vcc, 0
	.set _ZN7rocprim17ROCPRIM_400000_NS6detail17trampoline_kernelINS0_14default_configENS1_22reduce_config_selectorIlEEZNS1_11reduce_implILb1ES3_PlS7_lN6hipcub16HIPCUB_304000_NS6detail34convert_binary_result_type_wrapperINS9_3SumENS9_22TransformInputIteratorIb7NonZeroIiEPilEElEEEE10hipError_tPvRmT1_T2_T3_mT4_P12ihipStream_tbEUlT_E0_NS1_11comp_targetILNS1_3genE10ELNS1_11target_archE1200ELNS1_3gpuE4ELNS1_3repE0EEENS1_30default_config_static_selectorELNS0_4arch9wavefront6targetE1EEEvSM_.uses_flat_scratch, 0
	.set _ZN7rocprim17ROCPRIM_400000_NS6detail17trampoline_kernelINS0_14default_configENS1_22reduce_config_selectorIlEEZNS1_11reduce_implILb1ES3_PlS7_lN6hipcub16HIPCUB_304000_NS6detail34convert_binary_result_type_wrapperINS9_3SumENS9_22TransformInputIteratorIb7NonZeroIiEPilEElEEEE10hipError_tPvRmT1_T2_T3_mT4_P12ihipStream_tbEUlT_E0_NS1_11comp_targetILNS1_3genE10ELNS1_11target_archE1200ELNS1_3gpuE4ELNS1_3repE0EEENS1_30default_config_static_selectorELNS0_4arch9wavefront6targetE1EEEvSM_.has_dyn_sized_stack, 0
	.set _ZN7rocprim17ROCPRIM_400000_NS6detail17trampoline_kernelINS0_14default_configENS1_22reduce_config_selectorIlEEZNS1_11reduce_implILb1ES3_PlS7_lN6hipcub16HIPCUB_304000_NS6detail34convert_binary_result_type_wrapperINS9_3SumENS9_22TransformInputIteratorIb7NonZeroIiEPilEElEEEE10hipError_tPvRmT1_T2_T3_mT4_P12ihipStream_tbEUlT_E0_NS1_11comp_targetILNS1_3genE10ELNS1_11target_archE1200ELNS1_3gpuE4ELNS1_3repE0EEENS1_30default_config_static_selectorELNS0_4arch9wavefront6targetE1EEEvSM_.has_recursion, 0
	.set _ZN7rocprim17ROCPRIM_400000_NS6detail17trampoline_kernelINS0_14default_configENS1_22reduce_config_selectorIlEEZNS1_11reduce_implILb1ES3_PlS7_lN6hipcub16HIPCUB_304000_NS6detail34convert_binary_result_type_wrapperINS9_3SumENS9_22TransformInputIteratorIb7NonZeroIiEPilEElEEEE10hipError_tPvRmT1_T2_T3_mT4_P12ihipStream_tbEUlT_E0_NS1_11comp_targetILNS1_3genE10ELNS1_11target_archE1200ELNS1_3gpuE4ELNS1_3repE0EEENS1_30default_config_static_selectorELNS0_4arch9wavefront6targetE1EEEvSM_.has_indirect_call, 0
	.section	.AMDGPU.csdata,"",@progbits
; Kernel info:
; codeLenInByte = 0
; TotalNumSgprs: 4
; NumVgprs: 0
; ScratchSize: 0
; MemoryBound: 0
; FloatMode: 240
; IeeeMode: 1
; LDSByteSize: 0 bytes/workgroup (compile time only)
; SGPRBlocks: 0
; VGPRBlocks: 0
; NumSGPRsForWavesPerEU: 4
; NumVGPRsForWavesPerEU: 1
; Occupancy: 10
; WaveLimiterHint : 0
; COMPUTE_PGM_RSRC2:SCRATCH_EN: 0
; COMPUTE_PGM_RSRC2:USER_SGPR: 6
; COMPUTE_PGM_RSRC2:TRAP_HANDLER: 0
; COMPUTE_PGM_RSRC2:TGID_X_EN: 1
; COMPUTE_PGM_RSRC2:TGID_Y_EN: 0
; COMPUTE_PGM_RSRC2:TGID_Z_EN: 0
; COMPUTE_PGM_RSRC2:TIDIG_COMP_CNT: 0
	.section	.text._ZN7rocprim17ROCPRIM_400000_NS6detail17trampoline_kernelINS0_14default_configENS1_22reduce_config_selectorIlEEZNS1_11reduce_implILb1ES3_PlS7_lN6hipcub16HIPCUB_304000_NS6detail34convert_binary_result_type_wrapperINS9_3SumENS9_22TransformInputIteratorIb7NonZeroIiEPilEElEEEE10hipError_tPvRmT1_T2_T3_mT4_P12ihipStream_tbEUlT_E0_NS1_11comp_targetILNS1_3genE9ELNS1_11target_archE1100ELNS1_3gpuE3ELNS1_3repE0EEENS1_30default_config_static_selectorELNS0_4arch9wavefront6targetE1EEEvSM_,"axG",@progbits,_ZN7rocprim17ROCPRIM_400000_NS6detail17trampoline_kernelINS0_14default_configENS1_22reduce_config_selectorIlEEZNS1_11reduce_implILb1ES3_PlS7_lN6hipcub16HIPCUB_304000_NS6detail34convert_binary_result_type_wrapperINS9_3SumENS9_22TransformInputIteratorIb7NonZeroIiEPilEElEEEE10hipError_tPvRmT1_T2_T3_mT4_P12ihipStream_tbEUlT_E0_NS1_11comp_targetILNS1_3genE9ELNS1_11target_archE1100ELNS1_3gpuE3ELNS1_3repE0EEENS1_30default_config_static_selectorELNS0_4arch9wavefront6targetE1EEEvSM_,comdat
	.protected	_ZN7rocprim17ROCPRIM_400000_NS6detail17trampoline_kernelINS0_14default_configENS1_22reduce_config_selectorIlEEZNS1_11reduce_implILb1ES3_PlS7_lN6hipcub16HIPCUB_304000_NS6detail34convert_binary_result_type_wrapperINS9_3SumENS9_22TransformInputIteratorIb7NonZeroIiEPilEElEEEE10hipError_tPvRmT1_T2_T3_mT4_P12ihipStream_tbEUlT_E0_NS1_11comp_targetILNS1_3genE9ELNS1_11target_archE1100ELNS1_3gpuE3ELNS1_3repE0EEENS1_30default_config_static_selectorELNS0_4arch9wavefront6targetE1EEEvSM_ ; -- Begin function _ZN7rocprim17ROCPRIM_400000_NS6detail17trampoline_kernelINS0_14default_configENS1_22reduce_config_selectorIlEEZNS1_11reduce_implILb1ES3_PlS7_lN6hipcub16HIPCUB_304000_NS6detail34convert_binary_result_type_wrapperINS9_3SumENS9_22TransformInputIteratorIb7NonZeroIiEPilEElEEEE10hipError_tPvRmT1_T2_T3_mT4_P12ihipStream_tbEUlT_E0_NS1_11comp_targetILNS1_3genE9ELNS1_11target_archE1100ELNS1_3gpuE3ELNS1_3repE0EEENS1_30default_config_static_selectorELNS0_4arch9wavefront6targetE1EEEvSM_
	.globl	_ZN7rocprim17ROCPRIM_400000_NS6detail17trampoline_kernelINS0_14default_configENS1_22reduce_config_selectorIlEEZNS1_11reduce_implILb1ES3_PlS7_lN6hipcub16HIPCUB_304000_NS6detail34convert_binary_result_type_wrapperINS9_3SumENS9_22TransformInputIteratorIb7NonZeroIiEPilEElEEEE10hipError_tPvRmT1_T2_T3_mT4_P12ihipStream_tbEUlT_E0_NS1_11comp_targetILNS1_3genE9ELNS1_11target_archE1100ELNS1_3gpuE3ELNS1_3repE0EEENS1_30default_config_static_selectorELNS0_4arch9wavefront6targetE1EEEvSM_
	.p2align	8
	.type	_ZN7rocprim17ROCPRIM_400000_NS6detail17trampoline_kernelINS0_14default_configENS1_22reduce_config_selectorIlEEZNS1_11reduce_implILb1ES3_PlS7_lN6hipcub16HIPCUB_304000_NS6detail34convert_binary_result_type_wrapperINS9_3SumENS9_22TransformInputIteratorIb7NonZeroIiEPilEElEEEE10hipError_tPvRmT1_T2_T3_mT4_P12ihipStream_tbEUlT_E0_NS1_11comp_targetILNS1_3genE9ELNS1_11target_archE1100ELNS1_3gpuE3ELNS1_3repE0EEENS1_30default_config_static_selectorELNS0_4arch9wavefront6targetE1EEEvSM_,@function
_ZN7rocprim17ROCPRIM_400000_NS6detail17trampoline_kernelINS0_14default_configENS1_22reduce_config_selectorIlEEZNS1_11reduce_implILb1ES3_PlS7_lN6hipcub16HIPCUB_304000_NS6detail34convert_binary_result_type_wrapperINS9_3SumENS9_22TransformInputIteratorIb7NonZeroIiEPilEElEEEE10hipError_tPvRmT1_T2_T3_mT4_P12ihipStream_tbEUlT_E0_NS1_11comp_targetILNS1_3genE9ELNS1_11target_archE1100ELNS1_3gpuE3ELNS1_3repE0EEENS1_30default_config_static_selectorELNS0_4arch9wavefront6targetE1EEEvSM_: ; @_ZN7rocprim17ROCPRIM_400000_NS6detail17trampoline_kernelINS0_14default_configENS1_22reduce_config_selectorIlEEZNS1_11reduce_implILb1ES3_PlS7_lN6hipcub16HIPCUB_304000_NS6detail34convert_binary_result_type_wrapperINS9_3SumENS9_22TransformInputIteratorIb7NonZeroIiEPilEElEEEE10hipError_tPvRmT1_T2_T3_mT4_P12ihipStream_tbEUlT_E0_NS1_11comp_targetILNS1_3genE9ELNS1_11target_archE1100ELNS1_3gpuE3ELNS1_3repE0EEENS1_30default_config_static_selectorELNS0_4arch9wavefront6targetE1EEEvSM_
; %bb.0:
	.section	.rodata,"a",@progbits
	.p2align	6, 0x0
	.amdhsa_kernel _ZN7rocprim17ROCPRIM_400000_NS6detail17trampoline_kernelINS0_14default_configENS1_22reduce_config_selectorIlEEZNS1_11reduce_implILb1ES3_PlS7_lN6hipcub16HIPCUB_304000_NS6detail34convert_binary_result_type_wrapperINS9_3SumENS9_22TransformInputIteratorIb7NonZeroIiEPilEElEEEE10hipError_tPvRmT1_T2_T3_mT4_P12ihipStream_tbEUlT_E0_NS1_11comp_targetILNS1_3genE9ELNS1_11target_archE1100ELNS1_3gpuE3ELNS1_3repE0EEENS1_30default_config_static_selectorELNS0_4arch9wavefront6targetE1EEEvSM_
		.amdhsa_group_segment_fixed_size 0
		.amdhsa_private_segment_fixed_size 0
		.amdhsa_kernarg_size 64
		.amdhsa_user_sgpr_count 6
		.amdhsa_user_sgpr_private_segment_buffer 1
		.amdhsa_user_sgpr_dispatch_ptr 0
		.amdhsa_user_sgpr_queue_ptr 0
		.amdhsa_user_sgpr_kernarg_segment_ptr 1
		.amdhsa_user_sgpr_dispatch_id 0
		.amdhsa_user_sgpr_flat_scratch_init 0
		.amdhsa_user_sgpr_private_segment_size 0
		.amdhsa_uses_dynamic_stack 0
		.amdhsa_system_sgpr_private_segment_wavefront_offset 0
		.amdhsa_system_sgpr_workgroup_id_x 1
		.amdhsa_system_sgpr_workgroup_id_y 0
		.amdhsa_system_sgpr_workgroup_id_z 0
		.amdhsa_system_sgpr_workgroup_info 0
		.amdhsa_system_vgpr_workitem_id 0
		.amdhsa_next_free_vgpr 1
		.amdhsa_next_free_sgpr 0
		.amdhsa_reserve_vcc 0
		.amdhsa_reserve_flat_scratch 0
		.amdhsa_float_round_mode_32 0
		.amdhsa_float_round_mode_16_64 0
		.amdhsa_float_denorm_mode_32 3
		.amdhsa_float_denorm_mode_16_64 3
		.amdhsa_dx10_clamp 1
		.amdhsa_ieee_mode 1
		.amdhsa_fp16_overflow 0
		.amdhsa_exception_fp_ieee_invalid_op 0
		.amdhsa_exception_fp_denorm_src 0
		.amdhsa_exception_fp_ieee_div_zero 0
		.amdhsa_exception_fp_ieee_overflow 0
		.amdhsa_exception_fp_ieee_underflow 0
		.amdhsa_exception_fp_ieee_inexact 0
		.amdhsa_exception_int_div_zero 0
	.end_amdhsa_kernel
	.section	.text._ZN7rocprim17ROCPRIM_400000_NS6detail17trampoline_kernelINS0_14default_configENS1_22reduce_config_selectorIlEEZNS1_11reduce_implILb1ES3_PlS7_lN6hipcub16HIPCUB_304000_NS6detail34convert_binary_result_type_wrapperINS9_3SumENS9_22TransformInputIteratorIb7NonZeroIiEPilEElEEEE10hipError_tPvRmT1_T2_T3_mT4_P12ihipStream_tbEUlT_E0_NS1_11comp_targetILNS1_3genE9ELNS1_11target_archE1100ELNS1_3gpuE3ELNS1_3repE0EEENS1_30default_config_static_selectorELNS0_4arch9wavefront6targetE1EEEvSM_,"axG",@progbits,_ZN7rocprim17ROCPRIM_400000_NS6detail17trampoline_kernelINS0_14default_configENS1_22reduce_config_selectorIlEEZNS1_11reduce_implILb1ES3_PlS7_lN6hipcub16HIPCUB_304000_NS6detail34convert_binary_result_type_wrapperINS9_3SumENS9_22TransformInputIteratorIb7NonZeroIiEPilEElEEEE10hipError_tPvRmT1_T2_T3_mT4_P12ihipStream_tbEUlT_E0_NS1_11comp_targetILNS1_3genE9ELNS1_11target_archE1100ELNS1_3gpuE3ELNS1_3repE0EEENS1_30default_config_static_selectorELNS0_4arch9wavefront6targetE1EEEvSM_,comdat
.Lfunc_end156:
	.size	_ZN7rocprim17ROCPRIM_400000_NS6detail17trampoline_kernelINS0_14default_configENS1_22reduce_config_selectorIlEEZNS1_11reduce_implILb1ES3_PlS7_lN6hipcub16HIPCUB_304000_NS6detail34convert_binary_result_type_wrapperINS9_3SumENS9_22TransformInputIteratorIb7NonZeroIiEPilEElEEEE10hipError_tPvRmT1_T2_T3_mT4_P12ihipStream_tbEUlT_E0_NS1_11comp_targetILNS1_3genE9ELNS1_11target_archE1100ELNS1_3gpuE3ELNS1_3repE0EEENS1_30default_config_static_selectorELNS0_4arch9wavefront6targetE1EEEvSM_, .Lfunc_end156-_ZN7rocprim17ROCPRIM_400000_NS6detail17trampoline_kernelINS0_14default_configENS1_22reduce_config_selectorIlEEZNS1_11reduce_implILb1ES3_PlS7_lN6hipcub16HIPCUB_304000_NS6detail34convert_binary_result_type_wrapperINS9_3SumENS9_22TransformInputIteratorIb7NonZeroIiEPilEElEEEE10hipError_tPvRmT1_T2_T3_mT4_P12ihipStream_tbEUlT_E0_NS1_11comp_targetILNS1_3genE9ELNS1_11target_archE1100ELNS1_3gpuE3ELNS1_3repE0EEENS1_30default_config_static_selectorELNS0_4arch9wavefront6targetE1EEEvSM_
                                        ; -- End function
	.set _ZN7rocprim17ROCPRIM_400000_NS6detail17trampoline_kernelINS0_14default_configENS1_22reduce_config_selectorIlEEZNS1_11reduce_implILb1ES3_PlS7_lN6hipcub16HIPCUB_304000_NS6detail34convert_binary_result_type_wrapperINS9_3SumENS9_22TransformInputIteratorIb7NonZeroIiEPilEElEEEE10hipError_tPvRmT1_T2_T3_mT4_P12ihipStream_tbEUlT_E0_NS1_11comp_targetILNS1_3genE9ELNS1_11target_archE1100ELNS1_3gpuE3ELNS1_3repE0EEENS1_30default_config_static_selectorELNS0_4arch9wavefront6targetE1EEEvSM_.num_vgpr, 0
	.set _ZN7rocprim17ROCPRIM_400000_NS6detail17trampoline_kernelINS0_14default_configENS1_22reduce_config_selectorIlEEZNS1_11reduce_implILb1ES3_PlS7_lN6hipcub16HIPCUB_304000_NS6detail34convert_binary_result_type_wrapperINS9_3SumENS9_22TransformInputIteratorIb7NonZeroIiEPilEElEEEE10hipError_tPvRmT1_T2_T3_mT4_P12ihipStream_tbEUlT_E0_NS1_11comp_targetILNS1_3genE9ELNS1_11target_archE1100ELNS1_3gpuE3ELNS1_3repE0EEENS1_30default_config_static_selectorELNS0_4arch9wavefront6targetE1EEEvSM_.num_agpr, 0
	.set _ZN7rocprim17ROCPRIM_400000_NS6detail17trampoline_kernelINS0_14default_configENS1_22reduce_config_selectorIlEEZNS1_11reduce_implILb1ES3_PlS7_lN6hipcub16HIPCUB_304000_NS6detail34convert_binary_result_type_wrapperINS9_3SumENS9_22TransformInputIteratorIb7NonZeroIiEPilEElEEEE10hipError_tPvRmT1_T2_T3_mT4_P12ihipStream_tbEUlT_E0_NS1_11comp_targetILNS1_3genE9ELNS1_11target_archE1100ELNS1_3gpuE3ELNS1_3repE0EEENS1_30default_config_static_selectorELNS0_4arch9wavefront6targetE1EEEvSM_.numbered_sgpr, 0
	.set _ZN7rocprim17ROCPRIM_400000_NS6detail17trampoline_kernelINS0_14default_configENS1_22reduce_config_selectorIlEEZNS1_11reduce_implILb1ES3_PlS7_lN6hipcub16HIPCUB_304000_NS6detail34convert_binary_result_type_wrapperINS9_3SumENS9_22TransformInputIteratorIb7NonZeroIiEPilEElEEEE10hipError_tPvRmT1_T2_T3_mT4_P12ihipStream_tbEUlT_E0_NS1_11comp_targetILNS1_3genE9ELNS1_11target_archE1100ELNS1_3gpuE3ELNS1_3repE0EEENS1_30default_config_static_selectorELNS0_4arch9wavefront6targetE1EEEvSM_.num_named_barrier, 0
	.set _ZN7rocprim17ROCPRIM_400000_NS6detail17trampoline_kernelINS0_14default_configENS1_22reduce_config_selectorIlEEZNS1_11reduce_implILb1ES3_PlS7_lN6hipcub16HIPCUB_304000_NS6detail34convert_binary_result_type_wrapperINS9_3SumENS9_22TransformInputIteratorIb7NonZeroIiEPilEElEEEE10hipError_tPvRmT1_T2_T3_mT4_P12ihipStream_tbEUlT_E0_NS1_11comp_targetILNS1_3genE9ELNS1_11target_archE1100ELNS1_3gpuE3ELNS1_3repE0EEENS1_30default_config_static_selectorELNS0_4arch9wavefront6targetE1EEEvSM_.private_seg_size, 0
	.set _ZN7rocprim17ROCPRIM_400000_NS6detail17trampoline_kernelINS0_14default_configENS1_22reduce_config_selectorIlEEZNS1_11reduce_implILb1ES3_PlS7_lN6hipcub16HIPCUB_304000_NS6detail34convert_binary_result_type_wrapperINS9_3SumENS9_22TransformInputIteratorIb7NonZeroIiEPilEElEEEE10hipError_tPvRmT1_T2_T3_mT4_P12ihipStream_tbEUlT_E0_NS1_11comp_targetILNS1_3genE9ELNS1_11target_archE1100ELNS1_3gpuE3ELNS1_3repE0EEENS1_30default_config_static_selectorELNS0_4arch9wavefront6targetE1EEEvSM_.uses_vcc, 0
	.set _ZN7rocprim17ROCPRIM_400000_NS6detail17trampoline_kernelINS0_14default_configENS1_22reduce_config_selectorIlEEZNS1_11reduce_implILb1ES3_PlS7_lN6hipcub16HIPCUB_304000_NS6detail34convert_binary_result_type_wrapperINS9_3SumENS9_22TransformInputIteratorIb7NonZeroIiEPilEElEEEE10hipError_tPvRmT1_T2_T3_mT4_P12ihipStream_tbEUlT_E0_NS1_11comp_targetILNS1_3genE9ELNS1_11target_archE1100ELNS1_3gpuE3ELNS1_3repE0EEENS1_30default_config_static_selectorELNS0_4arch9wavefront6targetE1EEEvSM_.uses_flat_scratch, 0
	.set _ZN7rocprim17ROCPRIM_400000_NS6detail17trampoline_kernelINS0_14default_configENS1_22reduce_config_selectorIlEEZNS1_11reduce_implILb1ES3_PlS7_lN6hipcub16HIPCUB_304000_NS6detail34convert_binary_result_type_wrapperINS9_3SumENS9_22TransformInputIteratorIb7NonZeroIiEPilEElEEEE10hipError_tPvRmT1_T2_T3_mT4_P12ihipStream_tbEUlT_E0_NS1_11comp_targetILNS1_3genE9ELNS1_11target_archE1100ELNS1_3gpuE3ELNS1_3repE0EEENS1_30default_config_static_selectorELNS0_4arch9wavefront6targetE1EEEvSM_.has_dyn_sized_stack, 0
	.set _ZN7rocprim17ROCPRIM_400000_NS6detail17trampoline_kernelINS0_14default_configENS1_22reduce_config_selectorIlEEZNS1_11reduce_implILb1ES3_PlS7_lN6hipcub16HIPCUB_304000_NS6detail34convert_binary_result_type_wrapperINS9_3SumENS9_22TransformInputIteratorIb7NonZeroIiEPilEElEEEE10hipError_tPvRmT1_T2_T3_mT4_P12ihipStream_tbEUlT_E0_NS1_11comp_targetILNS1_3genE9ELNS1_11target_archE1100ELNS1_3gpuE3ELNS1_3repE0EEENS1_30default_config_static_selectorELNS0_4arch9wavefront6targetE1EEEvSM_.has_recursion, 0
	.set _ZN7rocprim17ROCPRIM_400000_NS6detail17trampoline_kernelINS0_14default_configENS1_22reduce_config_selectorIlEEZNS1_11reduce_implILb1ES3_PlS7_lN6hipcub16HIPCUB_304000_NS6detail34convert_binary_result_type_wrapperINS9_3SumENS9_22TransformInputIteratorIb7NonZeroIiEPilEElEEEE10hipError_tPvRmT1_T2_T3_mT4_P12ihipStream_tbEUlT_E0_NS1_11comp_targetILNS1_3genE9ELNS1_11target_archE1100ELNS1_3gpuE3ELNS1_3repE0EEENS1_30default_config_static_selectorELNS0_4arch9wavefront6targetE1EEEvSM_.has_indirect_call, 0
	.section	.AMDGPU.csdata,"",@progbits
; Kernel info:
; codeLenInByte = 0
; TotalNumSgprs: 4
; NumVgprs: 0
; ScratchSize: 0
; MemoryBound: 0
; FloatMode: 240
; IeeeMode: 1
; LDSByteSize: 0 bytes/workgroup (compile time only)
; SGPRBlocks: 0
; VGPRBlocks: 0
; NumSGPRsForWavesPerEU: 4
; NumVGPRsForWavesPerEU: 1
; Occupancy: 10
; WaveLimiterHint : 0
; COMPUTE_PGM_RSRC2:SCRATCH_EN: 0
; COMPUTE_PGM_RSRC2:USER_SGPR: 6
; COMPUTE_PGM_RSRC2:TRAP_HANDLER: 0
; COMPUTE_PGM_RSRC2:TGID_X_EN: 1
; COMPUTE_PGM_RSRC2:TGID_Y_EN: 0
; COMPUTE_PGM_RSRC2:TGID_Z_EN: 0
; COMPUTE_PGM_RSRC2:TIDIG_COMP_CNT: 0
	.section	.text._ZN7rocprim17ROCPRIM_400000_NS6detail17trampoline_kernelINS0_14default_configENS1_22reduce_config_selectorIlEEZNS1_11reduce_implILb1ES3_PlS7_lN6hipcub16HIPCUB_304000_NS6detail34convert_binary_result_type_wrapperINS9_3SumENS9_22TransformInputIteratorIb7NonZeroIiEPilEElEEEE10hipError_tPvRmT1_T2_T3_mT4_P12ihipStream_tbEUlT_E0_NS1_11comp_targetILNS1_3genE8ELNS1_11target_archE1030ELNS1_3gpuE2ELNS1_3repE0EEENS1_30default_config_static_selectorELNS0_4arch9wavefront6targetE1EEEvSM_,"axG",@progbits,_ZN7rocprim17ROCPRIM_400000_NS6detail17trampoline_kernelINS0_14default_configENS1_22reduce_config_selectorIlEEZNS1_11reduce_implILb1ES3_PlS7_lN6hipcub16HIPCUB_304000_NS6detail34convert_binary_result_type_wrapperINS9_3SumENS9_22TransformInputIteratorIb7NonZeroIiEPilEElEEEE10hipError_tPvRmT1_T2_T3_mT4_P12ihipStream_tbEUlT_E0_NS1_11comp_targetILNS1_3genE8ELNS1_11target_archE1030ELNS1_3gpuE2ELNS1_3repE0EEENS1_30default_config_static_selectorELNS0_4arch9wavefront6targetE1EEEvSM_,comdat
	.protected	_ZN7rocprim17ROCPRIM_400000_NS6detail17trampoline_kernelINS0_14default_configENS1_22reduce_config_selectorIlEEZNS1_11reduce_implILb1ES3_PlS7_lN6hipcub16HIPCUB_304000_NS6detail34convert_binary_result_type_wrapperINS9_3SumENS9_22TransformInputIteratorIb7NonZeroIiEPilEElEEEE10hipError_tPvRmT1_T2_T3_mT4_P12ihipStream_tbEUlT_E0_NS1_11comp_targetILNS1_3genE8ELNS1_11target_archE1030ELNS1_3gpuE2ELNS1_3repE0EEENS1_30default_config_static_selectorELNS0_4arch9wavefront6targetE1EEEvSM_ ; -- Begin function _ZN7rocprim17ROCPRIM_400000_NS6detail17trampoline_kernelINS0_14default_configENS1_22reduce_config_selectorIlEEZNS1_11reduce_implILb1ES3_PlS7_lN6hipcub16HIPCUB_304000_NS6detail34convert_binary_result_type_wrapperINS9_3SumENS9_22TransformInputIteratorIb7NonZeroIiEPilEElEEEE10hipError_tPvRmT1_T2_T3_mT4_P12ihipStream_tbEUlT_E0_NS1_11comp_targetILNS1_3genE8ELNS1_11target_archE1030ELNS1_3gpuE2ELNS1_3repE0EEENS1_30default_config_static_selectorELNS0_4arch9wavefront6targetE1EEEvSM_
	.globl	_ZN7rocprim17ROCPRIM_400000_NS6detail17trampoline_kernelINS0_14default_configENS1_22reduce_config_selectorIlEEZNS1_11reduce_implILb1ES3_PlS7_lN6hipcub16HIPCUB_304000_NS6detail34convert_binary_result_type_wrapperINS9_3SumENS9_22TransformInputIteratorIb7NonZeroIiEPilEElEEEE10hipError_tPvRmT1_T2_T3_mT4_P12ihipStream_tbEUlT_E0_NS1_11comp_targetILNS1_3genE8ELNS1_11target_archE1030ELNS1_3gpuE2ELNS1_3repE0EEENS1_30default_config_static_selectorELNS0_4arch9wavefront6targetE1EEEvSM_
	.p2align	8
	.type	_ZN7rocprim17ROCPRIM_400000_NS6detail17trampoline_kernelINS0_14default_configENS1_22reduce_config_selectorIlEEZNS1_11reduce_implILb1ES3_PlS7_lN6hipcub16HIPCUB_304000_NS6detail34convert_binary_result_type_wrapperINS9_3SumENS9_22TransformInputIteratorIb7NonZeroIiEPilEElEEEE10hipError_tPvRmT1_T2_T3_mT4_P12ihipStream_tbEUlT_E0_NS1_11comp_targetILNS1_3genE8ELNS1_11target_archE1030ELNS1_3gpuE2ELNS1_3repE0EEENS1_30default_config_static_selectorELNS0_4arch9wavefront6targetE1EEEvSM_,@function
_ZN7rocprim17ROCPRIM_400000_NS6detail17trampoline_kernelINS0_14default_configENS1_22reduce_config_selectorIlEEZNS1_11reduce_implILb1ES3_PlS7_lN6hipcub16HIPCUB_304000_NS6detail34convert_binary_result_type_wrapperINS9_3SumENS9_22TransformInputIteratorIb7NonZeroIiEPilEElEEEE10hipError_tPvRmT1_T2_T3_mT4_P12ihipStream_tbEUlT_E0_NS1_11comp_targetILNS1_3genE8ELNS1_11target_archE1030ELNS1_3gpuE2ELNS1_3repE0EEENS1_30default_config_static_selectorELNS0_4arch9wavefront6targetE1EEEvSM_: ; @_ZN7rocprim17ROCPRIM_400000_NS6detail17trampoline_kernelINS0_14default_configENS1_22reduce_config_selectorIlEEZNS1_11reduce_implILb1ES3_PlS7_lN6hipcub16HIPCUB_304000_NS6detail34convert_binary_result_type_wrapperINS9_3SumENS9_22TransformInputIteratorIb7NonZeroIiEPilEElEEEE10hipError_tPvRmT1_T2_T3_mT4_P12ihipStream_tbEUlT_E0_NS1_11comp_targetILNS1_3genE8ELNS1_11target_archE1030ELNS1_3gpuE2ELNS1_3repE0EEENS1_30default_config_static_selectorELNS0_4arch9wavefront6targetE1EEEvSM_
; %bb.0:
	.section	.rodata,"a",@progbits
	.p2align	6, 0x0
	.amdhsa_kernel _ZN7rocprim17ROCPRIM_400000_NS6detail17trampoline_kernelINS0_14default_configENS1_22reduce_config_selectorIlEEZNS1_11reduce_implILb1ES3_PlS7_lN6hipcub16HIPCUB_304000_NS6detail34convert_binary_result_type_wrapperINS9_3SumENS9_22TransformInputIteratorIb7NonZeroIiEPilEElEEEE10hipError_tPvRmT1_T2_T3_mT4_P12ihipStream_tbEUlT_E0_NS1_11comp_targetILNS1_3genE8ELNS1_11target_archE1030ELNS1_3gpuE2ELNS1_3repE0EEENS1_30default_config_static_selectorELNS0_4arch9wavefront6targetE1EEEvSM_
		.amdhsa_group_segment_fixed_size 0
		.amdhsa_private_segment_fixed_size 0
		.amdhsa_kernarg_size 64
		.amdhsa_user_sgpr_count 6
		.amdhsa_user_sgpr_private_segment_buffer 1
		.amdhsa_user_sgpr_dispatch_ptr 0
		.amdhsa_user_sgpr_queue_ptr 0
		.amdhsa_user_sgpr_kernarg_segment_ptr 1
		.amdhsa_user_sgpr_dispatch_id 0
		.amdhsa_user_sgpr_flat_scratch_init 0
		.amdhsa_user_sgpr_private_segment_size 0
		.amdhsa_uses_dynamic_stack 0
		.amdhsa_system_sgpr_private_segment_wavefront_offset 0
		.amdhsa_system_sgpr_workgroup_id_x 1
		.amdhsa_system_sgpr_workgroup_id_y 0
		.amdhsa_system_sgpr_workgroup_id_z 0
		.amdhsa_system_sgpr_workgroup_info 0
		.amdhsa_system_vgpr_workitem_id 0
		.amdhsa_next_free_vgpr 1
		.amdhsa_next_free_sgpr 0
		.amdhsa_reserve_vcc 0
		.amdhsa_reserve_flat_scratch 0
		.amdhsa_float_round_mode_32 0
		.amdhsa_float_round_mode_16_64 0
		.amdhsa_float_denorm_mode_32 3
		.amdhsa_float_denorm_mode_16_64 3
		.amdhsa_dx10_clamp 1
		.amdhsa_ieee_mode 1
		.amdhsa_fp16_overflow 0
		.amdhsa_exception_fp_ieee_invalid_op 0
		.amdhsa_exception_fp_denorm_src 0
		.amdhsa_exception_fp_ieee_div_zero 0
		.amdhsa_exception_fp_ieee_overflow 0
		.amdhsa_exception_fp_ieee_underflow 0
		.amdhsa_exception_fp_ieee_inexact 0
		.amdhsa_exception_int_div_zero 0
	.end_amdhsa_kernel
	.section	.text._ZN7rocprim17ROCPRIM_400000_NS6detail17trampoline_kernelINS0_14default_configENS1_22reduce_config_selectorIlEEZNS1_11reduce_implILb1ES3_PlS7_lN6hipcub16HIPCUB_304000_NS6detail34convert_binary_result_type_wrapperINS9_3SumENS9_22TransformInputIteratorIb7NonZeroIiEPilEElEEEE10hipError_tPvRmT1_T2_T3_mT4_P12ihipStream_tbEUlT_E0_NS1_11comp_targetILNS1_3genE8ELNS1_11target_archE1030ELNS1_3gpuE2ELNS1_3repE0EEENS1_30default_config_static_selectorELNS0_4arch9wavefront6targetE1EEEvSM_,"axG",@progbits,_ZN7rocprim17ROCPRIM_400000_NS6detail17trampoline_kernelINS0_14default_configENS1_22reduce_config_selectorIlEEZNS1_11reduce_implILb1ES3_PlS7_lN6hipcub16HIPCUB_304000_NS6detail34convert_binary_result_type_wrapperINS9_3SumENS9_22TransformInputIteratorIb7NonZeroIiEPilEElEEEE10hipError_tPvRmT1_T2_T3_mT4_P12ihipStream_tbEUlT_E0_NS1_11comp_targetILNS1_3genE8ELNS1_11target_archE1030ELNS1_3gpuE2ELNS1_3repE0EEENS1_30default_config_static_selectorELNS0_4arch9wavefront6targetE1EEEvSM_,comdat
.Lfunc_end157:
	.size	_ZN7rocprim17ROCPRIM_400000_NS6detail17trampoline_kernelINS0_14default_configENS1_22reduce_config_selectorIlEEZNS1_11reduce_implILb1ES3_PlS7_lN6hipcub16HIPCUB_304000_NS6detail34convert_binary_result_type_wrapperINS9_3SumENS9_22TransformInputIteratorIb7NonZeroIiEPilEElEEEE10hipError_tPvRmT1_T2_T3_mT4_P12ihipStream_tbEUlT_E0_NS1_11comp_targetILNS1_3genE8ELNS1_11target_archE1030ELNS1_3gpuE2ELNS1_3repE0EEENS1_30default_config_static_selectorELNS0_4arch9wavefront6targetE1EEEvSM_, .Lfunc_end157-_ZN7rocprim17ROCPRIM_400000_NS6detail17trampoline_kernelINS0_14default_configENS1_22reduce_config_selectorIlEEZNS1_11reduce_implILb1ES3_PlS7_lN6hipcub16HIPCUB_304000_NS6detail34convert_binary_result_type_wrapperINS9_3SumENS9_22TransformInputIteratorIb7NonZeroIiEPilEElEEEE10hipError_tPvRmT1_T2_T3_mT4_P12ihipStream_tbEUlT_E0_NS1_11comp_targetILNS1_3genE8ELNS1_11target_archE1030ELNS1_3gpuE2ELNS1_3repE0EEENS1_30default_config_static_selectorELNS0_4arch9wavefront6targetE1EEEvSM_
                                        ; -- End function
	.set _ZN7rocprim17ROCPRIM_400000_NS6detail17trampoline_kernelINS0_14default_configENS1_22reduce_config_selectorIlEEZNS1_11reduce_implILb1ES3_PlS7_lN6hipcub16HIPCUB_304000_NS6detail34convert_binary_result_type_wrapperINS9_3SumENS9_22TransformInputIteratorIb7NonZeroIiEPilEElEEEE10hipError_tPvRmT1_T2_T3_mT4_P12ihipStream_tbEUlT_E0_NS1_11comp_targetILNS1_3genE8ELNS1_11target_archE1030ELNS1_3gpuE2ELNS1_3repE0EEENS1_30default_config_static_selectorELNS0_4arch9wavefront6targetE1EEEvSM_.num_vgpr, 0
	.set _ZN7rocprim17ROCPRIM_400000_NS6detail17trampoline_kernelINS0_14default_configENS1_22reduce_config_selectorIlEEZNS1_11reduce_implILb1ES3_PlS7_lN6hipcub16HIPCUB_304000_NS6detail34convert_binary_result_type_wrapperINS9_3SumENS9_22TransformInputIteratorIb7NonZeroIiEPilEElEEEE10hipError_tPvRmT1_T2_T3_mT4_P12ihipStream_tbEUlT_E0_NS1_11comp_targetILNS1_3genE8ELNS1_11target_archE1030ELNS1_3gpuE2ELNS1_3repE0EEENS1_30default_config_static_selectorELNS0_4arch9wavefront6targetE1EEEvSM_.num_agpr, 0
	.set _ZN7rocprim17ROCPRIM_400000_NS6detail17trampoline_kernelINS0_14default_configENS1_22reduce_config_selectorIlEEZNS1_11reduce_implILb1ES3_PlS7_lN6hipcub16HIPCUB_304000_NS6detail34convert_binary_result_type_wrapperINS9_3SumENS9_22TransformInputIteratorIb7NonZeroIiEPilEElEEEE10hipError_tPvRmT1_T2_T3_mT4_P12ihipStream_tbEUlT_E0_NS1_11comp_targetILNS1_3genE8ELNS1_11target_archE1030ELNS1_3gpuE2ELNS1_3repE0EEENS1_30default_config_static_selectorELNS0_4arch9wavefront6targetE1EEEvSM_.numbered_sgpr, 0
	.set _ZN7rocprim17ROCPRIM_400000_NS6detail17trampoline_kernelINS0_14default_configENS1_22reduce_config_selectorIlEEZNS1_11reduce_implILb1ES3_PlS7_lN6hipcub16HIPCUB_304000_NS6detail34convert_binary_result_type_wrapperINS9_3SumENS9_22TransformInputIteratorIb7NonZeroIiEPilEElEEEE10hipError_tPvRmT1_T2_T3_mT4_P12ihipStream_tbEUlT_E0_NS1_11comp_targetILNS1_3genE8ELNS1_11target_archE1030ELNS1_3gpuE2ELNS1_3repE0EEENS1_30default_config_static_selectorELNS0_4arch9wavefront6targetE1EEEvSM_.num_named_barrier, 0
	.set _ZN7rocprim17ROCPRIM_400000_NS6detail17trampoline_kernelINS0_14default_configENS1_22reduce_config_selectorIlEEZNS1_11reduce_implILb1ES3_PlS7_lN6hipcub16HIPCUB_304000_NS6detail34convert_binary_result_type_wrapperINS9_3SumENS9_22TransformInputIteratorIb7NonZeroIiEPilEElEEEE10hipError_tPvRmT1_T2_T3_mT4_P12ihipStream_tbEUlT_E0_NS1_11comp_targetILNS1_3genE8ELNS1_11target_archE1030ELNS1_3gpuE2ELNS1_3repE0EEENS1_30default_config_static_selectorELNS0_4arch9wavefront6targetE1EEEvSM_.private_seg_size, 0
	.set _ZN7rocprim17ROCPRIM_400000_NS6detail17trampoline_kernelINS0_14default_configENS1_22reduce_config_selectorIlEEZNS1_11reduce_implILb1ES3_PlS7_lN6hipcub16HIPCUB_304000_NS6detail34convert_binary_result_type_wrapperINS9_3SumENS9_22TransformInputIteratorIb7NonZeroIiEPilEElEEEE10hipError_tPvRmT1_T2_T3_mT4_P12ihipStream_tbEUlT_E0_NS1_11comp_targetILNS1_3genE8ELNS1_11target_archE1030ELNS1_3gpuE2ELNS1_3repE0EEENS1_30default_config_static_selectorELNS0_4arch9wavefront6targetE1EEEvSM_.uses_vcc, 0
	.set _ZN7rocprim17ROCPRIM_400000_NS6detail17trampoline_kernelINS0_14default_configENS1_22reduce_config_selectorIlEEZNS1_11reduce_implILb1ES3_PlS7_lN6hipcub16HIPCUB_304000_NS6detail34convert_binary_result_type_wrapperINS9_3SumENS9_22TransformInputIteratorIb7NonZeroIiEPilEElEEEE10hipError_tPvRmT1_T2_T3_mT4_P12ihipStream_tbEUlT_E0_NS1_11comp_targetILNS1_3genE8ELNS1_11target_archE1030ELNS1_3gpuE2ELNS1_3repE0EEENS1_30default_config_static_selectorELNS0_4arch9wavefront6targetE1EEEvSM_.uses_flat_scratch, 0
	.set _ZN7rocprim17ROCPRIM_400000_NS6detail17trampoline_kernelINS0_14default_configENS1_22reduce_config_selectorIlEEZNS1_11reduce_implILb1ES3_PlS7_lN6hipcub16HIPCUB_304000_NS6detail34convert_binary_result_type_wrapperINS9_3SumENS9_22TransformInputIteratorIb7NonZeroIiEPilEElEEEE10hipError_tPvRmT1_T2_T3_mT4_P12ihipStream_tbEUlT_E0_NS1_11comp_targetILNS1_3genE8ELNS1_11target_archE1030ELNS1_3gpuE2ELNS1_3repE0EEENS1_30default_config_static_selectorELNS0_4arch9wavefront6targetE1EEEvSM_.has_dyn_sized_stack, 0
	.set _ZN7rocprim17ROCPRIM_400000_NS6detail17trampoline_kernelINS0_14default_configENS1_22reduce_config_selectorIlEEZNS1_11reduce_implILb1ES3_PlS7_lN6hipcub16HIPCUB_304000_NS6detail34convert_binary_result_type_wrapperINS9_3SumENS9_22TransformInputIteratorIb7NonZeroIiEPilEElEEEE10hipError_tPvRmT1_T2_T3_mT4_P12ihipStream_tbEUlT_E0_NS1_11comp_targetILNS1_3genE8ELNS1_11target_archE1030ELNS1_3gpuE2ELNS1_3repE0EEENS1_30default_config_static_selectorELNS0_4arch9wavefront6targetE1EEEvSM_.has_recursion, 0
	.set _ZN7rocprim17ROCPRIM_400000_NS6detail17trampoline_kernelINS0_14default_configENS1_22reduce_config_selectorIlEEZNS1_11reduce_implILb1ES3_PlS7_lN6hipcub16HIPCUB_304000_NS6detail34convert_binary_result_type_wrapperINS9_3SumENS9_22TransformInputIteratorIb7NonZeroIiEPilEElEEEE10hipError_tPvRmT1_T2_T3_mT4_P12ihipStream_tbEUlT_E0_NS1_11comp_targetILNS1_3genE8ELNS1_11target_archE1030ELNS1_3gpuE2ELNS1_3repE0EEENS1_30default_config_static_selectorELNS0_4arch9wavefront6targetE1EEEvSM_.has_indirect_call, 0
	.section	.AMDGPU.csdata,"",@progbits
; Kernel info:
; codeLenInByte = 0
; TotalNumSgprs: 4
; NumVgprs: 0
; ScratchSize: 0
; MemoryBound: 0
; FloatMode: 240
; IeeeMode: 1
; LDSByteSize: 0 bytes/workgroup (compile time only)
; SGPRBlocks: 0
; VGPRBlocks: 0
; NumSGPRsForWavesPerEU: 4
; NumVGPRsForWavesPerEU: 1
; Occupancy: 10
; WaveLimiterHint : 0
; COMPUTE_PGM_RSRC2:SCRATCH_EN: 0
; COMPUTE_PGM_RSRC2:USER_SGPR: 6
; COMPUTE_PGM_RSRC2:TRAP_HANDLER: 0
; COMPUTE_PGM_RSRC2:TGID_X_EN: 1
; COMPUTE_PGM_RSRC2:TGID_Y_EN: 0
; COMPUTE_PGM_RSRC2:TGID_Z_EN: 0
; COMPUTE_PGM_RSRC2:TIDIG_COMP_CNT: 0
	.section	.text._ZN7rocprim17ROCPRIM_400000_NS6detail17trampoline_kernelINS0_14default_configENS1_22reduce_config_selectorIlEEZNS1_11reduce_implILb1ES3_PlS7_lN6hipcub16HIPCUB_304000_NS6detail34convert_binary_result_type_wrapperINS9_3SumENS9_22TransformInputIteratorIb7NonZeroIiEPilEElEEEE10hipError_tPvRmT1_T2_T3_mT4_P12ihipStream_tbEUlT_E1_NS1_11comp_targetILNS1_3genE0ELNS1_11target_archE4294967295ELNS1_3gpuE0ELNS1_3repE0EEENS1_30default_config_static_selectorELNS0_4arch9wavefront6targetE1EEEvSM_,"axG",@progbits,_ZN7rocprim17ROCPRIM_400000_NS6detail17trampoline_kernelINS0_14default_configENS1_22reduce_config_selectorIlEEZNS1_11reduce_implILb1ES3_PlS7_lN6hipcub16HIPCUB_304000_NS6detail34convert_binary_result_type_wrapperINS9_3SumENS9_22TransformInputIteratorIb7NonZeroIiEPilEElEEEE10hipError_tPvRmT1_T2_T3_mT4_P12ihipStream_tbEUlT_E1_NS1_11comp_targetILNS1_3genE0ELNS1_11target_archE4294967295ELNS1_3gpuE0ELNS1_3repE0EEENS1_30default_config_static_selectorELNS0_4arch9wavefront6targetE1EEEvSM_,comdat
	.protected	_ZN7rocprim17ROCPRIM_400000_NS6detail17trampoline_kernelINS0_14default_configENS1_22reduce_config_selectorIlEEZNS1_11reduce_implILb1ES3_PlS7_lN6hipcub16HIPCUB_304000_NS6detail34convert_binary_result_type_wrapperINS9_3SumENS9_22TransformInputIteratorIb7NonZeroIiEPilEElEEEE10hipError_tPvRmT1_T2_T3_mT4_P12ihipStream_tbEUlT_E1_NS1_11comp_targetILNS1_3genE0ELNS1_11target_archE4294967295ELNS1_3gpuE0ELNS1_3repE0EEENS1_30default_config_static_selectorELNS0_4arch9wavefront6targetE1EEEvSM_ ; -- Begin function _ZN7rocprim17ROCPRIM_400000_NS6detail17trampoline_kernelINS0_14default_configENS1_22reduce_config_selectorIlEEZNS1_11reduce_implILb1ES3_PlS7_lN6hipcub16HIPCUB_304000_NS6detail34convert_binary_result_type_wrapperINS9_3SumENS9_22TransformInputIteratorIb7NonZeroIiEPilEElEEEE10hipError_tPvRmT1_T2_T3_mT4_P12ihipStream_tbEUlT_E1_NS1_11comp_targetILNS1_3genE0ELNS1_11target_archE4294967295ELNS1_3gpuE0ELNS1_3repE0EEENS1_30default_config_static_selectorELNS0_4arch9wavefront6targetE1EEEvSM_
	.globl	_ZN7rocprim17ROCPRIM_400000_NS6detail17trampoline_kernelINS0_14default_configENS1_22reduce_config_selectorIlEEZNS1_11reduce_implILb1ES3_PlS7_lN6hipcub16HIPCUB_304000_NS6detail34convert_binary_result_type_wrapperINS9_3SumENS9_22TransformInputIteratorIb7NonZeroIiEPilEElEEEE10hipError_tPvRmT1_T2_T3_mT4_P12ihipStream_tbEUlT_E1_NS1_11comp_targetILNS1_3genE0ELNS1_11target_archE4294967295ELNS1_3gpuE0ELNS1_3repE0EEENS1_30default_config_static_selectorELNS0_4arch9wavefront6targetE1EEEvSM_
	.p2align	8
	.type	_ZN7rocprim17ROCPRIM_400000_NS6detail17trampoline_kernelINS0_14default_configENS1_22reduce_config_selectorIlEEZNS1_11reduce_implILb1ES3_PlS7_lN6hipcub16HIPCUB_304000_NS6detail34convert_binary_result_type_wrapperINS9_3SumENS9_22TransformInputIteratorIb7NonZeroIiEPilEElEEEE10hipError_tPvRmT1_T2_T3_mT4_P12ihipStream_tbEUlT_E1_NS1_11comp_targetILNS1_3genE0ELNS1_11target_archE4294967295ELNS1_3gpuE0ELNS1_3repE0EEENS1_30default_config_static_selectorELNS0_4arch9wavefront6targetE1EEEvSM_,@function
_ZN7rocprim17ROCPRIM_400000_NS6detail17trampoline_kernelINS0_14default_configENS1_22reduce_config_selectorIlEEZNS1_11reduce_implILb1ES3_PlS7_lN6hipcub16HIPCUB_304000_NS6detail34convert_binary_result_type_wrapperINS9_3SumENS9_22TransformInputIteratorIb7NonZeroIiEPilEElEEEE10hipError_tPvRmT1_T2_T3_mT4_P12ihipStream_tbEUlT_E1_NS1_11comp_targetILNS1_3genE0ELNS1_11target_archE4294967295ELNS1_3gpuE0ELNS1_3repE0EEENS1_30default_config_static_selectorELNS0_4arch9wavefront6targetE1EEEvSM_: ; @_ZN7rocprim17ROCPRIM_400000_NS6detail17trampoline_kernelINS0_14default_configENS1_22reduce_config_selectorIlEEZNS1_11reduce_implILb1ES3_PlS7_lN6hipcub16HIPCUB_304000_NS6detail34convert_binary_result_type_wrapperINS9_3SumENS9_22TransformInputIteratorIb7NonZeroIiEPilEElEEEE10hipError_tPvRmT1_T2_T3_mT4_P12ihipStream_tbEUlT_E1_NS1_11comp_targetILNS1_3genE0ELNS1_11target_archE4294967295ELNS1_3gpuE0ELNS1_3repE0EEENS1_30default_config_static_selectorELNS0_4arch9wavefront6targetE1EEEvSM_
; %bb.0:
	.section	.rodata,"a",@progbits
	.p2align	6, 0x0
	.amdhsa_kernel _ZN7rocprim17ROCPRIM_400000_NS6detail17trampoline_kernelINS0_14default_configENS1_22reduce_config_selectorIlEEZNS1_11reduce_implILb1ES3_PlS7_lN6hipcub16HIPCUB_304000_NS6detail34convert_binary_result_type_wrapperINS9_3SumENS9_22TransformInputIteratorIb7NonZeroIiEPilEElEEEE10hipError_tPvRmT1_T2_T3_mT4_P12ihipStream_tbEUlT_E1_NS1_11comp_targetILNS1_3genE0ELNS1_11target_archE4294967295ELNS1_3gpuE0ELNS1_3repE0EEENS1_30default_config_static_selectorELNS0_4arch9wavefront6targetE1EEEvSM_
		.amdhsa_group_segment_fixed_size 0
		.amdhsa_private_segment_fixed_size 0
		.amdhsa_kernarg_size 48
		.amdhsa_user_sgpr_count 6
		.amdhsa_user_sgpr_private_segment_buffer 1
		.amdhsa_user_sgpr_dispatch_ptr 0
		.amdhsa_user_sgpr_queue_ptr 0
		.amdhsa_user_sgpr_kernarg_segment_ptr 1
		.amdhsa_user_sgpr_dispatch_id 0
		.amdhsa_user_sgpr_flat_scratch_init 0
		.amdhsa_user_sgpr_private_segment_size 0
		.amdhsa_uses_dynamic_stack 0
		.amdhsa_system_sgpr_private_segment_wavefront_offset 0
		.amdhsa_system_sgpr_workgroup_id_x 1
		.amdhsa_system_sgpr_workgroup_id_y 0
		.amdhsa_system_sgpr_workgroup_id_z 0
		.amdhsa_system_sgpr_workgroup_info 0
		.amdhsa_system_vgpr_workitem_id 0
		.amdhsa_next_free_vgpr 1
		.amdhsa_next_free_sgpr 0
		.amdhsa_reserve_vcc 0
		.amdhsa_reserve_flat_scratch 0
		.amdhsa_float_round_mode_32 0
		.amdhsa_float_round_mode_16_64 0
		.amdhsa_float_denorm_mode_32 3
		.amdhsa_float_denorm_mode_16_64 3
		.amdhsa_dx10_clamp 1
		.amdhsa_ieee_mode 1
		.amdhsa_fp16_overflow 0
		.amdhsa_exception_fp_ieee_invalid_op 0
		.amdhsa_exception_fp_denorm_src 0
		.amdhsa_exception_fp_ieee_div_zero 0
		.amdhsa_exception_fp_ieee_overflow 0
		.amdhsa_exception_fp_ieee_underflow 0
		.amdhsa_exception_fp_ieee_inexact 0
		.amdhsa_exception_int_div_zero 0
	.end_amdhsa_kernel
	.section	.text._ZN7rocprim17ROCPRIM_400000_NS6detail17trampoline_kernelINS0_14default_configENS1_22reduce_config_selectorIlEEZNS1_11reduce_implILb1ES3_PlS7_lN6hipcub16HIPCUB_304000_NS6detail34convert_binary_result_type_wrapperINS9_3SumENS9_22TransformInputIteratorIb7NonZeroIiEPilEElEEEE10hipError_tPvRmT1_T2_T3_mT4_P12ihipStream_tbEUlT_E1_NS1_11comp_targetILNS1_3genE0ELNS1_11target_archE4294967295ELNS1_3gpuE0ELNS1_3repE0EEENS1_30default_config_static_selectorELNS0_4arch9wavefront6targetE1EEEvSM_,"axG",@progbits,_ZN7rocprim17ROCPRIM_400000_NS6detail17trampoline_kernelINS0_14default_configENS1_22reduce_config_selectorIlEEZNS1_11reduce_implILb1ES3_PlS7_lN6hipcub16HIPCUB_304000_NS6detail34convert_binary_result_type_wrapperINS9_3SumENS9_22TransformInputIteratorIb7NonZeroIiEPilEElEEEE10hipError_tPvRmT1_T2_T3_mT4_P12ihipStream_tbEUlT_E1_NS1_11comp_targetILNS1_3genE0ELNS1_11target_archE4294967295ELNS1_3gpuE0ELNS1_3repE0EEENS1_30default_config_static_selectorELNS0_4arch9wavefront6targetE1EEEvSM_,comdat
.Lfunc_end158:
	.size	_ZN7rocprim17ROCPRIM_400000_NS6detail17trampoline_kernelINS0_14default_configENS1_22reduce_config_selectorIlEEZNS1_11reduce_implILb1ES3_PlS7_lN6hipcub16HIPCUB_304000_NS6detail34convert_binary_result_type_wrapperINS9_3SumENS9_22TransformInputIteratorIb7NonZeroIiEPilEElEEEE10hipError_tPvRmT1_T2_T3_mT4_P12ihipStream_tbEUlT_E1_NS1_11comp_targetILNS1_3genE0ELNS1_11target_archE4294967295ELNS1_3gpuE0ELNS1_3repE0EEENS1_30default_config_static_selectorELNS0_4arch9wavefront6targetE1EEEvSM_, .Lfunc_end158-_ZN7rocprim17ROCPRIM_400000_NS6detail17trampoline_kernelINS0_14default_configENS1_22reduce_config_selectorIlEEZNS1_11reduce_implILb1ES3_PlS7_lN6hipcub16HIPCUB_304000_NS6detail34convert_binary_result_type_wrapperINS9_3SumENS9_22TransformInputIteratorIb7NonZeroIiEPilEElEEEE10hipError_tPvRmT1_T2_T3_mT4_P12ihipStream_tbEUlT_E1_NS1_11comp_targetILNS1_3genE0ELNS1_11target_archE4294967295ELNS1_3gpuE0ELNS1_3repE0EEENS1_30default_config_static_selectorELNS0_4arch9wavefront6targetE1EEEvSM_
                                        ; -- End function
	.set _ZN7rocprim17ROCPRIM_400000_NS6detail17trampoline_kernelINS0_14default_configENS1_22reduce_config_selectorIlEEZNS1_11reduce_implILb1ES3_PlS7_lN6hipcub16HIPCUB_304000_NS6detail34convert_binary_result_type_wrapperINS9_3SumENS9_22TransformInputIteratorIb7NonZeroIiEPilEElEEEE10hipError_tPvRmT1_T2_T3_mT4_P12ihipStream_tbEUlT_E1_NS1_11comp_targetILNS1_3genE0ELNS1_11target_archE4294967295ELNS1_3gpuE0ELNS1_3repE0EEENS1_30default_config_static_selectorELNS0_4arch9wavefront6targetE1EEEvSM_.num_vgpr, 0
	.set _ZN7rocprim17ROCPRIM_400000_NS6detail17trampoline_kernelINS0_14default_configENS1_22reduce_config_selectorIlEEZNS1_11reduce_implILb1ES3_PlS7_lN6hipcub16HIPCUB_304000_NS6detail34convert_binary_result_type_wrapperINS9_3SumENS9_22TransformInputIteratorIb7NonZeroIiEPilEElEEEE10hipError_tPvRmT1_T2_T3_mT4_P12ihipStream_tbEUlT_E1_NS1_11comp_targetILNS1_3genE0ELNS1_11target_archE4294967295ELNS1_3gpuE0ELNS1_3repE0EEENS1_30default_config_static_selectorELNS0_4arch9wavefront6targetE1EEEvSM_.num_agpr, 0
	.set _ZN7rocprim17ROCPRIM_400000_NS6detail17trampoline_kernelINS0_14default_configENS1_22reduce_config_selectorIlEEZNS1_11reduce_implILb1ES3_PlS7_lN6hipcub16HIPCUB_304000_NS6detail34convert_binary_result_type_wrapperINS9_3SumENS9_22TransformInputIteratorIb7NonZeroIiEPilEElEEEE10hipError_tPvRmT1_T2_T3_mT4_P12ihipStream_tbEUlT_E1_NS1_11comp_targetILNS1_3genE0ELNS1_11target_archE4294967295ELNS1_3gpuE0ELNS1_3repE0EEENS1_30default_config_static_selectorELNS0_4arch9wavefront6targetE1EEEvSM_.numbered_sgpr, 0
	.set _ZN7rocprim17ROCPRIM_400000_NS6detail17trampoline_kernelINS0_14default_configENS1_22reduce_config_selectorIlEEZNS1_11reduce_implILb1ES3_PlS7_lN6hipcub16HIPCUB_304000_NS6detail34convert_binary_result_type_wrapperINS9_3SumENS9_22TransformInputIteratorIb7NonZeroIiEPilEElEEEE10hipError_tPvRmT1_T2_T3_mT4_P12ihipStream_tbEUlT_E1_NS1_11comp_targetILNS1_3genE0ELNS1_11target_archE4294967295ELNS1_3gpuE0ELNS1_3repE0EEENS1_30default_config_static_selectorELNS0_4arch9wavefront6targetE1EEEvSM_.num_named_barrier, 0
	.set _ZN7rocprim17ROCPRIM_400000_NS6detail17trampoline_kernelINS0_14default_configENS1_22reduce_config_selectorIlEEZNS1_11reduce_implILb1ES3_PlS7_lN6hipcub16HIPCUB_304000_NS6detail34convert_binary_result_type_wrapperINS9_3SumENS9_22TransformInputIteratorIb7NonZeroIiEPilEElEEEE10hipError_tPvRmT1_T2_T3_mT4_P12ihipStream_tbEUlT_E1_NS1_11comp_targetILNS1_3genE0ELNS1_11target_archE4294967295ELNS1_3gpuE0ELNS1_3repE0EEENS1_30default_config_static_selectorELNS0_4arch9wavefront6targetE1EEEvSM_.private_seg_size, 0
	.set _ZN7rocprim17ROCPRIM_400000_NS6detail17trampoline_kernelINS0_14default_configENS1_22reduce_config_selectorIlEEZNS1_11reduce_implILb1ES3_PlS7_lN6hipcub16HIPCUB_304000_NS6detail34convert_binary_result_type_wrapperINS9_3SumENS9_22TransformInputIteratorIb7NonZeroIiEPilEElEEEE10hipError_tPvRmT1_T2_T3_mT4_P12ihipStream_tbEUlT_E1_NS1_11comp_targetILNS1_3genE0ELNS1_11target_archE4294967295ELNS1_3gpuE0ELNS1_3repE0EEENS1_30default_config_static_selectorELNS0_4arch9wavefront6targetE1EEEvSM_.uses_vcc, 0
	.set _ZN7rocprim17ROCPRIM_400000_NS6detail17trampoline_kernelINS0_14default_configENS1_22reduce_config_selectorIlEEZNS1_11reduce_implILb1ES3_PlS7_lN6hipcub16HIPCUB_304000_NS6detail34convert_binary_result_type_wrapperINS9_3SumENS9_22TransformInputIteratorIb7NonZeroIiEPilEElEEEE10hipError_tPvRmT1_T2_T3_mT4_P12ihipStream_tbEUlT_E1_NS1_11comp_targetILNS1_3genE0ELNS1_11target_archE4294967295ELNS1_3gpuE0ELNS1_3repE0EEENS1_30default_config_static_selectorELNS0_4arch9wavefront6targetE1EEEvSM_.uses_flat_scratch, 0
	.set _ZN7rocprim17ROCPRIM_400000_NS6detail17trampoline_kernelINS0_14default_configENS1_22reduce_config_selectorIlEEZNS1_11reduce_implILb1ES3_PlS7_lN6hipcub16HIPCUB_304000_NS6detail34convert_binary_result_type_wrapperINS9_3SumENS9_22TransformInputIteratorIb7NonZeroIiEPilEElEEEE10hipError_tPvRmT1_T2_T3_mT4_P12ihipStream_tbEUlT_E1_NS1_11comp_targetILNS1_3genE0ELNS1_11target_archE4294967295ELNS1_3gpuE0ELNS1_3repE0EEENS1_30default_config_static_selectorELNS0_4arch9wavefront6targetE1EEEvSM_.has_dyn_sized_stack, 0
	.set _ZN7rocprim17ROCPRIM_400000_NS6detail17trampoline_kernelINS0_14default_configENS1_22reduce_config_selectorIlEEZNS1_11reduce_implILb1ES3_PlS7_lN6hipcub16HIPCUB_304000_NS6detail34convert_binary_result_type_wrapperINS9_3SumENS9_22TransformInputIteratorIb7NonZeroIiEPilEElEEEE10hipError_tPvRmT1_T2_T3_mT4_P12ihipStream_tbEUlT_E1_NS1_11comp_targetILNS1_3genE0ELNS1_11target_archE4294967295ELNS1_3gpuE0ELNS1_3repE0EEENS1_30default_config_static_selectorELNS0_4arch9wavefront6targetE1EEEvSM_.has_recursion, 0
	.set _ZN7rocprim17ROCPRIM_400000_NS6detail17trampoline_kernelINS0_14default_configENS1_22reduce_config_selectorIlEEZNS1_11reduce_implILb1ES3_PlS7_lN6hipcub16HIPCUB_304000_NS6detail34convert_binary_result_type_wrapperINS9_3SumENS9_22TransformInputIteratorIb7NonZeroIiEPilEElEEEE10hipError_tPvRmT1_T2_T3_mT4_P12ihipStream_tbEUlT_E1_NS1_11comp_targetILNS1_3genE0ELNS1_11target_archE4294967295ELNS1_3gpuE0ELNS1_3repE0EEENS1_30default_config_static_selectorELNS0_4arch9wavefront6targetE1EEEvSM_.has_indirect_call, 0
	.section	.AMDGPU.csdata,"",@progbits
; Kernel info:
; codeLenInByte = 0
; TotalNumSgprs: 4
; NumVgprs: 0
; ScratchSize: 0
; MemoryBound: 0
; FloatMode: 240
; IeeeMode: 1
; LDSByteSize: 0 bytes/workgroup (compile time only)
; SGPRBlocks: 0
; VGPRBlocks: 0
; NumSGPRsForWavesPerEU: 4
; NumVGPRsForWavesPerEU: 1
; Occupancy: 10
; WaveLimiterHint : 0
; COMPUTE_PGM_RSRC2:SCRATCH_EN: 0
; COMPUTE_PGM_RSRC2:USER_SGPR: 6
; COMPUTE_PGM_RSRC2:TRAP_HANDLER: 0
; COMPUTE_PGM_RSRC2:TGID_X_EN: 1
; COMPUTE_PGM_RSRC2:TGID_Y_EN: 0
; COMPUTE_PGM_RSRC2:TGID_Z_EN: 0
; COMPUTE_PGM_RSRC2:TIDIG_COMP_CNT: 0
	.section	.text._ZN7rocprim17ROCPRIM_400000_NS6detail17trampoline_kernelINS0_14default_configENS1_22reduce_config_selectorIlEEZNS1_11reduce_implILb1ES3_PlS7_lN6hipcub16HIPCUB_304000_NS6detail34convert_binary_result_type_wrapperINS9_3SumENS9_22TransformInputIteratorIb7NonZeroIiEPilEElEEEE10hipError_tPvRmT1_T2_T3_mT4_P12ihipStream_tbEUlT_E1_NS1_11comp_targetILNS1_3genE5ELNS1_11target_archE942ELNS1_3gpuE9ELNS1_3repE0EEENS1_30default_config_static_selectorELNS0_4arch9wavefront6targetE1EEEvSM_,"axG",@progbits,_ZN7rocprim17ROCPRIM_400000_NS6detail17trampoline_kernelINS0_14default_configENS1_22reduce_config_selectorIlEEZNS1_11reduce_implILb1ES3_PlS7_lN6hipcub16HIPCUB_304000_NS6detail34convert_binary_result_type_wrapperINS9_3SumENS9_22TransformInputIteratorIb7NonZeroIiEPilEElEEEE10hipError_tPvRmT1_T2_T3_mT4_P12ihipStream_tbEUlT_E1_NS1_11comp_targetILNS1_3genE5ELNS1_11target_archE942ELNS1_3gpuE9ELNS1_3repE0EEENS1_30default_config_static_selectorELNS0_4arch9wavefront6targetE1EEEvSM_,comdat
	.protected	_ZN7rocprim17ROCPRIM_400000_NS6detail17trampoline_kernelINS0_14default_configENS1_22reduce_config_selectorIlEEZNS1_11reduce_implILb1ES3_PlS7_lN6hipcub16HIPCUB_304000_NS6detail34convert_binary_result_type_wrapperINS9_3SumENS9_22TransformInputIteratorIb7NonZeroIiEPilEElEEEE10hipError_tPvRmT1_T2_T3_mT4_P12ihipStream_tbEUlT_E1_NS1_11comp_targetILNS1_3genE5ELNS1_11target_archE942ELNS1_3gpuE9ELNS1_3repE0EEENS1_30default_config_static_selectorELNS0_4arch9wavefront6targetE1EEEvSM_ ; -- Begin function _ZN7rocprim17ROCPRIM_400000_NS6detail17trampoline_kernelINS0_14default_configENS1_22reduce_config_selectorIlEEZNS1_11reduce_implILb1ES3_PlS7_lN6hipcub16HIPCUB_304000_NS6detail34convert_binary_result_type_wrapperINS9_3SumENS9_22TransformInputIteratorIb7NonZeroIiEPilEElEEEE10hipError_tPvRmT1_T2_T3_mT4_P12ihipStream_tbEUlT_E1_NS1_11comp_targetILNS1_3genE5ELNS1_11target_archE942ELNS1_3gpuE9ELNS1_3repE0EEENS1_30default_config_static_selectorELNS0_4arch9wavefront6targetE1EEEvSM_
	.globl	_ZN7rocprim17ROCPRIM_400000_NS6detail17trampoline_kernelINS0_14default_configENS1_22reduce_config_selectorIlEEZNS1_11reduce_implILb1ES3_PlS7_lN6hipcub16HIPCUB_304000_NS6detail34convert_binary_result_type_wrapperINS9_3SumENS9_22TransformInputIteratorIb7NonZeroIiEPilEElEEEE10hipError_tPvRmT1_T2_T3_mT4_P12ihipStream_tbEUlT_E1_NS1_11comp_targetILNS1_3genE5ELNS1_11target_archE942ELNS1_3gpuE9ELNS1_3repE0EEENS1_30default_config_static_selectorELNS0_4arch9wavefront6targetE1EEEvSM_
	.p2align	8
	.type	_ZN7rocprim17ROCPRIM_400000_NS6detail17trampoline_kernelINS0_14default_configENS1_22reduce_config_selectorIlEEZNS1_11reduce_implILb1ES3_PlS7_lN6hipcub16HIPCUB_304000_NS6detail34convert_binary_result_type_wrapperINS9_3SumENS9_22TransformInputIteratorIb7NonZeroIiEPilEElEEEE10hipError_tPvRmT1_T2_T3_mT4_P12ihipStream_tbEUlT_E1_NS1_11comp_targetILNS1_3genE5ELNS1_11target_archE942ELNS1_3gpuE9ELNS1_3repE0EEENS1_30default_config_static_selectorELNS0_4arch9wavefront6targetE1EEEvSM_,@function
_ZN7rocprim17ROCPRIM_400000_NS6detail17trampoline_kernelINS0_14default_configENS1_22reduce_config_selectorIlEEZNS1_11reduce_implILb1ES3_PlS7_lN6hipcub16HIPCUB_304000_NS6detail34convert_binary_result_type_wrapperINS9_3SumENS9_22TransformInputIteratorIb7NonZeroIiEPilEElEEEE10hipError_tPvRmT1_T2_T3_mT4_P12ihipStream_tbEUlT_E1_NS1_11comp_targetILNS1_3genE5ELNS1_11target_archE942ELNS1_3gpuE9ELNS1_3repE0EEENS1_30default_config_static_selectorELNS0_4arch9wavefront6targetE1EEEvSM_: ; @_ZN7rocprim17ROCPRIM_400000_NS6detail17trampoline_kernelINS0_14default_configENS1_22reduce_config_selectorIlEEZNS1_11reduce_implILb1ES3_PlS7_lN6hipcub16HIPCUB_304000_NS6detail34convert_binary_result_type_wrapperINS9_3SumENS9_22TransformInputIteratorIb7NonZeroIiEPilEElEEEE10hipError_tPvRmT1_T2_T3_mT4_P12ihipStream_tbEUlT_E1_NS1_11comp_targetILNS1_3genE5ELNS1_11target_archE942ELNS1_3gpuE9ELNS1_3repE0EEENS1_30default_config_static_selectorELNS0_4arch9wavefront6targetE1EEEvSM_
; %bb.0:
	.section	.rodata,"a",@progbits
	.p2align	6, 0x0
	.amdhsa_kernel _ZN7rocprim17ROCPRIM_400000_NS6detail17trampoline_kernelINS0_14default_configENS1_22reduce_config_selectorIlEEZNS1_11reduce_implILb1ES3_PlS7_lN6hipcub16HIPCUB_304000_NS6detail34convert_binary_result_type_wrapperINS9_3SumENS9_22TransformInputIteratorIb7NonZeroIiEPilEElEEEE10hipError_tPvRmT1_T2_T3_mT4_P12ihipStream_tbEUlT_E1_NS1_11comp_targetILNS1_3genE5ELNS1_11target_archE942ELNS1_3gpuE9ELNS1_3repE0EEENS1_30default_config_static_selectorELNS0_4arch9wavefront6targetE1EEEvSM_
		.amdhsa_group_segment_fixed_size 0
		.amdhsa_private_segment_fixed_size 0
		.amdhsa_kernarg_size 48
		.amdhsa_user_sgpr_count 6
		.amdhsa_user_sgpr_private_segment_buffer 1
		.amdhsa_user_sgpr_dispatch_ptr 0
		.amdhsa_user_sgpr_queue_ptr 0
		.amdhsa_user_sgpr_kernarg_segment_ptr 1
		.amdhsa_user_sgpr_dispatch_id 0
		.amdhsa_user_sgpr_flat_scratch_init 0
		.amdhsa_user_sgpr_private_segment_size 0
		.amdhsa_uses_dynamic_stack 0
		.amdhsa_system_sgpr_private_segment_wavefront_offset 0
		.amdhsa_system_sgpr_workgroup_id_x 1
		.amdhsa_system_sgpr_workgroup_id_y 0
		.amdhsa_system_sgpr_workgroup_id_z 0
		.amdhsa_system_sgpr_workgroup_info 0
		.amdhsa_system_vgpr_workitem_id 0
		.amdhsa_next_free_vgpr 1
		.amdhsa_next_free_sgpr 0
		.amdhsa_reserve_vcc 0
		.amdhsa_reserve_flat_scratch 0
		.amdhsa_float_round_mode_32 0
		.amdhsa_float_round_mode_16_64 0
		.amdhsa_float_denorm_mode_32 3
		.amdhsa_float_denorm_mode_16_64 3
		.amdhsa_dx10_clamp 1
		.amdhsa_ieee_mode 1
		.amdhsa_fp16_overflow 0
		.amdhsa_exception_fp_ieee_invalid_op 0
		.amdhsa_exception_fp_denorm_src 0
		.amdhsa_exception_fp_ieee_div_zero 0
		.amdhsa_exception_fp_ieee_overflow 0
		.amdhsa_exception_fp_ieee_underflow 0
		.amdhsa_exception_fp_ieee_inexact 0
		.amdhsa_exception_int_div_zero 0
	.end_amdhsa_kernel
	.section	.text._ZN7rocprim17ROCPRIM_400000_NS6detail17trampoline_kernelINS0_14default_configENS1_22reduce_config_selectorIlEEZNS1_11reduce_implILb1ES3_PlS7_lN6hipcub16HIPCUB_304000_NS6detail34convert_binary_result_type_wrapperINS9_3SumENS9_22TransformInputIteratorIb7NonZeroIiEPilEElEEEE10hipError_tPvRmT1_T2_T3_mT4_P12ihipStream_tbEUlT_E1_NS1_11comp_targetILNS1_3genE5ELNS1_11target_archE942ELNS1_3gpuE9ELNS1_3repE0EEENS1_30default_config_static_selectorELNS0_4arch9wavefront6targetE1EEEvSM_,"axG",@progbits,_ZN7rocprim17ROCPRIM_400000_NS6detail17trampoline_kernelINS0_14default_configENS1_22reduce_config_selectorIlEEZNS1_11reduce_implILb1ES3_PlS7_lN6hipcub16HIPCUB_304000_NS6detail34convert_binary_result_type_wrapperINS9_3SumENS9_22TransformInputIteratorIb7NonZeroIiEPilEElEEEE10hipError_tPvRmT1_T2_T3_mT4_P12ihipStream_tbEUlT_E1_NS1_11comp_targetILNS1_3genE5ELNS1_11target_archE942ELNS1_3gpuE9ELNS1_3repE0EEENS1_30default_config_static_selectorELNS0_4arch9wavefront6targetE1EEEvSM_,comdat
.Lfunc_end159:
	.size	_ZN7rocprim17ROCPRIM_400000_NS6detail17trampoline_kernelINS0_14default_configENS1_22reduce_config_selectorIlEEZNS1_11reduce_implILb1ES3_PlS7_lN6hipcub16HIPCUB_304000_NS6detail34convert_binary_result_type_wrapperINS9_3SumENS9_22TransformInputIteratorIb7NonZeroIiEPilEElEEEE10hipError_tPvRmT1_T2_T3_mT4_P12ihipStream_tbEUlT_E1_NS1_11comp_targetILNS1_3genE5ELNS1_11target_archE942ELNS1_3gpuE9ELNS1_3repE0EEENS1_30default_config_static_selectorELNS0_4arch9wavefront6targetE1EEEvSM_, .Lfunc_end159-_ZN7rocprim17ROCPRIM_400000_NS6detail17trampoline_kernelINS0_14default_configENS1_22reduce_config_selectorIlEEZNS1_11reduce_implILb1ES3_PlS7_lN6hipcub16HIPCUB_304000_NS6detail34convert_binary_result_type_wrapperINS9_3SumENS9_22TransformInputIteratorIb7NonZeroIiEPilEElEEEE10hipError_tPvRmT1_T2_T3_mT4_P12ihipStream_tbEUlT_E1_NS1_11comp_targetILNS1_3genE5ELNS1_11target_archE942ELNS1_3gpuE9ELNS1_3repE0EEENS1_30default_config_static_selectorELNS0_4arch9wavefront6targetE1EEEvSM_
                                        ; -- End function
	.set _ZN7rocprim17ROCPRIM_400000_NS6detail17trampoline_kernelINS0_14default_configENS1_22reduce_config_selectorIlEEZNS1_11reduce_implILb1ES3_PlS7_lN6hipcub16HIPCUB_304000_NS6detail34convert_binary_result_type_wrapperINS9_3SumENS9_22TransformInputIteratorIb7NonZeroIiEPilEElEEEE10hipError_tPvRmT1_T2_T3_mT4_P12ihipStream_tbEUlT_E1_NS1_11comp_targetILNS1_3genE5ELNS1_11target_archE942ELNS1_3gpuE9ELNS1_3repE0EEENS1_30default_config_static_selectorELNS0_4arch9wavefront6targetE1EEEvSM_.num_vgpr, 0
	.set _ZN7rocprim17ROCPRIM_400000_NS6detail17trampoline_kernelINS0_14default_configENS1_22reduce_config_selectorIlEEZNS1_11reduce_implILb1ES3_PlS7_lN6hipcub16HIPCUB_304000_NS6detail34convert_binary_result_type_wrapperINS9_3SumENS9_22TransformInputIteratorIb7NonZeroIiEPilEElEEEE10hipError_tPvRmT1_T2_T3_mT4_P12ihipStream_tbEUlT_E1_NS1_11comp_targetILNS1_3genE5ELNS1_11target_archE942ELNS1_3gpuE9ELNS1_3repE0EEENS1_30default_config_static_selectorELNS0_4arch9wavefront6targetE1EEEvSM_.num_agpr, 0
	.set _ZN7rocprim17ROCPRIM_400000_NS6detail17trampoline_kernelINS0_14default_configENS1_22reduce_config_selectorIlEEZNS1_11reduce_implILb1ES3_PlS7_lN6hipcub16HIPCUB_304000_NS6detail34convert_binary_result_type_wrapperINS9_3SumENS9_22TransformInputIteratorIb7NonZeroIiEPilEElEEEE10hipError_tPvRmT1_T2_T3_mT4_P12ihipStream_tbEUlT_E1_NS1_11comp_targetILNS1_3genE5ELNS1_11target_archE942ELNS1_3gpuE9ELNS1_3repE0EEENS1_30default_config_static_selectorELNS0_4arch9wavefront6targetE1EEEvSM_.numbered_sgpr, 0
	.set _ZN7rocprim17ROCPRIM_400000_NS6detail17trampoline_kernelINS0_14default_configENS1_22reduce_config_selectorIlEEZNS1_11reduce_implILb1ES3_PlS7_lN6hipcub16HIPCUB_304000_NS6detail34convert_binary_result_type_wrapperINS9_3SumENS9_22TransformInputIteratorIb7NonZeroIiEPilEElEEEE10hipError_tPvRmT1_T2_T3_mT4_P12ihipStream_tbEUlT_E1_NS1_11comp_targetILNS1_3genE5ELNS1_11target_archE942ELNS1_3gpuE9ELNS1_3repE0EEENS1_30default_config_static_selectorELNS0_4arch9wavefront6targetE1EEEvSM_.num_named_barrier, 0
	.set _ZN7rocprim17ROCPRIM_400000_NS6detail17trampoline_kernelINS0_14default_configENS1_22reduce_config_selectorIlEEZNS1_11reduce_implILb1ES3_PlS7_lN6hipcub16HIPCUB_304000_NS6detail34convert_binary_result_type_wrapperINS9_3SumENS9_22TransformInputIteratorIb7NonZeroIiEPilEElEEEE10hipError_tPvRmT1_T2_T3_mT4_P12ihipStream_tbEUlT_E1_NS1_11comp_targetILNS1_3genE5ELNS1_11target_archE942ELNS1_3gpuE9ELNS1_3repE0EEENS1_30default_config_static_selectorELNS0_4arch9wavefront6targetE1EEEvSM_.private_seg_size, 0
	.set _ZN7rocprim17ROCPRIM_400000_NS6detail17trampoline_kernelINS0_14default_configENS1_22reduce_config_selectorIlEEZNS1_11reduce_implILb1ES3_PlS7_lN6hipcub16HIPCUB_304000_NS6detail34convert_binary_result_type_wrapperINS9_3SumENS9_22TransformInputIteratorIb7NonZeroIiEPilEElEEEE10hipError_tPvRmT1_T2_T3_mT4_P12ihipStream_tbEUlT_E1_NS1_11comp_targetILNS1_3genE5ELNS1_11target_archE942ELNS1_3gpuE9ELNS1_3repE0EEENS1_30default_config_static_selectorELNS0_4arch9wavefront6targetE1EEEvSM_.uses_vcc, 0
	.set _ZN7rocprim17ROCPRIM_400000_NS6detail17trampoline_kernelINS0_14default_configENS1_22reduce_config_selectorIlEEZNS1_11reduce_implILb1ES3_PlS7_lN6hipcub16HIPCUB_304000_NS6detail34convert_binary_result_type_wrapperINS9_3SumENS9_22TransformInputIteratorIb7NonZeroIiEPilEElEEEE10hipError_tPvRmT1_T2_T3_mT4_P12ihipStream_tbEUlT_E1_NS1_11comp_targetILNS1_3genE5ELNS1_11target_archE942ELNS1_3gpuE9ELNS1_3repE0EEENS1_30default_config_static_selectorELNS0_4arch9wavefront6targetE1EEEvSM_.uses_flat_scratch, 0
	.set _ZN7rocprim17ROCPRIM_400000_NS6detail17trampoline_kernelINS0_14default_configENS1_22reduce_config_selectorIlEEZNS1_11reduce_implILb1ES3_PlS7_lN6hipcub16HIPCUB_304000_NS6detail34convert_binary_result_type_wrapperINS9_3SumENS9_22TransformInputIteratorIb7NonZeroIiEPilEElEEEE10hipError_tPvRmT1_T2_T3_mT4_P12ihipStream_tbEUlT_E1_NS1_11comp_targetILNS1_3genE5ELNS1_11target_archE942ELNS1_3gpuE9ELNS1_3repE0EEENS1_30default_config_static_selectorELNS0_4arch9wavefront6targetE1EEEvSM_.has_dyn_sized_stack, 0
	.set _ZN7rocprim17ROCPRIM_400000_NS6detail17trampoline_kernelINS0_14default_configENS1_22reduce_config_selectorIlEEZNS1_11reduce_implILb1ES3_PlS7_lN6hipcub16HIPCUB_304000_NS6detail34convert_binary_result_type_wrapperINS9_3SumENS9_22TransformInputIteratorIb7NonZeroIiEPilEElEEEE10hipError_tPvRmT1_T2_T3_mT4_P12ihipStream_tbEUlT_E1_NS1_11comp_targetILNS1_3genE5ELNS1_11target_archE942ELNS1_3gpuE9ELNS1_3repE0EEENS1_30default_config_static_selectorELNS0_4arch9wavefront6targetE1EEEvSM_.has_recursion, 0
	.set _ZN7rocprim17ROCPRIM_400000_NS6detail17trampoline_kernelINS0_14default_configENS1_22reduce_config_selectorIlEEZNS1_11reduce_implILb1ES3_PlS7_lN6hipcub16HIPCUB_304000_NS6detail34convert_binary_result_type_wrapperINS9_3SumENS9_22TransformInputIteratorIb7NonZeroIiEPilEElEEEE10hipError_tPvRmT1_T2_T3_mT4_P12ihipStream_tbEUlT_E1_NS1_11comp_targetILNS1_3genE5ELNS1_11target_archE942ELNS1_3gpuE9ELNS1_3repE0EEENS1_30default_config_static_selectorELNS0_4arch9wavefront6targetE1EEEvSM_.has_indirect_call, 0
	.section	.AMDGPU.csdata,"",@progbits
; Kernel info:
; codeLenInByte = 0
; TotalNumSgprs: 4
; NumVgprs: 0
; ScratchSize: 0
; MemoryBound: 0
; FloatMode: 240
; IeeeMode: 1
; LDSByteSize: 0 bytes/workgroup (compile time only)
; SGPRBlocks: 0
; VGPRBlocks: 0
; NumSGPRsForWavesPerEU: 4
; NumVGPRsForWavesPerEU: 1
; Occupancy: 10
; WaveLimiterHint : 0
; COMPUTE_PGM_RSRC2:SCRATCH_EN: 0
; COMPUTE_PGM_RSRC2:USER_SGPR: 6
; COMPUTE_PGM_RSRC2:TRAP_HANDLER: 0
; COMPUTE_PGM_RSRC2:TGID_X_EN: 1
; COMPUTE_PGM_RSRC2:TGID_Y_EN: 0
; COMPUTE_PGM_RSRC2:TGID_Z_EN: 0
; COMPUTE_PGM_RSRC2:TIDIG_COMP_CNT: 0
	.section	.text._ZN7rocprim17ROCPRIM_400000_NS6detail17trampoline_kernelINS0_14default_configENS1_22reduce_config_selectorIlEEZNS1_11reduce_implILb1ES3_PlS7_lN6hipcub16HIPCUB_304000_NS6detail34convert_binary_result_type_wrapperINS9_3SumENS9_22TransformInputIteratorIb7NonZeroIiEPilEElEEEE10hipError_tPvRmT1_T2_T3_mT4_P12ihipStream_tbEUlT_E1_NS1_11comp_targetILNS1_3genE4ELNS1_11target_archE910ELNS1_3gpuE8ELNS1_3repE0EEENS1_30default_config_static_selectorELNS0_4arch9wavefront6targetE1EEEvSM_,"axG",@progbits,_ZN7rocprim17ROCPRIM_400000_NS6detail17trampoline_kernelINS0_14default_configENS1_22reduce_config_selectorIlEEZNS1_11reduce_implILb1ES3_PlS7_lN6hipcub16HIPCUB_304000_NS6detail34convert_binary_result_type_wrapperINS9_3SumENS9_22TransformInputIteratorIb7NonZeroIiEPilEElEEEE10hipError_tPvRmT1_T2_T3_mT4_P12ihipStream_tbEUlT_E1_NS1_11comp_targetILNS1_3genE4ELNS1_11target_archE910ELNS1_3gpuE8ELNS1_3repE0EEENS1_30default_config_static_selectorELNS0_4arch9wavefront6targetE1EEEvSM_,comdat
	.protected	_ZN7rocprim17ROCPRIM_400000_NS6detail17trampoline_kernelINS0_14default_configENS1_22reduce_config_selectorIlEEZNS1_11reduce_implILb1ES3_PlS7_lN6hipcub16HIPCUB_304000_NS6detail34convert_binary_result_type_wrapperINS9_3SumENS9_22TransformInputIteratorIb7NonZeroIiEPilEElEEEE10hipError_tPvRmT1_T2_T3_mT4_P12ihipStream_tbEUlT_E1_NS1_11comp_targetILNS1_3genE4ELNS1_11target_archE910ELNS1_3gpuE8ELNS1_3repE0EEENS1_30default_config_static_selectorELNS0_4arch9wavefront6targetE1EEEvSM_ ; -- Begin function _ZN7rocprim17ROCPRIM_400000_NS6detail17trampoline_kernelINS0_14default_configENS1_22reduce_config_selectorIlEEZNS1_11reduce_implILb1ES3_PlS7_lN6hipcub16HIPCUB_304000_NS6detail34convert_binary_result_type_wrapperINS9_3SumENS9_22TransformInputIteratorIb7NonZeroIiEPilEElEEEE10hipError_tPvRmT1_T2_T3_mT4_P12ihipStream_tbEUlT_E1_NS1_11comp_targetILNS1_3genE4ELNS1_11target_archE910ELNS1_3gpuE8ELNS1_3repE0EEENS1_30default_config_static_selectorELNS0_4arch9wavefront6targetE1EEEvSM_
	.globl	_ZN7rocprim17ROCPRIM_400000_NS6detail17trampoline_kernelINS0_14default_configENS1_22reduce_config_selectorIlEEZNS1_11reduce_implILb1ES3_PlS7_lN6hipcub16HIPCUB_304000_NS6detail34convert_binary_result_type_wrapperINS9_3SumENS9_22TransformInputIteratorIb7NonZeroIiEPilEElEEEE10hipError_tPvRmT1_T2_T3_mT4_P12ihipStream_tbEUlT_E1_NS1_11comp_targetILNS1_3genE4ELNS1_11target_archE910ELNS1_3gpuE8ELNS1_3repE0EEENS1_30default_config_static_selectorELNS0_4arch9wavefront6targetE1EEEvSM_
	.p2align	8
	.type	_ZN7rocprim17ROCPRIM_400000_NS6detail17trampoline_kernelINS0_14default_configENS1_22reduce_config_selectorIlEEZNS1_11reduce_implILb1ES3_PlS7_lN6hipcub16HIPCUB_304000_NS6detail34convert_binary_result_type_wrapperINS9_3SumENS9_22TransformInputIteratorIb7NonZeroIiEPilEElEEEE10hipError_tPvRmT1_T2_T3_mT4_P12ihipStream_tbEUlT_E1_NS1_11comp_targetILNS1_3genE4ELNS1_11target_archE910ELNS1_3gpuE8ELNS1_3repE0EEENS1_30default_config_static_selectorELNS0_4arch9wavefront6targetE1EEEvSM_,@function
_ZN7rocprim17ROCPRIM_400000_NS6detail17trampoline_kernelINS0_14default_configENS1_22reduce_config_selectorIlEEZNS1_11reduce_implILb1ES3_PlS7_lN6hipcub16HIPCUB_304000_NS6detail34convert_binary_result_type_wrapperINS9_3SumENS9_22TransformInputIteratorIb7NonZeroIiEPilEElEEEE10hipError_tPvRmT1_T2_T3_mT4_P12ihipStream_tbEUlT_E1_NS1_11comp_targetILNS1_3genE4ELNS1_11target_archE910ELNS1_3gpuE8ELNS1_3repE0EEENS1_30default_config_static_selectorELNS0_4arch9wavefront6targetE1EEEvSM_: ; @_ZN7rocprim17ROCPRIM_400000_NS6detail17trampoline_kernelINS0_14default_configENS1_22reduce_config_selectorIlEEZNS1_11reduce_implILb1ES3_PlS7_lN6hipcub16HIPCUB_304000_NS6detail34convert_binary_result_type_wrapperINS9_3SumENS9_22TransformInputIteratorIb7NonZeroIiEPilEElEEEE10hipError_tPvRmT1_T2_T3_mT4_P12ihipStream_tbEUlT_E1_NS1_11comp_targetILNS1_3genE4ELNS1_11target_archE910ELNS1_3gpuE8ELNS1_3repE0EEENS1_30default_config_static_selectorELNS0_4arch9wavefront6targetE1EEEvSM_
; %bb.0:
	.section	.rodata,"a",@progbits
	.p2align	6, 0x0
	.amdhsa_kernel _ZN7rocprim17ROCPRIM_400000_NS6detail17trampoline_kernelINS0_14default_configENS1_22reduce_config_selectorIlEEZNS1_11reduce_implILb1ES3_PlS7_lN6hipcub16HIPCUB_304000_NS6detail34convert_binary_result_type_wrapperINS9_3SumENS9_22TransformInputIteratorIb7NonZeroIiEPilEElEEEE10hipError_tPvRmT1_T2_T3_mT4_P12ihipStream_tbEUlT_E1_NS1_11comp_targetILNS1_3genE4ELNS1_11target_archE910ELNS1_3gpuE8ELNS1_3repE0EEENS1_30default_config_static_selectorELNS0_4arch9wavefront6targetE1EEEvSM_
		.amdhsa_group_segment_fixed_size 0
		.amdhsa_private_segment_fixed_size 0
		.amdhsa_kernarg_size 48
		.amdhsa_user_sgpr_count 6
		.amdhsa_user_sgpr_private_segment_buffer 1
		.amdhsa_user_sgpr_dispatch_ptr 0
		.amdhsa_user_sgpr_queue_ptr 0
		.amdhsa_user_sgpr_kernarg_segment_ptr 1
		.amdhsa_user_sgpr_dispatch_id 0
		.amdhsa_user_sgpr_flat_scratch_init 0
		.amdhsa_user_sgpr_private_segment_size 0
		.amdhsa_uses_dynamic_stack 0
		.amdhsa_system_sgpr_private_segment_wavefront_offset 0
		.amdhsa_system_sgpr_workgroup_id_x 1
		.amdhsa_system_sgpr_workgroup_id_y 0
		.amdhsa_system_sgpr_workgroup_id_z 0
		.amdhsa_system_sgpr_workgroup_info 0
		.amdhsa_system_vgpr_workitem_id 0
		.amdhsa_next_free_vgpr 1
		.amdhsa_next_free_sgpr 0
		.amdhsa_reserve_vcc 0
		.amdhsa_reserve_flat_scratch 0
		.amdhsa_float_round_mode_32 0
		.amdhsa_float_round_mode_16_64 0
		.amdhsa_float_denorm_mode_32 3
		.amdhsa_float_denorm_mode_16_64 3
		.amdhsa_dx10_clamp 1
		.amdhsa_ieee_mode 1
		.amdhsa_fp16_overflow 0
		.amdhsa_exception_fp_ieee_invalid_op 0
		.amdhsa_exception_fp_denorm_src 0
		.amdhsa_exception_fp_ieee_div_zero 0
		.amdhsa_exception_fp_ieee_overflow 0
		.amdhsa_exception_fp_ieee_underflow 0
		.amdhsa_exception_fp_ieee_inexact 0
		.amdhsa_exception_int_div_zero 0
	.end_amdhsa_kernel
	.section	.text._ZN7rocprim17ROCPRIM_400000_NS6detail17trampoline_kernelINS0_14default_configENS1_22reduce_config_selectorIlEEZNS1_11reduce_implILb1ES3_PlS7_lN6hipcub16HIPCUB_304000_NS6detail34convert_binary_result_type_wrapperINS9_3SumENS9_22TransformInputIteratorIb7NonZeroIiEPilEElEEEE10hipError_tPvRmT1_T2_T3_mT4_P12ihipStream_tbEUlT_E1_NS1_11comp_targetILNS1_3genE4ELNS1_11target_archE910ELNS1_3gpuE8ELNS1_3repE0EEENS1_30default_config_static_selectorELNS0_4arch9wavefront6targetE1EEEvSM_,"axG",@progbits,_ZN7rocprim17ROCPRIM_400000_NS6detail17trampoline_kernelINS0_14default_configENS1_22reduce_config_selectorIlEEZNS1_11reduce_implILb1ES3_PlS7_lN6hipcub16HIPCUB_304000_NS6detail34convert_binary_result_type_wrapperINS9_3SumENS9_22TransformInputIteratorIb7NonZeroIiEPilEElEEEE10hipError_tPvRmT1_T2_T3_mT4_P12ihipStream_tbEUlT_E1_NS1_11comp_targetILNS1_3genE4ELNS1_11target_archE910ELNS1_3gpuE8ELNS1_3repE0EEENS1_30default_config_static_selectorELNS0_4arch9wavefront6targetE1EEEvSM_,comdat
.Lfunc_end160:
	.size	_ZN7rocprim17ROCPRIM_400000_NS6detail17trampoline_kernelINS0_14default_configENS1_22reduce_config_selectorIlEEZNS1_11reduce_implILb1ES3_PlS7_lN6hipcub16HIPCUB_304000_NS6detail34convert_binary_result_type_wrapperINS9_3SumENS9_22TransformInputIteratorIb7NonZeroIiEPilEElEEEE10hipError_tPvRmT1_T2_T3_mT4_P12ihipStream_tbEUlT_E1_NS1_11comp_targetILNS1_3genE4ELNS1_11target_archE910ELNS1_3gpuE8ELNS1_3repE0EEENS1_30default_config_static_selectorELNS0_4arch9wavefront6targetE1EEEvSM_, .Lfunc_end160-_ZN7rocprim17ROCPRIM_400000_NS6detail17trampoline_kernelINS0_14default_configENS1_22reduce_config_selectorIlEEZNS1_11reduce_implILb1ES3_PlS7_lN6hipcub16HIPCUB_304000_NS6detail34convert_binary_result_type_wrapperINS9_3SumENS9_22TransformInputIteratorIb7NonZeroIiEPilEElEEEE10hipError_tPvRmT1_T2_T3_mT4_P12ihipStream_tbEUlT_E1_NS1_11comp_targetILNS1_3genE4ELNS1_11target_archE910ELNS1_3gpuE8ELNS1_3repE0EEENS1_30default_config_static_selectorELNS0_4arch9wavefront6targetE1EEEvSM_
                                        ; -- End function
	.set _ZN7rocprim17ROCPRIM_400000_NS6detail17trampoline_kernelINS0_14default_configENS1_22reduce_config_selectorIlEEZNS1_11reduce_implILb1ES3_PlS7_lN6hipcub16HIPCUB_304000_NS6detail34convert_binary_result_type_wrapperINS9_3SumENS9_22TransformInputIteratorIb7NonZeroIiEPilEElEEEE10hipError_tPvRmT1_T2_T3_mT4_P12ihipStream_tbEUlT_E1_NS1_11comp_targetILNS1_3genE4ELNS1_11target_archE910ELNS1_3gpuE8ELNS1_3repE0EEENS1_30default_config_static_selectorELNS0_4arch9wavefront6targetE1EEEvSM_.num_vgpr, 0
	.set _ZN7rocprim17ROCPRIM_400000_NS6detail17trampoline_kernelINS0_14default_configENS1_22reduce_config_selectorIlEEZNS1_11reduce_implILb1ES3_PlS7_lN6hipcub16HIPCUB_304000_NS6detail34convert_binary_result_type_wrapperINS9_3SumENS9_22TransformInputIteratorIb7NonZeroIiEPilEElEEEE10hipError_tPvRmT1_T2_T3_mT4_P12ihipStream_tbEUlT_E1_NS1_11comp_targetILNS1_3genE4ELNS1_11target_archE910ELNS1_3gpuE8ELNS1_3repE0EEENS1_30default_config_static_selectorELNS0_4arch9wavefront6targetE1EEEvSM_.num_agpr, 0
	.set _ZN7rocprim17ROCPRIM_400000_NS6detail17trampoline_kernelINS0_14default_configENS1_22reduce_config_selectorIlEEZNS1_11reduce_implILb1ES3_PlS7_lN6hipcub16HIPCUB_304000_NS6detail34convert_binary_result_type_wrapperINS9_3SumENS9_22TransformInputIteratorIb7NonZeroIiEPilEElEEEE10hipError_tPvRmT1_T2_T3_mT4_P12ihipStream_tbEUlT_E1_NS1_11comp_targetILNS1_3genE4ELNS1_11target_archE910ELNS1_3gpuE8ELNS1_3repE0EEENS1_30default_config_static_selectorELNS0_4arch9wavefront6targetE1EEEvSM_.numbered_sgpr, 0
	.set _ZN7rocprim17ROCPRIM_400000_NS6detail17trampoline_kernelINS0_14default_configENS1_22reduce_config_selectorIlEEZNS1_11reduce_implILb1ES3_PlS7_lN6hipcub16HIPCUB_304000_NS6detail34convert_binary_result_type_wrapperINS9_3SumENS9_22TransformInputIteratorIb7NonZeroIiEPilEElEEEE10hipError_tPvRmT1_T2_T3_mT4_P12ihipStream_tbEUlT_E1_NS1_11comp_targetILNS1_3genE4ELNS1_11target_archE910ELNS1_3gpuE8ELNS1_3repE0EEENS1_30default_config_static_selectorELNS0_4arch9wavefront6targetE1EEEvSM_.num_named_barrier, 0
	.set _ZN7rocprim17ROCPRIM_400000_NS6detail17trampoline_kernelINS0_14default_configENS1_22reduce_config_selectorIlEEZNS1_11reduce_implILb1ES3_PlS7_lN6hipcub16HIPCUB_304000_NS6detail34convert_binary_result_type_wrapperINS9_3SumENS9_22TransformInputIteratorIb7NonZeroIiEPilEElEEEE10hipError_tPvRmT1_T2_T3_mT4_P12ihipStream_tbEUlT_E1_NS1_11comp_targetILNS1_3genE4ELNS1_11target_archE910ELNS1_3gpuE8ELNS1_3repE0EEENS1_30default_config_static_selectorELNS0_4arch9wavefront6targetE1EEEvSM_.private_seg_size, 0
	.set _ZN7rocprim17ROCPRIM_400000_NS6detail17trampoline_kernelINS0_14default_configENS1_22reduce_config_selectorIlEEZNS1_11reduce_implILb1ES3_PlS7_lN6hipcub16HIPCUB_304000_NS6detail34convert_binary_result_type_wrapperINS9_3SumENS9_22TransformInputIteratorIb7NonZeroIiEPilEElEEEE10hipError_tPvRmT1_T2_T3_mT4_P12ihipStream_tbEUlT_E1_NS1_11comp_targetILNS1_3genE4ELNS1_11target_archE910ELNS1_3gpuE8ELNS1_3repE0EEENS1_30default_config_static_selectorELNS0_4arch9wavefront6targetE1EEEvSM_.uses_vcc, 0
	.set _ZN7rocprim17ROCPRIM_400000_NS6detail17trampoline_kernelINS0_14default_configENS1_22reduce_config_selectorIlEEZNS1_11reduce_implILb1ES3_PlS7_lN6hipcub16HIPCUB_304000_NS6detail34convert_binary_result_type_wrapperINS9_3SumENS9_22TransformInputIteratorIb7NonZeroIiEPilEElEEEE10hipError_tPvRmT1_T2_T3_mT4_P12ihipStream_tbEUlT_E1_NS1_11comp_targetILNS1_3genE4ELNS1_11target_archE910ELNS1_3gpuE8ELNS1_3repE0EEENS1_30default_config_static_selectorELNS0_4arch9wavefront6targetE1EEEvSM_.uses_flat_scratch, 0
	.set _ZN7rocprim17ROCPRIM_400000_NS6detail17trampoline_kernelINS0_14default_configENS1_22reduce_config_selectorIlEEZNS1_11reduce_implILb1ES3_PlS7_lN6hipcub16HIPCUB_304000_NS6detail34convert_binary_result_type_wrapperINS9_3SumENS9_22TransformInputIteratorIb7NonZeroIiEPilEElEEEE10hipError_tPvRmT1_T2_T3_mT4_P12ihipStream_tbEUlT_E1_NS1_11comp_targetILNS1_3genE4ELNS1_11target_archE910ELNS1_3gpuE8ELNS1_3repE0EEENS1_30default_config_static_selectorELNS0_4arch9wavefront6targetE1EEEvSM_.has_dyn_sized_stack, 0
	.set _ZN7rocprim17ROCPRIM_400000_NS6detail17trampoline_kernelINS0_14default_configENS1_22reduce_config_selectorIlEEZNS1_11reduce_implILb1ES3_PlS7_lN6hipcub16HIPCUB_304000_NS6detail34convert_binary_result_type_wrapperINS9_3SumENS9_22TransformInputIteratorIb7NonZeroIiEPilEElEEEE10hipError_tPvRmT1_T2_T3_mT4_P12ihipStream_tbEUlT_E1_NS1_11comp_targetILNS1_3genE4ELNS1_11target_archE910ELNS1_3gpuE8ELNS1_3repE0EEENS1_30default_config_static_selectorELNS0_4arch9wavefront6targetE1EEEvSM_.has_recursion, 0
	.set _ZN7rocprim17ROCPRIM_400000_NS6detail17trampoline_kernelINS0_14default_configENS1_22reduce_config_selectorIlEEZNS1_11reduce_implILb1ES3_PlS7_lN6hipcub16HIPCUB_304000_NS6detail34convert_binary_result_type_wrapperINS9_3SumENS9_22TransformInputIteratorIb7NonZeroIiEPilEElEEEE10hipError_tPvRmT1_T2_T3_mT4_P12ihipStream_tbEUlT_E1_NS1_11comp_targetILNS1_3genE4ELNS1_11target_archE910ELNS1_3gpuE8ELNS1_3repE0EEENS1_30default_config_static_selectorELNS0_4arch9wavefront6targetE1EEEvSM_.has_indirect_call, 0
	.section	.AMDGPU.csdata,"",@progbits
; Kernel info:
; codeLenInByte = 0
; TotalNumSgprs: 4
; NumVgprs: 0
; ScratchSize: 0
; MemoryBound: 0
; FloatMode: 240
; IeeeMode: 1
; LDSByteSize: 0 bytes/workgroup (compile time only)
; SGPRBlocks: 0
; VGPRBlocks: 0
; NumSGPRsForWavesPerEU: 4
; NumVGPRsForWavesPerEU: 1
; Occupancy: 10
; WaveLimiterHint : 0
; COMPUTE_PGM_RSRC2:SCRATCH_EN: 0
; COMPUTE_PGM_RSRC2:USER_SGPR: 6
; COMPUTE_PGM_RSRC2:TRAP_HANDLER: 0
; COMPUTE_PGM_RSRC2:TGID_X_EN: 1
; COMPUTE_PGM_RSRC2:TGID_Y_EN: 0
; COMPUTE_PGM_RSRC2:TGID_Z_EN: 0
; COMPUTE_PGM_RSRC2:TIDIG_COMP_CNT: 0
	.section	.text._ZN7rocprim17ROCPRIM_400000_NS6detail17trampoline_kernelINS0_14default_configENS1_22reduce_config_selectorIlEEZNS1_11reduce_implILb1ES3_PlS7_lN6hipcub16HIPCUB_304000_NS6detail34convert_binary_result_type_wrapperINS9_3SumENS9_22TransformInputIteratorIb7NonZeroIiEPilEElEEEE10hipError_tPvRmT1_T2_T3_mT4_P12ihipStream_tbEUlT_E1_NS1_11comp_targetILNS1_3genE3ELNS1_11target_archE908ELNS1_3gpuE7ELNS1_3repE0EEENS1_30default_config_static_selectorELNS0_4arch9wavefront6targetE1EEEvSM_,"axG",@progbits,_ZN7rocprim17ROCPRIM_400000_NS6detail17trampoline_kernelINS0_14default_configENS1_22reduce_config_selectorIlEEZNS1_11reduce_implILb1ES3_PlS7_lN6hipcub16HIPCUB_304000_NS6detail34convert_binary_result_type_wrapperINS9_3SumENS9_22TransformInputIteratorIb7NonZeroIiEPilEElEEEE10hipError_tPvRmT1_T2_T3_mT4_P12ihipStream_tbEUlT_E1_NS1_11comp_targetILNS1_3genE3ELNS1_11target_archE908ELNS1_3gpuE7ELNS1_3repE0EEENS1_30default_config_static_selectorELNS0_4arch9wavefront6targetE1EEEvSM_,comdat
	.protected	_ZN7rocprim17ROCPRIM_400000_NS6detail17trampoline_kernelINS0_14default_configENS1_22reduce_config_selectorIlEEZNS1_11reduce_implILb1ES3_PlS7_lN6hipcub16HIPCUB_304000_NS6detail34convert_binary_result_type_wrapperINS9_3SumENS9_22TransformInputIteratorIb7NonZeroIiEPilEElEEEE10hipError_tPvRmT1_T2_T3_mT4_P12ihipStream_tbEUlT_E1_NS1_11comp_targetILNS1_3genE3ELNS1_11target_archE908ELNS1_3gpuE7ELNS1_3repE0EEENS1_30default_config_static_selectorELNS0_4arch9wavefront6targetE1EEEvSM_ ; -- Begin function _ZN7rocprim17ROCPRIM_400000_NS6detail17trampoline_kernelINS0_14default_configENS1_22reduce_config_selectorIlEEZNS1_11reduce_implILb1ES3_PlS7_lN6hipcub16HIPCUB_304000_NS6detail34convert_binary_result_type_wrapperINS9_3SumENS9_22TransformInputIteratorIb7NonZeroIiEPilEElEEEE10hipError_tPvRmT1_T2_T3_mT4_P12ihipStream_tbEUlT_E1_NS1_11comp_targetILNS1_3genE3ELNS1_11target_archE908ELNS1_3gpuE7ELNS1_3repE0EEENS1_30default_config_static_selectorELNS0_4arch9wavefront6targetE1EEEvSM_
	.globl	_ZN7rocprim17ROCPRIM_400000_NS6detail17trampoline_kernelINS0_14default_configENS1_22reduce_config_selectorIlEEZNS1_11reduce_implILb1ES3_PlS7_lN6hipcub16HIPCUB_304000_NS6detail34convert_binary_result_type_wrapperINS9_3SumENS9_22TransformInputIteratorIb7NonZeroIiEPilEElEEEE10hipError_tPvRmT1_T2_T3_mT4_P12ihipStream_tbEUlT_E1_NS1_11comp_targetILNS1_3genE3ELNS1_11target_archE908ELNS1_3gpuE7ELNS1_3repE0EEENS1_30default_config_static_selectorELNS0_4arch9wavefront6targetE1EEEvSM_
	.p2align	8
	.type	_ZN7rocprim17ROCPRIM_400000_NS6detail17trampoline_kernelINS0_14default_configENS1_22reduce_config_selectorIlEEZNS1_11reduce_implILb1ES3_PlS7_lN6hipcub16HIPCUB_304000_NS6detail34convert_binary_result_type_wrapperINS9_3SumENS9_22TransformInputIteratorIb7NonZeroIiEPilEElEEEE10hipError_tPvRmT1_T2_T3_mT4_P12ihipStream_tbEUlT_E1_NS1_11comp_targetILNS1_3genE3ELNS1_11target_archE908ELNS1_3gpuE7ELNS1_3repE0EEENS1_30default_config_static_selectorELNS0_4arch9wavefront6targetE1EEEvSM_,@function
_ZN7rocprim17ROCPRIM_400000_NS6detail17trampoline_kernelINS0_14default_configENS1_22reduce_config_selectorIlEEZNS1_11reduce_implILb1ES3_PlS7_lN6hipcub16HIPCUB_304000_NS6detail34convert_binary_result_type_wrapperINS9_3SumENS9_22TransformInputIteratorIb7NonZeroIiEPilEElEEEE10hipError_tPvRmT1_T2_T3_mT4_P12ihipStream_tbEUlT_E1_NS1_11comp_targetILNS1_3genE3ELNS1_11target_archE908ELNS1_3gpuE7ELNS1_3repE0EEENS1_30default_config_static_selectorELNS0_4arch9wavefront6targetE1EEEvSM_: ; @_ZN7rocprim17ROCPRIM_400000_NS6detail17trampoline_kernelINS0_14default_configENS1_22reduce_config_selectorIlEEZNS1_11reduce_implILb1ES3_PlS7_lN6hipcub16HIPCUB_304000_NS6detail34convert_binary_result_type_wrapperINS9_3SumENS9_22TransformInputIteratorIb7NonZeroIiEPilEElEEEE10hipError_tPvRmT1_T2_T3_mT4_P12ihipStream_tbEUlT_E1_NS1_11comp_targetILNS1_3genE3ELNS1_11target_archE908ELNS1_3gpuE7ELNS1_3repE0EEENS1_30default_config_static_selectorELNS0_4arch9wavefront6targetE1EEEvSM_
; %bb.0:
	.section	.rodata,"a",@progbits
	.p2align	6, 0x0
	.amdhsa_kernel _ZN7rocprim17ROCPRIM_400000_NS6detail17trampoline_kernelINS0_14default_configENS1_22reduce_config_selectorIlEEZNS1_11reduce_implILb1ES3_PlS7_lN6hipcub16HIPCUB_304000_NS6detail34convert_binary_result_type_wrapperINS9_3SumENS9_22TransformInputIteratorIb7NonZeroIiEPilEElEEEE10hipError_tPvRmT1_T2_T3_mT4_P12ihipStream_tbEUlT_E1_NS1_11comp_targetILNS1_3genE3ELNS1_11target_archE908ELNS1_3gpuE7ELNS1_3repE0EEENS1_30default_config_static_selectorELNS0_4arch9wavefront6targetE1EEEvSM_
		.amdhsa_group_segment_fixed_size 0
		.amdhsa_private_segment_fixed_size 0
		.amdhsa_kernarg_size 48
		.amdhsa_user_sgpr_count 6
		.amdhsa_user_sgpr_private_segment_buffer 1
		.amdhsa_user_sgpr_dispatch_ptr 0
		.amdhsa_user_sgpr_queue_ptr 0
		.amdhsa_user_sgpr_kernarg_segment_ptr 1
		.amdhsa_user_sgpr_dispatch_id 0
		.amdhsa_user_sgpr_flat_scratch_init 0
		.amdhsa_user_sgpr_private_segment_size 0
		.amdhsa_uses_dynamic_stack 0
		.amdhsa_system_sgpr_private_segment_wavefront_offset 0
		.amdhsa_system_sgpr_workgroup_id_x 1
		.amdhsa_system_sgpr_workgroup_id_y 0
		.amdhsa_system_sgpr_workgroup_id_z 0
		.amdhsa_system_sgpr_workgroup_info 0
		.amdhsa_system_vgpr_workitem_id 0
		.amdhsa_next_free_vgpr 1
		.amdhsa_next_free_sgpr 0
		.amdhsa_reserve_vcc 0
		.amdhsa_reserve_flat_scratch 0
		.amdhsa_float_round_mode_32 0
		.amdhsa_float_round_mode_16_64 0
		.amdhsa_float_denorm_mode_32 3
		.amdhsa_float_denorm_mode_16_64 3
		.amdhsa_dx10_clamp 1
		.amdhsa_ieee_mode 1
		.amdhsa_fp16_overflow 0
		.amdhsa_exception_fp_ieee_invalid_op 0
		.amdhsa_exception_fp_denorm_src 0
		.amdhsa_exception_fp_ieee_div_zero 0
		.amdhsa_exception_fp_ieee_overflow 0
		.amdhsa_exception_fp_ieee_underflow 0
		.amdhsa_exception_fp_ieee_inexact 0
		.amdhsa_exception_int_div_zero 0
	.end_amdhsa_kernel
	.section	.text._ZN7rocprim17ROCPRIM_400000_NS6detail17trampoline_kernelINS0_14default_configENS1_22reduce_config_selectorIlEEZNS1_11reduce_implILb1ES3_PlS7_lN6hipcub16HIPCUB_304000_NS6detail34convert_binary_result_type_wrapperINS9_3SumENS9_22TransformInputIteratorIb7NonZeroIiEPilEElEEEE10hipError_tPvRmT1_T2_T3_mT4_P12ihipStream_tbEUlT_E1_NS1_11comp_targetILNS1_3genE3ELNS1_11target_archE908ELNS1_3gpuE7ELNS1_3repE0EEENS1_30default_config_static_selectorELNS0_4arch9wavefront6targetE1EEEvSM_,"axG",@progbits,_ZN7rocprim17ROCPRIM_400000_NS6detail17trampoline_kernelINS0_14default_configENS1_22reduce_config_selectorIlEEZNS1_11reduce_implILb1ES3_PlS7_lN6hipcub16HIPCUB_304000_NS6detail34convert_binary_result_type_wrapperINS9_3SumENS9_22TransformInputIteratorIb7NonZeroIiEPilEElEEEE10hipError_tPvRmT1_T2_T3_mT4_P12ihipStream_tbEUlT_E1_NS1_11comp_targetILNS1_3genE3ELNS1_11target_archE908ELNS1_3gpuE7ELNS1_3repE0EEENS1_30default_config_static_selectorELNS0_4arch9wavefront6targetE1EEEvSM_,comdat
.Lfunc_end161:
	.size	_ZN7rocprim17ROCPRIM_400000_NS6detail17trampoline_kernelINS0_14default_configENS1_22reduce_config_selectorIlEEZNS1_11reduce_implILb1ES3_PlS7_lN6hipcub16HIPCUB_304000_NS6detail34convert_binary_result_type_wrapperINS9_3SumENS9_22TransformInputIteratorIb7NonZeroIiEPilEElEEEE10hipError_tPvRmT1_T2_T3_mT4_P12ihipStream_tbEUlT_E1_NS1_11comp_targetILNS1_3genE3ELNS1_11target_archE908ELNS1_3gpuE7ELNS1_3repE0EEENS1_30default_config_static_selectorELNS0_4arch9wavefront6targetE1EEEvSM_, .Lfunc_end161-_ZN7rocprim17ROCPRIM_400000_NS6detail17trampoline_kernelINS0_14default_configENS1_22reduce_config_selectorIlEEZNS1_11reduce_implILb1ES3_PlS7_lN6hipcub16HIPCUB_304000_NS6detail34convert_binary_result_type_wrapperINS9_3SumENS9_22TransformInputIteratorIb7NonZeroIiEPilEElEEEE10hipError_tPvRmT1_T2_T3_mT4_P12ihipStream_tbEUlT_E1_NS1_11comp_targetILNS1_3genE3ELNS1_11target_archE908ELNS1_3gpuE7ELNS1_3repE0EEENS1_30default_config_static_selectorELNS0_4arch9wavefront6targetE1EEEvSM_
                                        ; -- End function
	.set _ZN7rocprim17ROCPRIM_400000_NS6detail17trampoline_kernelINS0_14default_configENS1_22reduce_config_selectorIlEEZNS1_11reduce_implILb1ES3_PlS7_lN6hipcub16HIPCUB_304000_NS6detail34convert_binary_result_type_wrapperINS9_3SumENS9_22TransformInputIteratorIb7NonZeroIiEPilEElEEEE10hipError_tPvRmT1_T2_T3_mT4_P12ihipStream_tbEUlT_E1_NS1_11comp_targetILNS1_3genE3ELNS1_11target_archE908ELNS1_3gpuE7ELNS1_3repE0EEENS1_30default_config_static_selectorELNS0_4arch9wavefront6targetE1EEEvSM_.num_vgpr, 0
	.set _ZN7rocprim17ROCPRIM_400000_NS6detail17trampoline_kernelINS0_14default_configENS1_22reduce_config_selectorIlEEZNS1_11reduce_implILb1ES3_PlS7_lN6hipcub16HIPCUB_304000_NS6detail34convert_binary_result_type_wrapperINS9_3SumENS9_22TransformInputIteratorIb7NonZeroIiEPilEElEEEE10hipError_tPvRmT1_T2_T3_mT4_P12ihipStream_tbEUlT_E1_NS1_11comp_targetILNS1_3genE3ELNS1_11target_archE908ELNS1_3gpuE7ELNS1_3repE0EEENS1_30default_config_static_selectorELNS0_4arch9wavefront6targetE1EEEvSM_.num_agpr, 0
	.set _ZN7rocprim17ROCPRIM_400000_NS6detail17trampoline_kernelINS0_14default_configENS1_22reduce_config_selectorIlEEZNS1_11reduce_implILb1ES3_PlS7_lN6hipcub16HIPCUB_304000_NS6detail34convert_binary_result_type_wrapperINS9_3SumENS9_22TransformInputIteratorIb7NonZeroIiEPilEElEEEE10hipError_tPvRmT1_T2_T3_mT4_P12ihipStream_tbEUlT_E1_NS1_11comp_targetILNS1_3genE3ELNS1_11target_archE908ELNS1_3gpuE7ELNS1_3repE0EEENS1_30default_config_static_selectorELNS0_4arch9wavefront6targetE1EEEvSM_.numbered_sgpr, 0
	.set _ZN7rocprim17ROCPRIM_400000_NS6detail17trampoline_kernelINS0_14default_configENS1_22reduce_config_selectorIlEEZNS1_11reduce_implILb1ES3_PlS7_lN6hipcub16HIPCUB_304000_NS6detail34convert_binary_result_type_wrapperINS9_3SumENS9_22TransformInputIteratorIb7NonZeroIiEPilEElEEEE10hipError_tPvRmT1_T2_T3_mT4_P12ihipStream_tbEUlT_E1_NS1_11comp_targetILNS1_3genE3ELNS1_11target_archE908ELNS1_3gpuE7ELNS1_3repE0EEENS1_30default_config_static_selectorELNS0_4arch9wavefront6targetE1EEEvSM_.num_named_barrier, 0
	.set _ZN7rocprim17ROCPRIM_400000_NS6detail17trampoline_kernelINS0_14default_configENS1_22reduce_config_selectorIlEEZNS1_11reduce_implILb1ES3_PlS7_lN6hipcub16HIPCUB_304000_NS6detail34convert_binary_result_type_wrapperINS9_3SumENS9_22TransformInputIteratorIb7NonZeroIiEPilEElEEEE10hipError_tPvRmT1_T2_T3_mT4_P12ihipStream_tbEUlT_E1_NS1_11comp_targetILNS1_3genE3ELNS1_11target_archE908ELNS1_3gpuE7ELNS1_3repE0EEENS1_30default_config_static_selectorELNS0_4arch9wavefront6targetE1EEEvSM_.private_seg_size, 0
	.set _ZN7rocprim17ROCPRIM_400000_NS6detail17trampoline_kernelINS0_14default_configENS1_22reduce_config_selectorIlEEZNS1_11reduce_implILb1ES3_PlS7_lN6hipcub16HIPCUB_304000_NS6detail34convert_binary_result_type_wrapperINS9_3SumENS9_22TransformInputIteratorIb7NonZeroIiEPilEElEEEE10hipError_tPvRmT1_T2_T3_mT4_P12ihipStream_tbEUlT_E1_NS1_11comp_targetILNS1_3genE3ELNS1_11target_archE908ELNS1_3gpuE7ELNS1_3repE0EEENS1_30default_config_static_selectorELNS0_4arch9wavefront6targetE1EEEvSM_.uses_vcc, 0
	.set _ZN7rocprim17ROCPRIM_400000_NS6detail17trampoline_kernelINS0_14default_configENS1_22reduce_config_selectorIlEEZNS1_11reduce_implILb1ES3_PlS7_lN6hipcub16HIPCUB_304000_NS6detail34convert_binary_result_type_wrapperINS9_3SumENS9_22TransformInputIteratorIb7NonZeroIiEPilEElEEEE10hipError_tPvRmT1_T2_T3_mT4_P12ihipStream_tbEUlT_E1_NS1_11comp_targetILNS1_3genE3ELNS1_11target_archE908ELNS1_3gpuE7ELNS1_3repE0EEENS1_30default_config_static_selectorELNS0_4arch9wavefront6targetE1EEEvSM_.uses_flat_scratch, 0
	.set _ZN7rocprim17ROCPRIM_400000_NS6detail17trampoline_kernelINS0_14default_configENS1_22reduce_config_selectorIlEEZNS1_11reduce_implILb1ES3_PlS7_lN6hipcub16HIPCUB_304000_NS6detail34convert_binary_result_type_wrapperINS9_3SumENS9_22TransformInputIteratorIb7NonZeroIiEPilEElEEEE10hipError_tPvRmT1_T2_T3_mT4_P12ihipStream_tbEUlT_E1_NS1_11comp_targetILNS1_3genE3ELNS1_11target_archE908ELNS1_3gpuE7ELNS1_3repE0EEENS1_30default_config_static_selectorELNS0_4arch9wavefront6targetE1EEEvSM_.has_dyn_sized_stack, 0
	.set _ZN7rocprim17ROCPRIM_400000_NS6detail17trampoline_kernelINS0_14default_configENS1_22reduce_config_selectorIlEEZNS1_11reduce_implILb1ES3_PlS7_lN6hipcub16HIPCUB_304000_NS6detail34convert_binary_result_type_wrapperINS9_3SumENS9_22TransformInputIteratorIb7NonZeroIiEPilEElEEEE10hipError_tPvRmT1_T2_T3_mT4_P12ihipStream_tbEUlT_E1_NS1_11comp_targetILNS1_3genE3ELNS1_11target_archE908ELNS1_3gpuE7ELNS1_3repE0EEENS1_30default_config_static_selectorELNS0_4arch9wavefront6targetE1EEEvSM_.has_recursion, 0
	.set _ZN7rocprim17ROCPRIM_400000_NS6detail17trampoline_kernelINS0_14default_configENS1_22reduce_config_selectorIlEEZNS1_11reduce_implILb1ES3_PlS7_lN6hipcub16HIPCUB_304000_NS6detail34convert_binary_result_type_wrapperINS9_3SumENS9_22TransformInputIteratorIb7NonZeroIiEPilEElEEEE10hipError_tPvRmT1_T2_T3_mT4_P12ihipStream_tbEUlT_E1_NS1_11comp_targetILNS1_3genE3ELNS1_11target_archE908ELNS1_3gpuE7ELNS1_3repE0EEENS1_30default_config_static_selectorELNS0_4arch9wavefront6targetE1EEEvSM_.has_indirect_call, 0
	.section	.AMDGPU.csdata,"",@progbits
; Kernel info:
; codeLenInByte = 0
; TotalNumSgprs: 4
; NumVgprs: 0
; ScratchSize: 0
; MemoryBound: 0
; FloatMode: 240
; IeeeMode: 1
; LDSByteSize: 0 bytes/workgroup (compile time only)
; SGPRBlocks: 0
; VGPRBlocks: 0
; NumSGPRsForWavesPerEU: 4
; NumVGPRsForWavesPerEU: 1
; Occupancy: 10
; WaveLimiterHint : 0
; COMPUTE_PGM_RSRC2:SCRATCH_EN: 0
; COMPUTE_PGM_RSRC2:USER_SGPR: 6
; COMPUTE_PGM_RSRC2:TRAP_HANDLER: 0
; COMPUTE_PGM_RSRC2:TGID_X_EN: 1
; COMPUTE_PGM_RSRC2:TGID_Y_EN: 0
; COMPUTE_PGM_RSRC2:TGID_Z_EN: 0
; COMPUTE_PGM_RSRC2:TIDIG_COMP_CNT: 0
	.section	.text._ZN7rocprim17ROCPRIM_400000_NS6detail17trampoline_kernelINS0_14default_configENS1_22reduce_config_selectorIlEEZNS1_11reduce_implILb1ES3_PlS7_lN6hipcub16HIPCUB_304000_NS6detail34convert_binary_result_type_wrapperINS9_3SumENS9_22TransformInputIteratorIb7NonZeroIiEPilEElEEEE10hipError_tPvRmT1_T2_T3_mT4_P12ihipStream_tbEUlT_E1_NS1_11comp_targetILNS1_3genE2ELNS1_11target_archE906ELNS1_3gpuE6ELNS1_3repE0EEENS1_30default_config_static_selectorELNS0_4arch9wavefront6targetE1EEEvSM_,"axG",@progbits,_ZN7rocprim17ROCPRIM_400000_NS6detail17trampoline_kernelINS0_14default_configENS1_22reduce_config_selectorIlEEZNS1_11reduce_implILb1ES3_PlS7_lN6hipcub16HIPCUB_304000_NS6detail34convert_binary_result_type_wrapperINS9_3SumENS9_22TransformInputIteratorIb7NonZeroIiEPilEElEEEE10hipError_tPvRmT1_T2_T3_mT4_P12ihipStream_tbEUlT_E1_NS1_11comp_targetILNS1_3genE2ELNS1_11target_archE906ELNS1_3gpuE6ELNS1_3repE0EEENS1_30default_config_static_selectorELNS0_4arch9wavefront6targetE1EEEvSM_,comdat
	.protected	_ZN7rocprim17ROCPRIM_400000_NS6detail17trampoline_kernelINS0_14default_configENS1_22reduce_config_selectorIlEEZNS1_11reduce_implILb1ES3_PlS7_lN6hipcub16HIPCUB_304000_NS6detail34convert_binary_result_type_wrapperINS9_3SumENS9_22TransformInputIteratorIb7NonZeroIiEPilEElEEEE10hipError_tPvRmT1_T2_T3_mT4_P12ihipStream_tbEUlT_E1_NS1_11comp_targetILNS1_3genE2ELNS1_11target_archE906ELNS1_3gpuE6ELNS1_3repE0EEENS1_30default_config_static_selectorELNS0_4arch9wavefront6targetE1EEEvSM_ ; -- Begin function _ZN7rocprim17ROCPRIM_400000_NS6detail17trampoline_kernelINS0_14default_configENS1_22reduce_config_selectorIlEEZNS1_11reduce_implILb1ES3_PlS7_lN6hipcub16HIPCUB_304000_NS6detail34convert_binary_result_type_wrapperINS9_3SumENS9_22TransformInputIteratorIb7NonZeroIiEPilEElEEEE10hipError_tPvRmT1_T2_T3_mT4_P12ihipStream_tbEUlT_E1_NS1_11comp_targetILNS1_3genE2ELNS1_11target_archE906ELNS1_3gpuE6ELNS1_3repE0EEENS1_30default_config_static_selectorELNS0_4arch9wavefront6targetE1EEEvSM_
	.globl	_ZN7rocprim17ROCPRIM_400000_NS6detail17trampoline_kernelINS0_14default_configENS1_22reduce_config_selectorIlEEZNS1_11reduce_implILb1ES3_PlS7_lN6hipcub16HIPCUB_304000_NS6detail34convert_binary_result_type_wrapperINS9_3SumENS9_22TransformInputIteratorIb7NonZeroIiEPilEElEEEE10hipError_tPvRmT1_T2_T3_mT4_P12ihipStream_tbEUlT_E1_NS1_11comp_targetILNS1_3genE2ELNS1_11target_archE906ELNS1_3gpuE6ELNS1_3repE0EEENS1_30default_config_static_selectorELNS0_4arch9wavefront6targetE1EEEvSM_
	.p2align	8
	.type	_ZN7rocprim17ROCPRIM_400000_NS6detail17trampoline_kernelINS0_14default_configENS1_22reduce_config_selectorIlEEZNS1_11reduce_implILb1ES3_PlS7_lN6hipcub16HIPCUB_304000_NS6detail34convert_binary_result_type_wrapperINS9_3SumENS9_22TransformInputIteratorIb7NonZeroIiEPilEElEEEE10hipError_tPvRmT1_T2_T3_mT4_P12ihipStream_tbEUlT_E1_NS1_11comp_targetILNS1_3genE2ELNS1_11target_archE906ELNS1_3gpuE6ELNS1_3repE0EEENS1_30default_config_static_selectorELNS0_4arch9wavefront6targetE1EEEvSM_,@function
_ZN7rocprim17ROCPRIM_400000_NS6detail17trampoline_kernelINS0_14default_configENS1_22reduce_config_selectorIlEEZNS1_11reduce_implILb1ES3_PlS7_lN6hipcub16HIPCUB_304000_NS6detail34convert_binary_result_type_wrapperINS9_3SumENS9_22TransformInputIteratorIb7NonZeroIiEPilEElEEEE10hipError_tPvRmT1_T2_T3_mT4_P12ihipStream_tbEUlT_E1_NS1_11comp_targetILNS1_3genE2ELNS1_11target_archE906ELNS1_3gpuE6ELNS1_3repE0EEENS1_30default_config_static_selectorELNS0_4arch9wavefront6targetE1EEEvSM_: ; @_ZN7rocprim17ROCPRIM_400000_NS6detail17trampoline_kernelINS0_14default_configENS1_22reduce_config_selectorIlEEZNS1_11reduce_implILb1ES3_PlS7_lN6hipcub16HIPCUB_304000_NS6detail34convert_binary_result_type_wrapperINS9_3SumENS9_22TransformInputIteratorIb7NonZeroIiEPilEElEEEE10hipError_tPvRmT1_T2_T3_mT4_P12ihipStream_tbEUlT_E1_NS1_11comp_targetILNS1_3genE2ELNS1_11target_archE906ELNS1_3gpuE6ELNS1_3repE0EEENS1_30default_config_static_selectorELNS0_4arch9wavefront6targetE1EEEvSM_
; %bb.0:
	s_load_dword s26, s[4:5], 0x4
	s_load_dwordx8 s[16:23], s[4:5], 0x8
	s_waitcnt lgkmcnt(0)
	s_cmp_lt_i32 s26, 4
	s_cbranch_scc1 .LBB162_10
; %bb.1:
	s_cmp_gt_i32 s26, 7
	s_cbranch_scc0 .LBB162_11
; %bb.2:
	s_cmp_gt_i32 s26, 15
	s_cbranch_scc0 .LBB162_12
; %bb.3:
	s_mov_b64 s[0:1], 0
	s_cmp_eq_u32 s26, 16
	s_mov_b64 s[2:3], 0
                                        ; implicit-def: $vgpr1_vgpr2
                                        ; implicit-def: $vgpr3_vgpr4
	s_cbranch_scc0 .LBB162_13
; %bb.4:
	s_mov_b32 s7, 0
	s_lshl_b32 s4, s6, 12
	s_mov_b32 s5, s7
	s_lshr_b64 s[8:9], s[18:19], 12
	s_lshl_b64 s[2:3], s[4:5], 3
	s_add_u32 s2, s16, s2
	s_addc_u32 s3, s17, s3
	s_cmp_lg_u64 s[8:9], s[6:7]
	s_cbranch_scc0 .LBB162_21
; %bb.5:
	v_lshlrev_b32_e32 v5, 3, v0
	global_load_dwordx2 v[1:2], v5, s[2:3]
	global_load_dwordx2 v[3:4], v5, s[2:3] offset:2048
	v_mov_b32_e32 v6, s3
	v_add_co_u32_e32 v29, vcc, s2, v5
	v_addc_co_u32_e32 v33, vcc, 0, v6, vcc
	v_add_co_u32_e32 v5, vcc, 0x1000, v29
	v_addc_co_u32_e32 v6, vcc, 0, v33, vcc
	;; [unrolled: 2-line block ×4, first 2 shown]
	global_load_dwordx2 v[7:8], v[5:6], off
	global_load_dwordx2 v[11:12], v[9:10], off
	;; [unrolled: 1-line block ×3, first 2 shown]
	v_add_co_u32_e32 v17, vcc, 0x4000, v29
	v_addc_co_u32_e32 v18, vcc, 0, v33, vcc
	global_load_dwordx2 v[19:20], v[17:18], off
	v_add_co_u32_e32 v21, vcc, 0x5000, v29
	global_load_dwordx2 v[5:6], v[5:6], off offset:2048
	v_addc_co_u32_e32 v22, vcc, 0, v33, vcc
	global_load_dwordx2 v[9:10], v[9:10], off offset:2048
	v_add_co_u32_e32 v23, vcc, 0x6000, v29
	global_load_dwordx2 v[13:14], v[13:14], off offset:2048
	v_addc_co_u32_e32 v24, vcc, 0, v33, vcc
	global_load_dwordx2 v[17:18], v[17:18], off offset:2048
	s_nop 0
	global_load_dwordx2 v[25:26], v[21:22], off
	global_load_dwordx2 v[27:28], v[21:22], off offset:2048
	v_add_co_u32_e32 v21, vcc, 0x7000, v29
	global_load_dwordx2 v[29:30], v[23:24], off
	global_load_dwordx2 v[31:32], v[23:24], off offset:2048
	v_addc_co_u32_e32 v22, vcc, 0, v33, vcc
	s_waitcnt vmcnt(12)
	v_add_co_u32_e32 v23, vcc, v3, v1
	v_addc_co_u32_e32 v24, vcc, v4, v2, vcc
	global_load_dwordx2 v[1:2], v[21:22], off
	global_load_dwordx2 v[3:4], v[21:22], off offset:2048
	s_waitcnt vmcnt(13)
	v_add_co_u32_e32 v7, vcc, v23, v7
	v_addc_co_u32_e32 v8, vcc, v24, v8, vcc
	s_waitcnt vmcnt(9)
	v_add_co_u32_e32 v5, vcc, v7, v5
	v_addc_co_u32_e32 v6, vcc, v8, v6, vcc
	v_add_co_u32_e32 v5, vcc, v5, v11
	v_addc_co_u32_e32 v6, vcc, v6, v12, vcc
	s_waitcnt vmcnt(8)
	v_add_co_u32_e32 v5, vcc, v5, v9
	v_addc_co_u32_e32 v6, vcc, v6, v10, vcc
	;; [unrolled: 5-line block ×4, first 2 shown]
	s_waitcnt vmcnt(5)
	v_add_co_u32_e32 v5, vcc, v5, v25
	v_addc_co_u32_e32 v6, vcc, v6, v26, vcc
	s_waitcnt vmcnt(4)
	v_add_co_u32_e32 v5, vcc, v5, v27
	v_addc_co_u32_e32 v6, vcc, v6, v28, vcc
	;; [unrolled: 3-line block ×6, first 2 shown]
	s_nop 0
	v_mov_b32_dpp v4, v1 quad_perm:[1,0,3,2] row_mask:0xf bank_mask:0xf bound_ctrl:1
	v_add_co_u32_e32 v1, vcc, v1, v4
	v_mov_b32_dpp v5, v2 quad_perm:[1,0,3,2] row_mask:0xf bank_mask:0xf bound_ctrl:1
	v_addc_co_u32_e32 v2, vcc, 0, v2, vcc
	v_add_co_u32_e32 v4, vcc, 0, v1
	v_addc_co_u32_e32 v2, vcc, v5, v2, vcc
	v_mov_b32_dpp v1, v1 quad_perm:[2,3,0,1] row_mask:0xf bank_mask:0xf bound_ctrl:1
	v_add_co_u32_e32 v1, vcc, v4, v1
	v_mov_b32_dpp v5, v2 quad_perm:[2,3,0,1] row_mask:0xf bank_mask:0xf bound_ctrl:1
	v_addc_co_u32_e32 v2, vcc, 0, v2, vcc
	v_add_co_u32_e32 v4, vcc, 0, v1
	v_addc_co_u32_e32 v2, vcc, v2, v5, vcc
	v_mov_b32_dpp v1, v1 row_ror:4 row_mask:0xf bank_mask:0xf bound_ctrl:1
	v_add_co_u32_e32 v1, vcc, v4, v1
	v_mov_b32_dpp v5, v2 row_ror:4 row_mask:0xf bank_mask:0xf bound_ctrl:1
	v_addc_co_u32_e32 v2, vcc, 0, v2, vcc
	v_add_co_u32_e32 v4, vcc, 0, v1
	v_addc_co_u32_e32 v2, vcc, v2, v5, vcc
	v_mov_b32_dpp v1, v1 row_ror:8 row_mask:0xf bank_mask:0xf bound_ctrl:1
	v_add_co_u32_e32 v1, vcc, v4, v1
	v_mov_b32_dpp v5, v2 row_ror:8 row_mask:0xf bank_mask:0xf bound_ctrl:1
	v_addc_co_u32_e32 v2, vcc, 0, v2, vcc
	v_add_co_u32_e32 v4, vcc, 0, v1
	v_addc_co_u32_e32 v2, vcc, v2, v5, vcc
	v_mov_b32_dpp v1, v1 row_bcast:15 row_mask:0xf bank_mask:0xf bound_ctrl:1
	v_add_co_u32_e32 v1, vcc, v4, v1
	v_mov_b32_dpp v5, v2 row_bcast:15 row_mask:0xf bank_mask:0xf bound_ctrl:1
	v_addc_co_u32_e32 v2, vcc, 0, v2, vcc
	v_add_co_u32_e32 v4, vcc, 0, v1
	v_addc_co_u32_e32 v2, vcc, v2, v5, vcc
	v_mov_b32_dpp v1, v1 row_bcast:31 row_mask:0xf bank_mask:0xf bound_ctrl:1
	v_mbcnt_lo_u32_b32 v3, -1, 0
	v_add_co_u32_e32 v1, vcc, v4, v1
	v_mbcnt_hi_u32_b32 v3, -1, v3
	v_addc_co_u32_e32 v4, vcc, 0, v2, vcc
	v_cmp_eq_u32_e32 vcc, 0, v3
	s_nop 0
	v_add_u32_dpp v2, v2, v4 row_bcast:31 row_mask:0xf bank_mask:0xf bound_ctrl:1
	v_lshlrev_b32_e32 v4, 2, v3
	v_or_b32_e32 v5, 0xfc, v4
	ds_bpermute_b32 v1, v5, v1
	ds_bpermute_b32 v2, v5, v2
	s_and_saveexec_b64 s[8:9], vcc
	s_cbranch_execz .LBB162_7
; %bb.6:
	v_lshrrev_b32_e32 v5, 3, v0
	v_and_b32_e32 v5, 24, v5
	s_waitcnt lgkmcnt(0)
	ds_write_b64 v5, v[1:2]
.LBB162_7:
	s_or_b64 exec, exec, s[8:9]
	v_cmp_gt_u32_e32 vcc, 64, v0
	s_waitcnt lgkmcnt(0)
	s_barrier
	s_and_saveexec_b64 s[8:9], vcc
	s_cbranch_execz .LBB162_9
; %bb.8:
	v_and_b32_e32 v5, 3, v3
	v_lshlrev_b32_e32 v1, 3, v5
	ds_read_b64 v[1:2], v1
	v_cmp_ne_u32_e32 vcc, 3, v5
	v_addc_co_u32_e32 v3, vcc, 0, v3, vcc
	v_lshlrev_b32_e32 v3, 2, v3
	s_waitcnt lgkmcnt(0)
	ds_bpermute_b32 v5, v3, v1
	ds_bpermute_b32 v3, v3, v2
	v_or_b32_e32 v4, 8, v4
	s_waitcnt lgkmcnt(1)
	v_add_co_u32_e32 v1, vcc, v1, v5
	v_addc_co_u32_e32 v2, vcc, 0, v2, vcc
	ds_bpermute_b32 v5, v4, v1
	v_add_co_u32_e32 v1, vcc, 0, v1
	s_waitcnt lgkmcnt(1)
	v_addc_co_u32_e32 v2, vcc, v3, v2, vcc
	ds_bpermute_b32 v3, v4, v2
	s_waitcnt lgkmcnt(1)
	v_add_co_u32_e32 v1, vcc, v1, v5
	v_addc_co_u32_e32 v2, vcc, 0, v2, vcc
	v_add_co_u32_e32 v1, vcc, 0, v1
	s_waitcnt lgkmcnt(0)
	v_addc_co_u32_e32 v2, vcc, v2, v3, vcc
.LBB162_9:
	s_or_b64 exec, exec, s[8:9]
	s_mov_b64 s[8:9], 0
	s_branch .LBB162_22
.LBB162_10:
	s_mov_b64 s[2:3], 0
                                        ; implicit-def: $vgpr1_vgpr2
                                        ; implicit-def: $vgpr3_vgpr4
	s_cbranch_execnz .LBB162_145
	s_branch .LBB162_206
.LBB162_11:
	s_mov_b64 s[2:3], 0
                                        ; implicit-def: $vgpr1_vgpr2
                                        ; implicit-def: $vgpr3_vgpr4
	s_cbranch_execnz .LBB162_110
	s_branch .LBB162_144
.LBB162_12:
	s_mov_b64 s[0:1], -1
	s_mov_b64 s[2:3], 0
                                        ; implicit-def: $vgpr1_vgpr2
                                        ; implicit-def: $vgpr3_vgpr4
.LBB162_13:
	s_and_b64 vcc, exec, s[0:1]
	s_cbranch_vccz .LBB162_109
.LBB162_14:
	s_cmp_eq_u32 s26, 8
                                        ; implicit-def: $vgpr1_vgpr2
                                        ; implicit-def: $vgpr3_vgpr4
	s_cbranch_scc0 .LBB162_109
; %bb.15:
	s_mov_b32 s7, 0
	s_lshl_b32 s0, s6, 11
	s_mov_b32 s1, s7
	s_lshr_b64 s[2:3], s[18:19], 11
	s_lshl_b64 s[4:5], s[0:1], 3
	s_add_u32 s14, s16, s4
	s_addc_u32 s15, s17, s5
	s_cmp_lg_u64 s[2:3], s[6:7]
	s_cbranch_scc0 .LBB162_73
; %bb.16:
	v_lshlrev_b32_e32 v3, 3, v0
	v_mov_b32_e32 v1, s15
	v_add_co_u32_e32 v16, vcc, s14, v3
	v_addc_co_u32_e32 v17, vcc, 0, v1, vcc
	global_load_dwordx2 v[1:2], v3, s[14:15]
	global_load_dwordx2 v[4:5], v3, s[14:15] offset:2048
	v_add_co_u32_e32 v6, vcc, 0x1000, v16
	v_addc_co_u32_e32 v7, vcc, 0, v17, vcc
	global_load_dwordx2 v[8:9], v[6:7], off
	global_load_dwordx2 v[10:11], v[6:7], off offset:2048
	v_add_co_u32_e32 v6, vcc, 0x2000, v16
	v_addc_co_u32_e32 v7, vcc, 0, v17, vcc
	global_load_dwordx2 v[12:13], v[6:7], off
	global_load_dwordx2 v[14:15], v[6:7], off offset:2048
	;; [unrolled: 4-line block ×3, first 2 shown]
	v_mbcnt_lo_u32_b32 v3, -1, 0
	v_mbcnt_hi_u32_b32 v3, -1, v3
	s_waitcnt vmcnt(6)
	v_add_co_u32_e32 v1, vcc, v4, v1
	v_addc_co_u32_e32 v2, vcc, v5, v2, vcc
	s_waitcnt vmcnt(5)
	v_add_co_u32_e32 v1, vcc, v1, v8
	v_addc_co_u32_e32 v2, vcc, v2, v9, vcc
	s_waitcnt vmcnt(4)
	v_add_co_u32_e32 v1, vcc, v1, v10
	v_addc_co_u32_e32 v2, vcc, v2, v11, vcc
	s_waitcnt vmcnt(3)
	v_add_co_u32_e32 v1, vcc, v1, v12
	v_addc_co_u32_e32 v2, vcc, v2, v13, vcc
	s_waitcnt vmcnt(2)
	v_add_co_u32_e32 v1, vcc, v1, v14
	v_addc_co_u32_e32 v2, vcc, v2, v15, vcc
	s_waitcnt vmcnt(1)
	v_add_co_u32_e32 v1, vcc, v1, v16
	v_addc_co_u32_e32 v2, vcc, v2, v17, vcc
	s_waitcnt vmcnt(0)
	v_add_co_u32_e32 v1, vcc, v1, v18
	v_addc_co_u32_e32 v2, vcc, v2, v19, vcc
	s_nop 0
	v_mov_b32_dpp v4, v1 quad_perm:[1,0,3,2] row_mask:0xf bank_mask:0xf bound_ctrl:1
	v_add_co_u32_e32 v1, vcc, v1, v4
	v_mov_b32_dpp v5, v2 quad_perm:[1,0,3,2] row_mask:0xf bank_mask:0xf bound_ctrl:1
	v_addc_co_u32_e32 v2, vcc, 0, v2, vcc
	v_add_co_u32_e32 v4, vcc, 0, v1
	v_addc_co_u32_e32 v2, vcc, v5, v2, vcc
	v_mov_b32_dpp v1, v1 quad_perm:[2,3,0,1] row_mask:0xf bank_mask:0xf bound_ctrl:1
	v_add_co_u32_e32 v1, vcc, v4, v1
	v_mov_b32_dpp v5, v2 quad_perm:[2,3,0,1] row_mask:0xf bank_mask:0xf bound_ctrl:1
	v_addc_co_u32_e32 v2, vcc, 0, v2, vcc
	v_add_co_u32_e32 v4, vcc, 0, v1
	v_addc_co_u32_e32 v2, vcc, v2, v5, vcc
	v_mov_b32_dpp v1, v1 row_ror:4 row_mask:0xf bank_mask:0xf bound_ctrl:1
	v_add_co_u32_e32 v1, vcc, v4, v1
	v_mov_b32_dpp v5, v2 row_ror:4 row_mask:0xf bank_mask:0xf bound_ctrl:1
	v_addc_co_u32_e32 v2, vcc, 0, v2, vcc
	v_add_co_u32_e32 v4, vcc, 0, v1
	v_addc_co_u32_e32 v2, vcc, v2, v5, vcc
	v_mov_b32_dpp v1, v1 row_ror:8 row_mask:0xf bank_mask:0xf bound_ctrl:1
	v_add_co_u32_e32 v1, vcc, v4, v1
	v_mov_b32_dpp v5, v2 row_ror:8 row_mask:0xf bank_mask:0xf bound_ctrl:1
	v_addc_co_u32_e32 v2, vcc, 0, v2, vcc
	v_add_co_u32_e32 v4, vcc, 0, v1
	v_addc_co_u32_e32 v2, vcc, v2, v5, vcc
	v_mov_b32_dpp v1, v1 row_bcast:15 row_mask:0xf bank_mask:0xf bound_ctrl:1
	v_add_co_u32_e32 v1, vcc, v4, v1
	v_mov_b32_dpp v5, v2 row_bcast:15 row_mask:0xf bank_mask:0xf bound_ctrl:1
	v_addc_co_u32_e32 v2, vcc, 0, v2, vcc
	v_add_co_u32_e32 v4, vcc, 0, v1
	v_addc_co_u32_e32 v2, vcc, v2, v5, vcc
	v_mov_b32_dpp v1, v1 row_bcast:31 row_mask:0xf bank_mask:0xf bound_ctrl:1
	v_add_co_u32_e32 v1, vcc, v4, v1
	v_addc_co_u32_e32 v4, vcc, 0, v2, vcc
	v_cmp_eq_u32_e32 vcc, 0, v3
	s_nop 0
	v_add_u32_dpp v2, v2, v4 row_bcast:31 row_mask:0xf bank_mask:0xf bound_ctrl:1
	v_lshlrev_b32_e32 v4, 2, v3
	v_or_b32_e32 v5, 0xfc, v4
	ds_bpermute_b32 v1, v5, v1
	ds_bpermute_b32 v2, v5, v2
	s_and_saveexec_b64 s[2:3], vcc
	s_cbranch_execz .LBB162_18
; %bb.17:
	v_lshrrev_b32_e32 v5, 3, v0
	v_and_b32_e32 v5, 24, v5
	s_waitcnt lgkmcnt(0)
	ds_write_b64 v5, v[1:2] offset:128
.LBB162_18:
	s_or_b64 exec, exec, s[2:3]
	v_cmp_gt_u32_e32 vcc, 64, v0
	s_waitcnt lgkmcnt(0)
	s_barrier
	s_and_saveexec_b64 s[2:3], vcc
	s_cbranch_execz .LBB162_20
; %bb.19:
	v_and_b32_e32 v5, 3, v3
	v_lshlrev_b32_e32 v1, 3, v5
	ds_read_b64 v[1:2], v1 offset:128
	v_cmp_ne_u32_e32 vcc, 3, v5
	v_addc_co_u32_e32 v3, vcc, 0, v3, vcc
	v_lshlrev_b32_e32 v3, 2, v3
	s_waitcnt lgkmcnt(0)
	ds_bpermute_b32 v5, v3, v1
	ds_bpermute_b32 v3, v3, v2
	v_or_b32_e32 v4, 8, v4
	s_waitcnt lgkmcnt(1)
	v_add_co_u32_e32 v1, vcc, v1, v5
	v_addc_co_u32_e32 v2, vcc, 0, v2, vcc
	ds_bpermute_b32 v5, v4, v1
	v_add_co_u32_e32 v1, vcc, 0, v1
	s_waitcnt lgkmcnt(1)
	v_addc_co_u32_e32 v2, vcc, v3, v2, vcc
	ds_bpermute_b32 v3, v4, v2
	s_waitcnt lgkmcnt(1)
	v_add_co_u32_e32 v1, vcc, v1, v5
	v_addc_co_u32_e32 v2, vcc, 0, v2, vcc
	v_add_co_u32_e32 v1, vcc, 0, v1
	s_waitcnt lgkmcnt(0)
	v_addc_co_u32_e32 v2, vcc, v2, v3, vcc
.LBB162_20:
	s_or_b64 exec, exec, s[2:3]
	s_mov_b64 s[2:3], 0
	s_branch .LBB162_74
.LBB162_21:
	s_mov_b64 s[8:9], -1
                                        ; implicit-def: $vgpr1_vgpr2
.LBB162_22:
	s_and_b64 vcc, exec, s[8:9]
	s_cbranch_vccz .LBB162_72
; %bb.23:
	s_sub_i32 s8, s18, s4
	v_cmp_gt_u32_e32 vcc, s8, v0
                                        ; implicit-def: $vgpr1_vgpr2
	s_and_saveexec_b64 s[4:5], vcc
	s_cbranch_execz .LBB162_25
; %bb.24:
	v_lshlrev_b32_e32 v1, 3, v0
	global_load_dwordx2 v[1:2], v1, s[2:3]
.LBB162_25:
	s_or_b64 exec, exec, s[4:5]
	v_or_b32_e32 v7, 0x100, v0
	v_mov_b32_e32 v3, 0
	v_mov_b32_e32 v5, 0
	;; [unrolled: 1-line block ×4, first 2 shown]
	v_cmp_gt_u32_e32 vcc, s8, v7
	s_and_saveexec_b64 s[4:5], vcc
	s_cbranch_execz .LBB162_27
; %bb.26:
	v_lshlrev_b32_e32 v5, 3, v0
	global_load_dwordx2 v[5:6], v5, s[2:3] offset:2048
.LBB162_27:
	s_or_b64 exec, exec, s[4:5]
	v_or_b32_e32 v7, 0x200, v0
	v_cmp_gt_u32_e32 vcc, s8, v7
	s_and_saveexec_b64 s[4:5], vcc
	s_cbranch_execz .LBB162_29
; %bb.28:
	v_lshlrev_b32_e32 v3, 3, v7
	global_load_dwordx2 v[3:4], v3, s[2:3]
.LBB162_29:
	s_or_b64 exec, exec, s[4:5]
	v_or_b32_e32 v11, 0x300, v0
	v_mov_b32_e32 v7, 0
	v_mov_b32_e32 v9, 0
	v_mov_b32_e32 v8, 0
	v_mov_b32_e32 v10, 0
	v_cmp_gt_u32_e32 vcc, s8, v11
	s_and_saveexec_b64 s[4:5], vcc
	s_cbranch_execz .LBB162_31
; %bb.30:
	v_lshlrev_b32_e32 v9, 3, v11
	global_load_dwordx2 v[9:10], v9, s[2:3]
.LBB162_31:
	s_or_b64 exec, exec, s[4:5]
	v_or_b32_e32 v11, 0x400, v0
	v_cmp_gt_u32_e32 vcc, s8, v11
	s_and_saveexec_b64 s[4:5], vcc
	s_cbranch_execz .LBB162_33
; %bb.32:
	v_lshlrev_b32_e32 v7, 3, v11
	global_load_dwordx2 v[7:8], v7, s[2:3]
.LBB162_33:
	s_or_b64 exec, exec, s[4:5]
	v_or_b32_e32 v15, 0x500, v0
	v_mov_b32_e32 v11, 0
	v_mov_b32_e32 v13, 0
	v_mov_b32_e32 v12, 0
	v_mov_b32_e32 v14, 0
	v_cmp_gt_u32_e32 vcc, s8, v15
	s_and_saveexec_b64 s[4:5], vcc
	s_cbranch_execz .LBB162_35
; %bb.34:
	v_lshlrev_b32_e32 v13, 3, v15
	global_load_dwordx2 v[13:14], v13, s[2:3]
.LBB162_35:
	;; [unrolled: 22-line block ×6, first 2 shown]
	s_or_b64 exec, exec, s[4:5]
	v_or_b32_e32 v31, 0xe00, v0
	v_cmp_gt_u32_e32 vcc, s8, v31
	s_and_saveexec_b64 s[4:5], vcc
	s_cbranch_execz .LBB162_53
; %bb.52:
	v_lshlrev_b32_e32 v27, 3, v31
	global_load_dwordx2 v[27:28], v27, s[2:3]
.LBB162_53:
	s_or_b64 exec, exec, s[4:5]
	v_or_b32_e32 v33, 0xf00, v0
	v_mov_b32_e32 v31, 0
	v_mov_b32_e32 v32, 0
	v_cmp_gt_u32_e32 vcc, s8, v33
	s_and_saveexec_b64 s[4:5], vcc
	s_cbranch_execz .LBB162_55
; %bb.54:
	v_lshlrev_b32_e32 v31, 3, v33
	global_load_dwordx2 v[31:32], v31, s[2:3]
.LBB162_55:
	s_or_b64 exec, exec, s[4:5]
	s_waitcnt vmcnt(0)
	v_add_co_u32_e32 v1, vcc, v5, v1
	v_addc_co_u32_e32 v2, vcc, v6, v2, vcc
	v_add_co_u32_e32 v1, vcc, v1, v3
	v_addc_co_u32_e32 v2, vcc, v2, v4, vcc
	;; [unrolled: 2-line block ×14, first 2 shown]
	v_mbcnt_lo_u32_b32 v3, -1, 0
	v_add_co_u32_e32 v1, vcc, v1, v31
	v_mbcnt_hi_u32_b32 v3, -1, v3
	v_addc_co_u32_e32 v2, vcc, v2, v32, vcc
	v_and_b32_e32 v4, 63, v3
	v_cmp_ne_u32_e32 vcc, 63, v4
	v_addc_co_u32_e32 v6, vcc, 0, v3, vcc
	v_lshlrev_b32_e32 v6, 2, v6
	ds_bpermute_b32 v8, v6, v1
	ds_bpermute_b32 v7, v6, v2
	s_min_u32 s4, s8, 0x100
	v_and_b32_e32 v5, 0xc0, v0
	v_sub_u32_e64 v5, s4, v5 clamp
	v_add_u32_e32 v6, 1, v4
	v_cmp_lt_u32_e32 vcc, v6, v5
	v_mov_b32_e32 v6, v1
	s_and_saveexec_b64 s[2:3], vcc
	s_cbranch_execz .LBB162_57
; %bb.56:
	s_waitcnt lgkmcnt(1)
	v_add_co_u32_e32 v6, vcc, v1, v8
	v_addc_co_u32_e32 v2, vcc, 0, v2, vcc
	v_add_co_u32_e32 v1, vcc, 0, v6
	s_waitcnt lgkmcnt(0)
	v_addc_co_u32_e32 v2, vcc, v7, v2, vcc
.LBB162_57:
	s_or_b64 exec, exec, s[2:3]
	v_cmp_gt_u32_e32 vcc, 62, v4
	s_waitcnt lgkmcnt(0)
	v_cndmask_b32_e64 v7, 0, 2, vcc
	v_add_lshl_u32 v7, v7, v3, 2
	ds_bpermute_b32 v8, v7, v6
	ds_bpermute_b32 v7, v7, v2
	v_add_u32_e32 v9, 2, v4
	v_cmp_lt_u32_e32 vcc, v9, v5
	s_and_saveexec_b64 s[2:3], vcc
	s_cbranch_execz .LBB162_59
; %bb.58:
	s_waitcnt lgkmcnt(1)
	v_add_co_u32_e32 v6, vcc, v1, v8
	v_addc_co_u32_e32 v2, vcc, 0, v2, vcc
	v_add_co_u32_e32 v1, vcc, 0, v6
	s_waitcnt lgkmcnt(0)
	v_addc_co_u32_e32 v2, vcc, v7, v2, vcc
.LBB162_59:
	s_or_b64 exec, exec, s[2:3]
	v_cmp_gt_u32_e32 vcc, 60, v4
	s_waitcnt lgkmcnt(0)
	v_cndmask_b32_e64 v7, 0, 4, vcc
	v_add_lshl_u32 v7, v7, v3, 2
	ds_bpermute_b32 v8, v7, v6
	ds_bpermute_b32 v7, v7, v2
	v_add_u32_e32 v9, 4, v4
	v_cmp_lt_u32_e32 vcc, v9, v5
	;; [unrolled: 19-line block ×4, first 2 shown]
	s_and_saveexec_b64 s[2:3], vcc
	s_cbranch_execz .LBB162_65
; %bb.64:
	s_waitcnt lgkmcnt(1)
	v_add_co_u32_e32 v6, vcc, v1, v8
	v_addc_co_u32_e32 v2, vcc, 0, v2, vcc
	v_add_co_u32_e32 v1, vcc, 0, v6
	s_waitcnt lgkmcnt(0)
	v_addc_co_u32_e32 v2, vcc, v7, v2, vcc
.LBB162_65:
	s_or_b64 exec, exec, s[2:3]
	s_waitcnt lgkmcnt(0)
	v_lshlrev_b32_e32 v7, 2, v3
	v_or_b32_e32 v8, 0x80, v7
	ds_bpermute_b32 v6, v8, v6
	ds_bpermute_b32 v8, v8, v2
	v_add_u32_e32 v4, 32, v4
	s_waitcnt lgkmcnt(1)
	v_add_co_u32_e32 v6, vcc, v1, v6
	v_addc_co_u32_e32 v9, vcc, 0, v2, vcc
	v_add_co_u32_e32 v6, vcc, 0, v6
	s_waitcnt lgkmcnt(0)
	v_addc_co_u32_e32 v8, vcc, v9, v8, vcc
	v_cmp_lt_u32_e32 vcc, v4, v5
	v_cndmask_b32_e32 v2, v2, v8, vcc
	v_cndmask_b32_e32 v1, v1, v6, vcc
	v_cmp_eq_u32_e32 vcc, 0, v3
	s_and_saveexec_b64 s[2:3], vcc
; %bb.66:
	v_lshrrev_b32_e32 v4, 3, v0
	v_and_b32_e32 v4, 24, v4
	ds_write_b64 v4, v[1:2] offset:160
; %bb.67:
	s_or_b64 exec, exec, s[2:3]
	v_cmp_gt_u32_e32 vcc, 4, v0
	s_waitcnt lgkmcnt(0)
	s_barrier
	s_and_saveexec_b64 s[2:3], vcc
	s_cbranch_execz .LBB162_71
; %bb.68:
	v_lshlrev_b32_e32 v1, 3, v3
	ds_read_b64 v[1:2], v1 offset:160
	v_and_b32_e32 v4, 3, v3
	v_cmp_ne_u32_e32 vcc, 3, v4
	v_addc_co_u32_e32 v3, vcc, 0, v3, vcc
	v_lshlrev_b32_e32 v3, 2, v3
	s_waitcnt lgkmcnt(0)
	ds_bpermute_b32 v6, v3, v1
	ds_bpermute_b32 v5, v3, v2
	s_add_i32 s4, s4, 63
	s_lshr_b32 s8, s4, 6
	v_add_u32_e32 v3, 1, v4
	v_cmp_gt_u32_e32 vcc, s8, v3
	v_mov_b32_e32 v3, v1
	s_and_saveexec_b64 s[4:5], vcc
	s_cbranch_execz .LBB162_70
; %bb.69:
	s_waitcnt lgkmcnt(1)
	v_add_co_u32_e32 v3, vcc, v1, v6
	v_addc_co_u32_e32 v2, vcc, 0, v2, vcc
	v_add_co_u32_e32 v1, vcc, 0, v3
	s_waitcnt lgkmcnt(0)
	v_addc_co_u32_e32 v2, vcc, v5, v2, vcc
.LBB162_70:
	s_or_b64 exec, exec, s[4:5]
	s_waitcnt lgkmcnt(0)
	v_or_b32_e32 v5, 8, v7
	ds_bpermute_b32 v3, v5, v3
	ds_bpermute_b32 v5, v5, v2
	v_add_u32_e32 v4, 2, v4
	s_waitcnt lgkmcnt(1)
	v_add_co_u32_e32 v3, vcc, v1, v3
	v_addc_co_u32_e32 v6, vcc, 0, v2, vcc
	v_add_co_u32_e32 v3, vcc, 0, v3
	s_waitcnt lgkmcnt(0)
	v_addc_co_u32_e32 v5, vcc, v6, v5, vcc
	v_cmp_gt_u32_e32 vcc, s8, v4
	v_cndmask_b32_e32 v2, v2, v5, vcc
	v_cndmask_b32_e32 v1, v1, v3, vcc
.LBB162_71:
	s_or_b64 exec, exec, s[2:3]
.LBB162_72:
	v_mov_b32_e32 v3, s6
	v_cmp_eq_u32_e64 s[2:3], 0, v0
	v_mov_b32_e32 v4, s7
	s_and_b64 vcc, exec, s[0:1]
	s_cbranch_vccnz .LBB162_14
	s_branch .LBB162_109
.LBB162_73:
	s_mov_b64 s[2:3], -1
                                        ; implicit-def: $vgpr1_vgpr2
.LBB162_74:
	s_and_b64 vcc, exec, s[2:3]
	s_cbranch_vccz .LBB162_108
; %bb.75:
	s_sub_i32 s27, s18, s0
	v_mov_b32_e32 v1, 0
	v_cmp_gt_u32_e32 vcc, s27, v0
	v_mov_b32_e32 v2, v1
	v_mov_b32_e32 v3, v1
	;; [unrolled: 1-line block ×15, first 2 shown]
	s_and_saveexec_b64 s[0:1], vcc
	s_cbranch_execz .LBB162_77
; %bb.76:
	v_mov_b32_e32 v3, v1
	v_mov_b32_e32 v4, v1
	;; [unrolled: 1-line block ×14, first 2 shown]
	v_lshlrev_b32_e32 v1, 3, v0
	global_load_dwordx2 v[1:2], v1, s[14:15]
.LBB162_77:
	s_or_b64 exec, exec, s[0:1]
	v_or_b32_e32 v17, 0x100, v0
	v_cmp_gt_u32_e32 vcc, s27, v17
	s_and_saveexec_b64 s[0:1], vcc
	s_cbranch_execz .LBB162_79
; %bb.78:
	v_lshlrev_b32_e32 v3, 3, v0
	global_load_dwordx2 v[3:4], v3, s[14:15] offset:2048
.LBB162_79:
	s_or_b64 exec, exec, s[0:1]
	v_or_b32_e32 v17, 0x200, v0
	v_cmp_gt_u32_e64 s[0:1], s27, v17
	s_and_saveexec_b64 s[2:3], s[0:1]
	s_cbranch_execz .LBB162_81
; %bb.80:
	v_lshlrev_b32_e32 v5, 3, v17
	global_load_dwordx2 v[5:6], v5, s[14:15]
.LBB162_81:
	s_or_b64 exec, exec, s[2:3]
	v_or_b32_e32 v17, 0x300, v0
	v_cmp_gt_u32_e64 s[2:3], s27, v17
	s_and_saveexec_b64 s[4:5], s[2:3]
	s_cbranch_execz .LBB162_83
; %bb.82:
	v_lshlrev_b32_e32 v7, 3, v17
	global_load_dwordx2 v[7:8], v7, s[14:15]
.LBB162_83:
	;; [unrolled: 9-line block ×6, first 2 shown]
	s_or_b64 exec, exec, s[24:25]
	s_waitcnt vmcnt(0)
	v_cndmask_b32_e32 v3, 0, v3, vcc
	v_cndmask_b32_e32 v4, 0, v4, vcc
	v_add_co_u32_e32 v1, vcc, v3, v1
	v_addc_co_u32_e32 v2, vcc, v4, v2, vcc
	v_cndmask_b32_e64 v4, 0, v5, s[0:1]
	v_cndmask_b32_e64 v3, 0, v6, s[0:1]
	v_add_co_u32_e32 v1, vcc, v1, v4
	v_addc_co_u32_e32 v2, vcc, v2, v3, vcc
	v_cndmask_b32_e64 v4, 0, v7, s[2:3]
	v_cndmask_b32_e64 v3, 0, v8, s[2:3]
	;; [unrolled: 4-line block ×6, first 2 shown]
	v_add_co_u32_e32 v1, vcc, v1, v4
	v_addc_co_u32_e32 v2, vcc, v2, v3, vcc
	v_mbcnt_lo_u32_b32 v3, -1, 0
	v_mbcnt_hi_u32_b32 v3, -1, v3
	v_and_b32_e32 v4, 63, v3
	v_cmp_ne_u32_e32 vcc, 63, v4
	v_addc_co_u32_e32 v6, vcc, 0, v3, vcc
	v_lshlrev_b32_e32 v6, 2, v6
	ds_bpermute_b32 v8, v6, v1
	ds_bpermute_b32 v7, v6, v2
	s_min_u32 s2, s27, 0x100
	v_and_b32_e32 v5, 0xc0, v0
	v_sub_u32_e64 v5, s2, v5 clamp
	v_add_u32_e32 v6, 1, v4
	v_cmp_lt_u32_e32 vcc, v6, v5
	v_mov_b32_e32 v6, v1
	s_and_saveexec_b64 s[0:1], vcc
	s_cbranch_execz .LBB162_93
; %bb.92:
	s_waitcnt lgkmcnt(1)
	v_add_co_u32_e32 v6, vcc, v1, v8
	v_addc_co_u32_e32 v2, vcc, 0, v2, vcc
	v_add_co_u32_e32 v1, vcc, 0, v6
	s_waitcnt lgkmcnt(0)
	v_addc_co_u32_e32 v2, vcc, v2, v7, vcc
.LBB162_93:
	s_or_b64 exec, exec, s[0:1]
	v_cmp_gt_u32_e32 vcc, 62, v4
	s_waitcnt lgkmcnt(0)
	v_cndmask_b32_e64 v7, 0, 2, vcc
	v_add_lshl_u32 v7, v7, v3, 2
	ds_bpermute_b32 v8, v7, v6
	ds_bpermute_b32 v7, v7, v2
	v_add_u32_e32 v9, 2, v4
	v_cmp_lt_u32_e32 vcc, v9, v5
	s_and_saveexec_b64 s[0:1], vcc
	s_cbranch_execz .LBB162_95
; %bb.94:
	s_waitcnt lgkmcnt(1)
	v_add_co_u32_e32 v6, vcc, v1, v8
	v_addc_co_u32_e32 v2, vcc, 0, v2, vcc
	v_add_co_u32_e32 v1, vcc, 0, v6
	s_waitcnt lgkmcnt(0)
	v_addc_co_u32_e32 v2, vcc, v7, v2, vcc
.LBB162_95:
	s_or_b64 exec, exec, s[0:1]
	v_cmp_gt_u32_e32 vcc, 60, v4
	s_waitcnt lgkmcnt(0)
	v_cndmask_b32_e64 v7, 0, 4, vcc
	v_add_lshl_u32 v7, v7, v3, 2
	ds_bpermute_b32 v8, v7, v6
	ds_bpermute_b32 v7, v7, v2
	v_add_u32_e32 v9, 4, v4
	v_cmp_lt_u32_e32 vcc, v9, v5
	;; [unrolled: 19-line block ×4, first 2 shown]
	s_and_saveexec_b64 s[0:1], vcc
	s_cbranch_execz .LBB162_101
; %bb.100:
	s_waitcnt lgkmcnt(1)
	v_add_co_u32_e32 v6, vcc, v1, v8
	v_addc_co_u32_e32 v2, vcc, 0, v2, vcc
	v_add_co_u32_e32 v1, vcc, 0, v6
	s_waitcnt lgkmcnt(0)
	v_addc_co_u32_e32 v2, vcc, v7, v2, vcc
.LBB162_101:
	s_or_b64 exec, exec, s[0:1]
	s_waitcnt lgkmcnt(0)
	v_lshlrev_b32_e32 v7, 2, v3
	v_or_b32_e32 v8, 0x80, v7
	ds_bpermute_b32 v6, v8, v6
	ds_bpermute_b32 v8, v8, v2
	v_add_u32_e32 v4, 32, v4
	s_waitcnt lgkmcnt(1)
	v_add_co_u32_e32 v6, vcc, v1, v6
	v_addc_co_u32_e32 v9, vcc, 0, v2, vcc
	v_add_co_u32_e32 v6, vcc, 0, v6
	s_waitcnt lgkmcnt(0)
	v_addc_co_u32_e32 v8, vcc, v9, v8, vcc
	v_cmp_lt_u32_e32 vcc, v4, v5
	v_cndmask_b32_e32 v2, v2, v8, vcc
	v_cndmask_b32_e32 v1, v1, v6, vcc
	v_cmp_eq_u32_e32 vcc, 0, v3
	s_and_saveexec_b64 s[0:1], vcc
; %bb.102:
	v_lshrrev_b32_e32 v4, 3, v0
	v_and_b32_e32 v4, 24, v4
	ds_write_b64 v4, v[1:2] offset:160
; %bb.103:
	s_or_b64 exec, exec, s[0:1]
	v_cmp_gt_u32_e32 vcc, 4, v0
	s_waitcnt lgkmcnt(0)
	s_barrier
	s_and_saveexec_b64 s[0:1], vcc
	s_cbranch_execz .LBB162_107
; %bb.104:
	v_lshlrev_b32_e32 v1, 3, v3
	ds_read_b64 v[1:2], v1 offset:160
	v_and_b32_e32 v4, 3, v3
	v_cmp_ne_u32_e32 vcc, 3, v4
	v_addc_co_u32_e32 v3, vcc, 0, v3, vcc
	v_lshlrev_b32_e32 v3, 2, v3
	s_waitcnt lgkmcnt(0)
	ds_bpermute_b32 v6, v3, v1
	ds_bpermute_b32 v5, v3, v2
	s_add_i32 s2, s2, 63
	s_lshr_b32 s4, s2, 6
	v_add_u32_e32 v3, 1, v4
	v_cmp_gt_u32_e32 vcc, s4, v3
	v_mov_b32_e32 v3, v1
	s_and_saveexec_b64 s[2:3], vcc
	s_cbranch_execz .LBB162_106
; %bb.105:
	s_waitcnt lgkmcnt(1)
	v_add_co_u32_e32 v3, vcc, v1, v6
	v_addc_co_u32_e32 v2, vcc, 0, v2, vcc
	v_add_co_u32_e32 v1, vcc, 0, v3
	s_waitcnt lgkmcnt(0)
	v_addc_co_u32_e32 v2, vcc, v5, v2, vcc
.LBB162_106:
	s_or_b64 exec, exec, s[2:3]
	s_waitcnt lgkmcnt(0)
	v_or_b32_e32 v5, 8, v7
	ds_bpermute_b32 v3, v5, v3
	ds_bpermute_b32 v5, v5, v2
	v_add_u32_e32 v4, 2, v4
	s_waitcnt lgkmcnt(1)
	v_add_co_u32_e32 v3, vcc, v1, v3
	v_addc_co_u32_e32 v6, vcc, 0, v2, vcc
	v_add_co_u32_e32 v3, vcc, 0, v3
	s_waitcnt lgkmcnt(0)
	v_addc_co_u32_e32 v5, vcc, v6, v5, vcc
	v_cmp_gt_u32_e32 vcc, s4, v4
	v_cndmask_b32_e32 v2, v2, v5, vcc
	v_cndmask_b32_e32 v1, v1, v3, vcc
.LBB162_107:
	s_or_b64 exec, exec, s[0:1]
.LBB162_108:
	v_mov_b32_e32 v3, s6
	v_cmp_eq_u32_e64 s[2:3], 0, v0
	v_mov_b32_e32 v4, s7
.LBB162_109:
	s_branch .LBB162_144
.LBB162_110:
	s_cmp_eq_u32 s26, 4
                                        ; implicit-def: $vgpr1_vgpr2
                                        ; implicit-def: $vgpr3_vgpr4
	s_cbranch_scc0 .LBB162_144
; %bb.111:
	s_mov_b32 s7, 0
	s_lshl_b32 s0, s6, 10
	s_mov_b32 s1, s7
	s_lshr_b64 s[2:3], s[18:19], 10
	s_lshl_b64 s[4:5], s[0:1], 3
	s_add_u32 s4, s16, s4
	s_addc_u32 s5, s17, s5
	s_cmp_lg_u64 s[2:3], s[6:7]
	s_cbranch_scc0 .LBB162_117
; %bb.112:
	v_lshlrev_b32_e32 v3, 3, v0
	v_mov_b32_e32 v1, s5
	v_add_co_u32_e32 v4, vcc, s4, v3
	v_addc_co_u32_e32 v7, vcc, 0, v1, vcc
	global_load_dwordx2 v[1:2], v3, s[4:5]
	global_load_dwordx2 v[5:6], v3, s[4:5] offset:2048
	v_add_co_u32_e32 v3, vcc, 0x1000, v4
	v_addc_co_u32_e32 v4, vcc, 0, v7, vcc
	global_load_dwordx2 v[7:8], v[3:4], off
	global_load_dwordx2 v[9:10], v[3:4], off offset:2048
	v_mbcnt_lo_u32_b32 v3, -1, 0
	v_mbcnt_hi_u32_b32 v3, -1, v3
	v_lshlrev_b32_e32 v4, 2, v3
	v_or_b32_e32 v11, 0xfc, v4
	s_waitcnt vmcnt(2)
	v_add_co_u32_e32 v1, vcc, v5, v1
	v_addc_co_u32_e32 v2, vcc, v6, v2, vcc
	s_waitcnt vmcnt(1)
	v_add_co_u32_e32 v1, vcc, v1, v7
	v_addc_co_u32_e32 v2, vcc, v2, v8, vcc
	;; [unrolled: 3-line block ×3, first 2 shown]
	s_nop 0
	v_mov_b32_dpp v5, v1 quad_perm:[1,0,3,2] row_mask:0xf bank_mask:0xf bound_ctrl:1
	v_add_co_u32_e32 v1, vcc, v1, v5
	v_mov_b32_dpp v6, v2 quad_perm:[1,0,3,2] row_mask:0xf bank_mask:0xf bound_ctrl:1
	v_addc_co_u32_e32 v2, vcc, 0, v2, vcc
	v_add_co_u32_e32 v5, vcc, 0, v1
	v_addc_co_u32_e32 v2, vcc, v6, v2, vcc
	v_mov_b32_dpp v1, v1 quad_perm:[2,3,0,1] row_mask:0xf bank_mask:0xf bound_ctrl:1
	v_add_co_u32_e32 v1, vcc, v5, v1
	v_mov_b32_dpp v6, v2 quad_perm:[2,3,0,1] row_mask:0xf bank_mask:0xf bound_ctrl:1
	v_addc_co_u32_e32 v2, vcc, 0, v2, vcc
	v_add_co_u32_e32 v5, vcc, 0, v1
	v_addc_co_u32_e32 v2, vcc, v2, v6, vcc
	v_mov_b32_dpp v1, v1 row_ror:4 row_mask:0xf bank_mask:0xf bound_ctrl:1
	v_add_co_u32_e32 v1, vcc, v5, v1
	v_mov_b32_dpp v6, v2 row_ror:4 row_mask:0xf bank_mask:0xf bound_ctrl:1
	v_addc_co_u32_e32 v2, vcc, 0, v2, vcc
	v_add_co_u32_e32 v5, vcc, 0, v1
	v_addc_co_u32_e32 v2, vcc, v2, v6, vcc
	v_mov_b32_dpp v1, v1 row_ror:8 row_mask:0xf bank_mask:0xf bound_ctrl:1
	v_add_co_u32_e32 v1, vcc, v5, v1
	v_mov_b32_dpp v6, v2 row_ror:8 row_mask:0xf bank_mask:0xf bound_ctrl:1
	v_addc_co_u32_e32 v2, vcc, 0, v2, vcc
	v_add_co_u32_e32 v5, vcc, 0, v1
	v_addc_co_u32_e32 v2, vcc, v2, v6, vcc
	v_mov_b32_dpp v1, v1 row_bcast:15 row_mask:0xf bank_mask:0xf bound_ctrl:1
	v_add_co_u32_e32 v1, vcc, v5, v1
	v_mov_b32_dpp v6, v2 row_bcast:15 row_mask:0xf bank_mask:0xf bound_ctrl:1
	v_addc_co_u32_e32 v2, vcc, 0, v2, vcc
	v_add_co_u32_e32 v5, vcc, 0, v1
	v_addc_co_u32_e32 v2, vcc, v2, v6, vcc
	v_mov_b32_dpp v1, v1 row_bcast:31 row_mask:0xf bank_mask:0xf bound_ctrl:1
	v_add_co_u32_e32 v1, vcc, v5, v1
	v_addc_co_u32_e32 v5, vcc, 0, v2, vcc
	ds_bpermute_b32 v1, v11, v1
	s_nop 0
	v_add_u32_dpp v2, v2, v5 row_bcast:31 row_mask:0xf bank_mask:0xf bound_ctrl:1
	ds_bpermute_b32 v2, v11, v2
	v_cmp_eq_u32_e32 vcc, 0, v3
	s_and_saveexec_b64 s[2:3], vcc
	s_cbranch_execz .LBB162_114
; %bb.113:
	v_lshrrev_b32_e32 v5, 3, v0
	v_and_b32_e32 v5, 24, v5
	s_waitcnt lgkmcnt(0)
	ds_write_b64 v5, v[1:2] offset:96
.LBB162_114:
	s_or_b64 exec, exec, s[2:3]
	v_cmp_gt_u32_e32 vcc, 64, v0
	s_waitcnt lgkmcnt(0)
	s_barrier
	s_and_saveexec_b64 s[2:3], vcc
	s_cbranch_execz .LBB162_116
; %bb.115:
	v_and_b32_e32 v5, 3, v3
	v_lshlrev_b32_e32 v1, 3, v5
	ds_read_b64 v[1:2], v1 offset:96
	v_cmp_ne_u32_e32 vcc, 3, v5
	v_addc_co_u32_e32 v3, vcc, 0, v3, vcc
	v_lshlrev_b32_e32 v3, 2, v3
	s_waitcnt lgkmcnt(0)
	ds_bpermute_b32 v5, v3, v1
	ds_bpermute_b32 v3, v3, v2
	v_or_b32_e32 v4, 8, v4
	s_waitcnt lgkmcnt(1)
	v_add_co_u32_e32 v1, vcc, v1, v5
	v_addc_co_u32_e32 v2, vcc, 0, v2, vcc
	ds_bpermute_b32 v5, v4, v1
	v_add_co_u32_e32 v1, vcc, 0, v1
	s_waitcnt lgkmcnt(1)
	v_addc_co_u32_e32 v2, vcc, v3, v2, vcc
	ds_bpermute_b32 v3, v4, v2
	s_waitcnt lgkmcnt(1)
	v_add_co_u32_e32 v1, vcc, v1, v5
	v_addc_co_u32_e32 v2, vcc, 0, v2, vcc
	v_add_co_u32_e32 v1, vcc, 0, v1
	s_waitcnt lgkmcnt(0)
	v_addc_co_u32_e32 v2, vcc, v2, v3, vcc
.LBB162_116:
	s_or_b64 exec, exec, s[2:3]
	s_branch .LBB162_143
.LBB162_117:
                                        ; implicit-def: $vgpr1_vgpr2
	s_cbranch_execz .LBB162_143
; %bb.118:
	s_sub_i32 s10, s18, s0
	v_mov_b32_e32 v1, 0
	v_cmp_gt_u32_e32 vcc, s10, v0
	v_mov_b32_e32 v2, v1
	v_mov_b32_e32 v3, v1
	v_mov_b32_e32 v4, v1
	v_mov_b32_e32 v5, v1
	v_mov_b32_e32 v6, v1
	v_mov_b32_e32 v7, v1
	v_mov_b32_e32 v8, v1
	s_and_saveexec_b64 s[0:1], vcc
	s_cbranch_execz .LBB162_120
; %bb.119:
	v_lshlrev_b32_e32 v2, 3, v0
	global_load_dwordx2 v[2:3], v2, s[4:5]
	v_mov_b32_e32 v4, v1
	v_mov_b32_e32 v5, v1
	v_mov_b32_e32 v6, v1
	v_mov_b32_e32 v7, v1
	v_mov_b32_e32 v8, v1
	v_mov_b32_e32 v9, v1
	s_waitcnt vmcnt(0)
	v_mov_b32_e32 v1, v2
	v_mov_b32_e32 v2, v3
	;; [unrolled: 1-line block ×8, first 2 shown]
.LBB162_120:
	s_or_b64 exec, exec, s[0:1]
	v_or_b32_e32 v9, 0x100, v0
	v_cmp_gt_u32_e32 vcc, s10, v9
	s_and_saveexec_b64 s[0:1], vcc
	s_cbranch_execz .LBB162_122
; %bb.121:
	v_lshlrev_b32_e32 v3, 3, v0
	global_load_dwordx2 v[3:4], v3, s[4:5] offset:2048
.LBB162_122:
	s_or_b64 exec, exec, s[0:1]
	v_or_b32_e32 v9, 0x200, v0
	v_cmp_gt_u32_e64 s[0:1], s10, v9
	s_and_saveexec_b64 s[2:3], s[0:1]
	s_cbranch_execz .LBB162_124
; %bb.123:
	v_lshlrev_b32_e32 v5, 3, v9
	global_load_dwordx2 v[5:6], v5, s[4:5]
.LBB162_124:
	s_or_b64 exec, exec, s[2:3]
	v_or_b32_e32 v9, 0x300, v0
	v_cmp_gt_u32_e64 s[2:3], s10, v9
	s_and_saveexec_b64 s[8:9], s[2:3]
	s_cbranch_execz .LBB162_126
; %bb.125:
	v_lshlrev_b32_e32 v7, 3, v9
	global_load_dwordx2 v[7:8], v7, s[4:5]
.LBB162_126:
	s_or_b64 exec, exec, s[8:9]
	s_waitcnt vmcnt(0)
	v_cndmask_b32_e32 v3, 0, v3, vcc
	v_cndmask_b32_e32 v4, 0, v4, vcc
	v_add_co_u32_e32 v1, vcc, v3, v1
	v_addc_co_u32_e32 v2, vcc, v4, v2, vcc
	v_cndmask_b32_e64 v4, 0, v5, s[0:1]
	v_cndmask_b32_e64 v3, 0, v6, s[0:1]
	v_add_co_u32_e32 v1, vcc, v1, v4
	v_addc_co_u32_e32 v2, vcc, v2, v3, vcc
	v_cndmask_b32_e64 v4, 0, v7, s[2:3]
	v_cndmask_b32_e64 v3, 0, v8, s[2:3]
	v_add_co_u32_e32 v1, vcc, v1, v4
	v_addc_co_u32_e32 v2, vcc, v2, v3, vcc
	v_mbcnt_lo_u32_b32 v3, -1, 0
	v_mbcnt_hi_u32_b32 v3, -1, v3
	v_and_b32_e32 v4, 63, v3
	v_cmp_ne_u32_e32 vcc, 63, v4
	v_addc_co_u32_e32 v6, vcc, 0, v3, vcc
	v_lshlrev_b32_e32 v6, 2, v6
	ds_bpermute_b32 v8, v6, v1
	ds_bpermute_b32 v7, v6, v2
	s_min_u32 s2, s10, 0x100
	v_and_b32_e32 v5, 0xc0, v0
	v_sub_u32_e64 v5, s2, v5 clamp
	v_add_u32_e32 v6, 1, v4
	v_cmp_lt_u32_e32 vcc, v6, v5
	v_mov_b32_e32 v6, v1
	s_and_saveexec_b64 s[0:1], vcc
	s_cbranch_execz .LBB162_128
; %bb.127:
	s_waitcnt lgkmcnt(1)
	v_add_co_u32_e32 v6, vcc, v1, v8
	v_addc_co_u32_e32 v2, vcc, 0, v2, vcc
	v_add_co_u32_e32 v1, vcc, 0, v6
	s_waitcnt lgkmcnt(0)
	v_addc_co_u32_e32 v2, vcc, v7, v2, vcc
.LBB162_128:
	s_or_b64 exec, exec, s[0:1]
	v_cmp_gt_u32_e32 vcc, 62, v4
	s_waitcnt lgkmcnt(0)
	v_cndmask_b32_e64 v7, 0, 2, vcc
	v_add_lshl_u32 v7, v7, v3, 2
	ds_bpermute_b32 v8, v7, v6
	ds_bpermute_b32 v7, v7, v2
	v_add_u32_e32 v9, 2, v4
	v_cmp_lt_u32_e32 vcc, v9, v5
	s_and_saveexec_b64 s[0:1], vcc
	s_cbranch_execz .LBB162_130
; %bb.129:
	s_waitcnt lgkmcnt(1)
	v_add_co_u32_e32 v6, vcc, v1, v8
	v_addc_co_u32_e32 v2, vcc, 0, v2, vcc
	v_add_co_u32_e32 v1, vcc, 0, v6
	s_waitcnt lgkmcnt(0)
	v_addc_co_u32_e32 v2, vcc, v7, v2, vcc
.LBB162_130:
	s_or_b64 exec, exec, s[0:1]
	v_cmp_gt_u32_e32 vcc, 60, v4
	s_waitcnt lgkmcnt(0)
	v_cndmask_b32_e64 v7, 0, 4, vcc
	v_add_lshl_u32 v7, v7, v3, 2
	ds_bpermute_b32 v8, v7, v6
	ds_bpermute_b32 v7, v7, v2
	v_add_u32_e32 v9, 4, v4
	v_cmp_lt_u32_e32 vcc, v9, v5
	s_and_saveexec_b64 s[0:1], vcc
	s_cbranch_execz .LBB162_132
; %bb.131:
	s_waitcnt lgkmcnt(1)
	v_add_co_u32_e32 v6, vcc, v1, v8
	v_addc_co_u32_e32 v2, vcc, 0, v2, vcc
	v_add_co_u32_e32 v1, vcc, 0, v6
	s_waitcnt lgkmcnt(0)
	v_addc_co_u32_e32 v2, vcc, v7, v2, vcc
.LBB162_132:
	s_or_b64 exec, exec, s[0:1]
	v_cmp_gt_u32_e32 vcc, 56, v4
	s_waitcnt lgkmcnt(0)
	v_cndmask_b32_e64 v7, 0, 8, vcc
	v_add_lshl_u32 v7, v7, v3, 2
	ds_bpermute_b32 v8, v7, v6
	ds_bpermute_b32 v7, v7, v2
	v_add_u32_e32 v9, 8, v4
	v_cmp_lt_u32_e32 vcc, v9, v5
	s_and_saveexec_b64 s[0:1], vcc
	s_cbranch_execz .LBB162_134
; %bb.133:
	s_waitcnt lgkmcnt(1)
	v_add_co_u32_e32 v6, vcc, v1, v8
	v_addc_co_u32_e32 v2, vcc, 0, v2, vcc
	v_add_co_u32_e32 v1, vcc, 0, v6
	s_waitcnt lgkmcnt(0)
	v_addc_co_u32_e32 v2, vcc, v7, v2, vcc
.LBB162_134:
	s_or_b64 exec, exec, s[0:1]
	v_cmp_gt_u32_e32 vcc, 48, v4
	s_waitcnt lgkmcnt(0)
	v_cndmask_b32_e64 v7, 0, 16, vcc
	v_add_lshl_u32 v7, v7, v3, 2
	ds_bpermute_b32 v8, v7, v6
	ds_bpermute_b32 v7, v7, v2
	v_add_u32_e32 v9, 16, v4
	v_cmp_lt_u32_e32 vcc, v9, v5
	s_and_saveexec_b64 s[0:1], vcc
	s_cbranch_execz .LBB162_136
; %bb.135:
	s_waitcnt lgkmcnt(1)
	v_add_co_u32_e32 v6, vcc, v1, v8
	v_addc_co_u32_e32 v2, vcc, 0, v2, vcc
	v_add_co_u32_e32 v1, vcc, 0, v6
	s_waitcnt lgkmcnt(0)
	v_addc_co_u32_e32 v2, vcc, v7, v2, vcc
.LBB162_136:
	s_or_b64 exec, exec, s[0:1]
	s_waitcnt lgkmcnt(0)
	v_lshlrev_b32_e32 v7, 2, v3
	v_or_b32_e32 v8, 0x80, v7
	ds_bpermute_b32 v6, v8, v6
	ds_bpermute_b32 v8, v8, v2
	v_add_u32_e32 v4, 32, v4
	s_waitcnt lgkmcnt(1)
	v_add_co_u32_e32 v6, vcc, v1, v6
	v_addc_co_u32_e32 v9, vcc, 0, v2, vcc
	v_add_co_u32_e32 v6, vcc, 0, v6
	s_waitcnt lgkmcnt(0)
	v_addc_co_u32_e32 v8, vcc, v9, v8, vcc
	v_cmp_lt_u32_e32 vcc, v4, v5
	v_cndmask_b32_e32 v2, v2, v8, vcc
	v_cndmask_b32_e32 v1, v1, v6, vcc
	v_cmp_eq_u32_e32 vcc, 0, v3
	s_and_saveexec_b64 s[0:1], vcc
; %bb.137:
	v_lshrrev_b32_e32 v4, 3, v0
	v_and_b32_e32 v4, 24, v4
	ds_write_b64 v4, v[1:2] offset:160
; %bb.138:
	s_or_b64 exec, exec, s[0:1]
	v_cmp_gt_u32_e32 vcc, 4, v0
	s_waitcnt lgkmcnt(0)
	s_barrier
	s_and_saveexec_b64 s[0:1], vcc
	s_cbranch_execz .LBB162_142
; %bb.139:
	v_lshlrev_b32_e32 v1, 3, v3
	ds_read_b64 v[1:2], v1 offset:160
	v_and_b32_e32 v4, 3, v3
	v_cmp_ne_u32_e32 vcc, 3, v4
	v_addc_co_u32_e32 v3, vcc, 0, v3, vcc
	v_lshlrev_b32_e32 v3, 2, v3
	s_waitcnt lgkmcnt(0)
	ds_bpermute_b32 v6, v3, v1
	ds_bpermute_b32 v5, v3, v2
	s_add_i32 s2, s2, 63
	s_lshr_b32 s4, s2, 6
	v_add_u32_e32 v3, 1, v4
	v_cmp_gt_u32_e32 vcc, s4, v3
	v_mov_b32_e32 v3, v1
	s_and_saveexec_b64 s[2:3], vcc
	s_cbranch_execz .LBB162_141
; %bb.140:
	s_waitcnt lgkmcnt(1)
	v_add_co_u32_e32 v3, vcc, v1, v6
	v_addc_co_u32_e32 v2, vcc, 0, v2, vcc
	v_add_co_u32_e32 v1, vcc, 0, v3
	s_waitcnt lgkmcnt(0)
	v_addc_co_u32_e32 v2, vcc, v5, v2, vcc
.LBB162_141:
	s_or_b64 exec, exec, s[2:3]
	s_waitcnt lgkmcnt(0)
	v_or_b32_e32 v5, 8, v7
	ds_bpermute_b32 v3, v5, v3
	ds_bpermute_b32 v5, v5, v2
	v_add_u32_e32 v4, 2, v4
	s_waitcnt lgkmcnt(1)
	v_add_co_u32_e32 v3, vcc, v1, v3
	v_addc_co_u32_e32 v6, vcc, 0, v2, vcc
	v_add_co_u32_e32 v3, vcc, 0, v3
	s_waitcnt lgkmcnt(0)
	v_addc_co_u32_e32 v5, vcc, v6, v5, vcc
	v_cmp_gt_u32_e32 vcc, s4, v4
	v_cndmask_b32_e32 v2, v2, v5, vcc
	v_cndmask_b32_e32 v1, v1, v3, vcc
.LBB162_142:
	s_or_b64 exec, exec, s[0:1]
.LBB162_143:
	v_mov_b32_e32 v3, s6
	v_cmp_eq_u32_e64 s[2:3], 0, v0
	v_mov_b32_e32 v4, s7
.LBB162_144:
	s_branch .LBB162_206
.LBB162_145:
	s_cmp_gt_i32 s26, 1
	s_cbranch_scc0 .LBB162_153
; %bb.146:
	s_cmp_eq_u32 s26, 2
                                        ; implicit-def: $vgpr1_vgpr2
                                        ; implicit-def: $vgpr3_vgpr4
	s_cbranch_scc0 .LBB162_154
; %bb.147:
	s_mov_b32 s7, 0
	s_lshl_b32 s2, s6, 9
	s_mov_b32 s3, s7
	s_lshr_b64 s[4:5], s[18:19], 9
	s_lshl_b64 s[0:1], s[2:3], 3
	s_add_u32 s0, s16, s0
	s_addc_u32 s1, s17, s1
	s_cmp_lg_u64 s[4:5], s[6:7]
	s_cbranch_scc0 .LBB162_155
; %bb.148:
	v_lshlrev_b32_e32 v3, 3, v0
	global_load_dwordx2 v[1:2], v3, s[0:1]
	global_load_dwordx2 v[5:6], v3, s[0:1] offset:2048
	v_mbcnt_lo_u32_b32 v3, -1, 0
	v_mbcnt_hi_u32_b32 v3, -1, v3
	v_lshlrev_b32_e32 v4, 2, v3
	v_or_b32_e32 v7, 0xfc, v4
	s_waitcnt vmcnt(0)
	v_add_co_u32_e32 v1, vcc, v5, v1
	v_addc_co_u32_e32 v2, vcc, v6, v2, vcc
	s_nop 0
	v_mov_b32_dpp v5, v1 quad_perm:[1,0,3,2] row_mask:0xf bank_mask:0xf bound_ctrl:1
	v_add_co_u32_e32 v1, vcc, v1, v5
	v_mov_b32_dpp v6, v2 quad_perm:[1,0,3,2] row_mask:0xf bank_mask:0xf bound_ctrl:1
	v_addc_co_u32_e32 v2, vcc, 0, v2, vcc
	v_add_co_u32_e32 v5, vcc, 0, v1
	v_addc_co_u32_e32 v2, vcc, v6, v2, vcc
	v_mov_b32_dpp v1, v1 quad_perm:[2,3,0,1] row_mask:0xf bank_mask:0xf bound_ctrl:1
	v_add_co_u32_e32 v1, vcc, v5, v1
	v_mov_b32_dpp v6, v2 quad_perm:[2,3,0,1] row_mask:0xf bank_mask:0xf bound_ctrl:1
	v_addc_co_u32_e32 v2, vcc, 0, v2, vcc
	v_add_co_u32_e32 v5, vcc, 0, v1
	v_addc_co_u32_e32 v2, vcc, v2, v6, vcc
	v_mov_b32_dpp v1, v1 row_ror:4 row_mask:0xf bank_mask:0xf bound_ctrl:1
	v_add_co_u32_e32 v1, vcc, v5, v1
	v_mov_b32_dpp v6, v2 row_ror:4 row_mask:0xf bank_mask:0xf bound_ctrl:1
	v_addc_co_u32_e32 v2, vcc, 0, v2, vcc
	v_add_co_u32_e32 v5, vcc, 0, v1
	v_addc_co_u32_e32 v2, vcc, v2, v6, vcc
	v_mov_b32_dpp v1, v1 row_ror:8 row_mask:0xf bank_mask:0xf bound_ctrl:1
	v_add_co_u32_e32 v1, vcc, v5, v1
	v_mov_b32_dpp v6, v2 row_ror:8 row_mask:0xf bank_mask:0xf bound_ctrl:1
	v_addc_co_u32_e32 v2, vcc, 0, v2, vcc
	v_add_co_u32_e32 v5, vcc, 0, v1
	v_addc_co_u32_e32 v2, vcc, v2, v6, vcc
	v_mov_b32_dpp v1, v1 row_bcast:15 row_mask:0xf bank_mask:0xf bound_ctrl:1
	v_add_co_u32_e32 v1, vcc, v5, v1
	v_mov_b32_dpp v6, v2 row_bcast:15 row_mask:0xf bank_mask:0xf bound_ctrl:1
	v_addc_co_u32_e32 v2, vcc, 0, v2, vcc
	v_add_co_u32_e32 v5, vcc, 0, v1
	v_addc_co_u32_e32 v2, vcc, v2, v6, vcc
	v_mov_b32_dpp v1, v1 row_bcast:31 row_mask:0xf bank_mask:0xf bound_ctrl:1
	v_add_co_u32_e32 v1, vcc, v5, v1
	v_addc_co_u32_e32 v5, vcc, 0, v2, vcc
	ds_bpermute_b32 v1, v7, v1
	s_nop 0
	v_add_u32_dpp v2, v2, v5 row_bcast:31 row_mask:0xf bank_mask:0xf bound_ctrl:1
	ds_bpermute_b32 v2, v7, v2
	v_cmp_eq_u32_e32 vcc, 0, v3
	s_and_saveexec_b64 s[4:5], vcc
	s_cbranch_execz .LBB162_150
; %bb.149:
	v_lshrrev_b32_e32 v5, 3, v0
	v_and_b32_e32 v5, 24, v5
	s_waitcnt lgkmcnt(0)
	ds_write_b64 v5, v[1:2] offset:64
.LBB162_150:
	s_or_b64 exec, exec, s[4:5]
	v_cmp_gt_u32_e32 vcc, 64, v0
	s_waitcnt lgkmcnt(0)
	s_barrier
	s_and_saveexec_b64 s[4:5], vcc
	s_cbranch_execz .LBB162_152
; %bb.151:
	v_and_b32_e32 v5, 3, v3
	v_lshlrev_b32_e32 v1, 3, v5
	ds_read_b64 v[1:2], v1 offset:64
	v_cmp_ne_u32_e32 vcc, 3, v5
	v_addc_co_u32_e32 v3, vcc, 0, v3, vcc
	v_lshlrev_b32_e32 v3, 2, v3
	s_waitcnt lgkmcnt(0)
	ds_bpermute_b32 v5, v3, v1
	ds_bpermute_b32 v3, v3, v2
	v_or_b32_e32 v4, 8, v4
	s_waitcnt lgkmcnt(1)
	v_add_co_u32_e32 v1, vcc, v1, v5
	v_addc_co_u32_e32 v2, vcc, 0, v2, vcc
	ds_bpermute_b32 v5, v4, v1
	v_add_co_u32_e32 v1, vcc, 0, v1
	s_waitcnt lgkmcnt(1)
	v_addc_co_u32_e32 v2, vcc, v3, v2, vcc
	ds_bpermute_b32 v3, v4, v2
	s_waitcnt lgkmcnt(1)
	v_add_co_u32_e32 v1, vcc, v1, v5
	v_addc_co_u32_e32 v2, vcc, 0, v2, vcc
	v_add_co_u32_e32 v1, vcc, 0, v1
	s_waitcnt lgkmcnt(0)
	v_addc_co_u32_e32 v2, vcc, v2, v3, vcc
.LBB162_152:
	s_or_b64 exec, exec, s[4:5]
	s_branch .LBB162_177
.LBB162_153:
                                        ; implicit-def: $vgpr1_vgpr2
                                        ; implicit-def: $vgpr3_vgpr4
	s_cbranch_execnz .LBB162_178
	s_branch .LBB162_206
.LBB162_154:
	s_branch .LBB162_206
.LBB162_155:
                                        ; implicit-def: $vgpr1_vgpr2
	s_cbranch_execz .LBB162_177
; %bb.156:
	s_sub_i32 s4, s18, s2
	v_mov_b32_e32 v1, 0
	v_cmp_gt_u32_e32 vcc, s4, v0
	v_mov_b32_e32 v2, v1
	v_mov_b32_e32 v3, v1
	;; [unrolled: 1-line block ×3, first 2 shown]
	s_and_saveexec_b64 s[2:3], vcc
	s_cbranch_execz .LBB162_158
; %bb.157:
	v_lshlrev_b32_e32 v2, 3, v0
	global_load_dwordx2 v[2:3], v2, s[0:1]
	v_mov_b32_e32 v4, v1
	v_mov_b32_e32 v5, v1
	s_waitcnt vmcnt(0)
	v_mov_b32_e32 v1, v2
	v_mov_b32_e32 v2, v3
	;; [unrolled: 1-line block ×4, first 2 shown]
.LBB162_158:
	s_or_b64 exec, exec, s[2:3]
	v_or_b32_e32 v5, 0x100, v0
	v_cmp_gt_u32_e32 vcc, s4, v5
	s_and_saveexec_b64 s[2:3], vcc
	s_cbranch_execz .LBB162_160
; %bb.159:
	v_lshlrev_b32_e32 v3, 3, v0
	global_load_dwordx2 v[3:4], v3, s[0:1] offset:2048
.LBB162_160:
	s_or_b64 exec, exec, s[2:3]
	s_waitcnt vmcnt(0)
	v_cndmask_b32_e32 v3, 0, v3, vcc
	v_cndmask_b32_e32 v4, 0, v4, vcc
	v_add_co_u32_e32 v1, vcc, v3, v1
	v_mbcnt_lo_u32_b32 v3, -1, 0
	v_mbcnt_hi_u32_b32 v3, -1, v3
	v_addc_co_u32_e32 v2, vcc, v4, v2, vcc
	v_and_b32_e32 v4, 63, v3
	v_cmp_ne_u32_e32 vcc, 63, v4
	v_addc_co_u32_e32 v6, vcc, 0, v3, vcc
	v_lshlrev_b32_e32 v6, 2, v6
	ds_bpermute_b32 v8, v6, v1
	ds_bpermute_b32 v7, v6, v2
	s_min_u32 s2, s4, 0x100
	v_and_b32_e32 v5, 0xc0, v0
	v_sub_u32_e64 v5, s2, v5 clamp
	v_add_u32_e32 v6, 1, v4
	v_cmp_lt_u32_e32 vcc, v6, v5
	v_mov_b32_e32 v6, v1
	s_and_saveexec_b64 s[0:1], vcc
	s_cbranch_execz .LBB162_162
; %bb.161:
	s_waitcnt lgkmcnt(1)
	v_add_co_u32_e32 v6, vcc, v1, v8
	v_addc_co_u32_e32 v2, vcc, 0, v2, vcc
	v_add_co_u32_e32 v1, vcc, 0, v6
	s_waitcnt lgkmcnt(0)
	v_addc_co_u32_e32 v2, vcc, v7, v2, vcc
.LBB162_162:
	s_or_b64 exec, exec, s[0:1]
	v_cmp_gt_u32_e32 vcc, 62, v4
	s_waitcnt lgkmcnt(0)
	v_cndmask_b32_e64 v7, 0, 2, vcc
	v_add_lshl_u32 v7, v7, v3, 2
	ds_bpermute_b32 v8, v7, v6
	ds_bpermute_b32 v7, v7, v2
	v_add_u32_e32 v9, 2, v4
	v_cmp_lt_u32_e32 vcc, v9, v5
	s_and_saveexec_b64 s[0:1], vcc
	s_cbranch_execz .LBB162_164
; %bb.163:
	s_waitcnt lgkmcnt(1)
	v_add_co_u32_e32 v6, vcc, v1, v8
	v_addc_co_u32_e32 v2, vcc, 0, v2, vcc
	v_add_co_u32_e32 v1, vcc, 0, v6
	s_waitcnt lgkmcnt(0)
	v_addc_co_u32_e32 v2, vcc, v7, v2, vcc
.LBB162_164:
	s_or_b64 exec, exec, s[0:1]
	v_cmp_gt_u32_e32 vcc, 60, v4
	s_waitcnt lgkmcnt(0)
	v_cndmask_b32_e64 v7, 0, 4, vcc
	v_add_lshl_u32 v7, v7, v3, 2
	ds_bpermute_b32 v8, v7, v6
	ds_bpermute_b32 v7, v7, v2
	v_add_u32_e32 v9, 4, v4
	v_cmp_lt_u32_e32 vcc, v9, v5
	s_and_saveexec_b64 s[0:1], vcc
	s_cbranch_execz .LBB162_166
; %bb.165:
	s_waitcnt lgkmcnt(1)
	v_add_co_u32_e32 v6, vcc, v1, v8
	v_addc_co_u32_e32 v2, vcc, 0, v2, vcc
	v_add_co_u32_e32 v1, vcc, 0, v6
	s_waitcnt lgkmcnt(0)
	v_addc_co_u32_e32 v2, vcc, v7, v2, vcc
.LBB162_166:
	s_or_b64 exec, exec, s[0:1]
	v_cmp_gt_u32_e32 vcc, 56, v4
	s_waitcnt lgkmcnt(0)
	v_cndmask_b32_e64 v7, 0, 8, vcc
	v_add_lshl_u32 v7, v7, v3, 2
	ds_bpermute_b32 v8, v7, v6
	ds_bpermute_b32 v7, v7, v2
	v_add_u32_e32 v9, 8, v4
	v_cmp_lt_u32_e32 vcc, v9, v5
	s_and_saveexec_b64 s[0:1], vcc
	s_cbranch_execz .LBB162_168
; %bb.167:
	s_waitcnt lgkmcnt(1)
	v_add_co_u32_e32 v6, vcc, v1, v8
	v_addc_co_u32_e32 v2, vcc, 0, v2, vcc
	v_add_co_u32_e32 v1, vcc, 0, v6
	s_waitcnt lgkmcnt(0)
	v_addc_co_u32_e32 v2, vcc, v7, v2, vcc
.LBB162_168:
	s_or_b64 exec, exec, s[0:1]
	v_cmp_gt_u32_e32 vcc, 48, v4
	s_waitcnt lgkmcnt(0)
	v_cndmask_b32_e64 v7, 0, 16, vcc
	v_add_lshl_u32 v7, v7, v3, 2
	ds_bpermute_b32 v8, v7, v6
	ds_bpermute_b32 v7, v7, v2
	v_add_u32_e32 v9, 16, v4
	v_cmp_lt_u32_e32 vcc, v9, v5
	s_and_saveexec_b64 s[0:1], vcc
	s_cbranch_execz .LBB162_170
; %bb.169:
	s_waitcnt lgkmcnt(1)
	v_add_co_u32_e32 v6, vcc, v1, v8
	v_addc_co_u32_e32 v2, vcc, 0, v2, vcc
	v_add_co_u32_e32 v1, vcc, 0, v6
	s_waitcnt lgkmcnt(0)
	v_addc_co_u32_e32 v2, vcc, v7, v2, vcc
.LBB162_170:
	s_or_b64 exec, exec, s[0:1]
	s_waitcnt lgkmcnt(0)
	v_lshlrev_b32_e32 v7, 2, v3
	v_or_b32_e32 v8, 0x80, v7
	ds_bpermute_b32 v6, v8, v6
	ds_bpermute_b32 v8, v8, v2
	v_add_u32_e32 v4, 32, v4
	s_waitcnt lgkmcnt(1)
	v_add_co_u32_e32 v6, vcc, v1, v6
	v_addc_co_u32_e32 v9, vcc, 0, v2, vcc
	v_add_co_u32_e32 v6, vcc, 0, v6
	s_waitcnt lgkmcnt(0)
	v_addc_co_u32_e32 v8, vcc, v9, v8, vcc
	v_cmp_lt_u32_e32 vcc, v4, v5
	v_cndmask_b32_e32 v2, v2, v8, vcc
	v_cndmask_b32_e32 v1, v1, v6, vcc
	v_cmp_eq_u32_e32 vcc, 0, v3
	s_and_saveexec_b64 s[0:1], vcc
; %bb.171:
	v_lshrrev_b32_e32 v4, 3, v0
	v_and_b32_e32 v4, 24, v4
	ds_write_b64 v4, v[1:2] offset:160
; %bb.172:
	s_or_b64 exec, exec, s[0:1]
	v_cmp_gt_u32_e32 vcc, 4, v0
	s_waitcnt lgkmcnt(0)
	s_barrier
	s_and_saveexec_b64 s[0:1], vcc
	s_cbranch_execz .LBB162_176
; %bb.173:
	v_lshlrev_b32_e32 v1, 3, v3
	ds_read_b64 v[1:2], v1 offset:160
	v_and_b32_e32 v4, 3, v3
	v_cmp_ne_u32_e32 vcc, 3, v4
	v_addc_co_u32_e32 v3, vcc, 0, v3, vcc
	v_lshlrev_b32_e32 v3, 2, v3
	s_waitcnt lgkmcnt(0)
	ds_bpermute_b32 v6, v3, v1
	ds_bpermute_b32 v5, v3, v2
	s_add_i32 s2, s2, 63
	s_lshr_b32 s4, s2, 6
	v_add_u32_e32 v3, 1, v4
	v_cmp_gt_u32_e32 vcc, s4, v3
	v_mov_b32_e32 v3, v1
	s_and_saveexec_b64 s[2:3], vcc
	s_cbranch_execz .LBB162_175
; %bb.174:
	s_waitcnt lgkmcnt(1)
	v_add_co_u32_e32 v3, vcc, v1, v6
	v_addc_co_u32_e32 v2, vcc, 0, v2, vcc
	v_add_co_u32_e32 v1, vcc, 0, v3
	s_waitcnt lgkmcnt(0)
	v_addc_co_u32_e32 v2, vcc, v5, v2, vcc
.LBB162_175:
	s_or_b64 exec, exec, s[2:3]
	s_waitcnt lgkmcnt(0)
	v_or_b32_e32 v5, 8, v7
	ds_bpermute_b32 v3, v5, v3
	ds_bpermute_b32 v5, v5, v2
	v_add_u32_e32 v4, 2, v4
	s_waitcnt lgkmcnt(1)
	v_add_co_u32_e32 v3, vcc, v1, v3
	v_addc_co_u32_e32 v6, vcc, 0, v2, vcc
	v_add_co_u32_e32 v3, vcc, 0, v3
	s_waitcnt lgkmcnt(0)
	v_addc_co_u32_e32 v5, vcc, v6, v5, vcc
	v_cmp_gt_u32_e32 vcc, s4, v4
	v_cndmask_b32_e32 v2, v2, v5, vcc
	v_cndmask_b32_e32 v1, v1, v3, vcc
.LBB162_176:
	s_or_b64 exec, exec, s[0:1]
.LBB162_177:
	v_mov_b32_e32 v3, s6
	v_cmp_eq_u32_e64 s[2:3], 0, v0
	v_mov_b32_e32 v4, s7
	s_branch .LBB162_206
.LBB162_178:
	s_cmp_eq_u32 s26, 1
                                        ; implicit-def: $vgpr1_vgpr2
                                        ; implicit-def: $vgpr3_vgpr4
	s_cbranch_scc0 .LBB162_206
; %bb.179:
	s_mov_b32 s1, 0
	s_lshl_b32 s0, s6, 8
	s_mov_b32 s7, s1
	s_lshr_b64 s[2:3], s[18:19], 8
	s_cmp_lg_u64 s[2:3], s[6:7]
	v_mbcnt_lo_u32_b32 v3, -1, 0
	s_cbranch_scc0 .LBB162_185
; %bb.180:
	s_lshl_b64 s[2:3], s[0:1], 3
	s_add_u32 s2, s16, s2
	s_addc_u32 s3, s17, s3
	v_lshlrev_b32_e32 v1, 3, v0
	global_load_dwordx2 v[1:2], v1, s[2:3]
	v_mbcnt_hi_u32_b32 v4, -1, v3
	v_lshlrev_b32_e32 v5, 2, v4
	v_or_b32_e32 v6, 0xfc, v5
	s_waitcnt vmcnt(0)
	v_mov_b32_dpp v7, v1 quad_perm:[1,0,3,2] row_mask:0xf bank_mask:0xf bound_ctrl:1
	v_add_co_u32_e32 v1, vcc, v1, v7
	v_mov_b32_dpp v8, v2 quad_perm:[1,0,3,2] row_mask:0xf bank_mask:0xf bound_ctrl:1
	v_addc_co_u32_e32 v2, vcc, 0, v2, vcc
	v_add_co_u32_e32 v7, vcc, 0, v1
	v_addc_co_u32_e32 v2, vcc, v8, v2, vcc
	v_mov_b32_dpp v1, v1 quad_perm:[2,3,0,1] row_mask:0xf bank_mask:0xf bound_ctrl:1
	v_add_co_u32_e32 v1, vcc, v7, v1
	v_mov_b32_dpp v8, v2 quad_perm:[2,3,0,1] row_mask:0xf bank_mask:0xf bound_ctrl:1
	v_addc_co_u32_e32 v2, vcc, 0, v2, vcc
	v_add_co_u32_e32 v7, vcc, 0, v1
	v_addc_co_u32_e32 v2, vcc, v2, v8, vcc
	v_mov_b32_dpp v1, v1 row_ror:4 row_mask:0xf bank_mask:0xf bound_ctrl:1
	v_add_co_u32_e32 v1, vcc, v7, v1
	v_mov_b32_dpp v8, v2 row_ror:4 row_mask:0xf bank_mask:0xf bound_ctrl:1
	v_addc_co_u32_e32 v2, vcc, 0, v2, vcc
	v_add_co_u32_e32 v7, vcc, 0, v1
	v_addc_co_u32_e32 v2, vcc, v2, v8, vcc
	v_mov_b32_dpp v1, v1 row_ror:8 row_mask:0xf bank_mask:0xf bound_ctrl:1
	v_add_co_u32_e32 v1, vcc, v7, v1
	v_mov_b32_dpp v8, v2 row_ror:8 row_mask:0xf bank_mask:0xf bound_ctrl:1
	v_addc_co_u32_e32 v2, vcc, 0, v2, vcc
	v_add_co_u32_e32 v7, vcc, 0, v1
	v_addc_co_u32_e32 v2, vcc, v2, v8, vcc
	v_mov_b32_dpp v1, v1 row_bcast:15 row_mask:0xf bank_mask:0xf bound_ctrl:1
	v_add_co_u32_e32 v1, vcc, v7, v1
	v_mov_b32_dpp v8, v2 row_bcast:15 row_mask:0xf bank_mask:0xf bound_ctrl:1
	v_addc_co_u32_e32 v2, vcc, 0, v2, vcc
	v_add_co_u32_e32 v7, vcc, 0, v1
	v_addc_co_u32_e32 v2, vcc, v2, v8, vcc
	v_mov_b32_dpp v1, v1 row_bcast:31 row_mask:0xf bank_mask:0xf bound_ctrl:1
	v_add_co_u32_e32 v1, vcc, v7, v1
	v_addc_co_u32_e32 v7, vcc, 0, v2, vcc
	ds_bpermute_b32 v1, v6, v1
	s_nop 0
	v_add_u32_dpp v2, v2, v7 row_bcast:31 row_mask:0xf bank_mask:0xf bound_ctrl:1
	ds_bpermute_b32 v2, v6, v2
	v_cmp_eq_u32_e32 vcc, 0, v4
	s_and_saveexec_b64 s[2:3], vcc
	s_cbranch_execz .LBB162_182
; %bb.181:
	v_lshrrev_b32_e32 v6, 3, v0
	v_and_b32_e32 v6, 24, v6
	s_waitcnt lgkmcnt(0)
	ds_write_b64 v6, v[1:2] offset:32
.LBB162_182:
	s_or_b64 exec, exec, s[2:3]
	v_cmp_gt_u32_e32 vcc, 64, v0
	s_waitcnt lgkmcnt(0)
	s_barrier
	s_and_saveexec_b64 s[2:3], vcc
	s_cbranch_execz .LBB162_184
; %bb.183:
	v_and_b32_e32 v6, 3, v4
	v_lshlrev_b32_e32 v1, 3, v6
	ds_read_b64 v[1:2], v1 offset:32
	v_cmp_ne_u32_e32 vcc, 3, v6
	v_addc_co_u32_e32 v4, vcc, 0, v4, vcc
	v_lshlrev_b32_e32 v4, 2, v4
	s_waitcnt lgkmcnt(0)
	ds_bpermute_b32 v6, v4, v1
	ds_bpermute_b32 v4, v4, v2
	v_or_b32_e32 v5, 8, v5
	s_waitcnt lgkmcnt(1)
	v_add_co_u32_e32 v1, vcc, v1, v6
	v_addc_co_u32_e32 v2, vcc, 0, v2, vcc
	ds_bpermute_b32 v6, v5, v1
	v_add_co_u32_e32 v1, vcc, 0, v1
	s_waitcnt lgkmcnt(1)
	v_addc_co_u32_e32 v2, vcc, v4, v2, vcc
	ds_bpermute_b32 v4, v5, v2
	s_waitcnt lgkmcnt(1)
	v_add_co_u32_e32 v1, vcc, v1, v6
	v_addc_co_u32_e32 v2, vcc, 0, v2, vcc
	v_add_co_u32_e32 v1, vcc, 0, v1
	s_waitcnt lgkmcnt(0)
	v_addc_co_u32_e32 v2, vcc, v2, v4, vcc
.LBB162_184:
	s_or_b64 exec, exec, s[2:3]
	s_branch .LBB162_205
.LBB162_185:
                                        ; implicit-def: $vgpr1_vgpr2
	s_cbranch_execz .LBB162_205
; %bb.186:
	s_sub_i32 s4, s18, s0
	v_cmp_gt_u32_e32 vcc, s4, v0
                                        ; implicit-def: $vgpr1_vgpr2
	s_and_saveexec_b64 s[2:3], vcc
	s_cbranch_execz .LBB162_188
; %bb.187:
	s_lshl_b64 s[0:1], s[0:1], 3
	s_add_u32 s0, s16, s0
	s_addc_u32 s1, s17, s1
	v_lshlrev_b32_e32 v1, 3, v0
	global_load_dwordx2 v[1:2], v1, s[0:1]
.LBB162_188:
	s_or_b64 exec, exec, s[2:3]
	v_mbcnt_hi_u32_b32 v3, -1, v3
	v_and_b32_e32 v4, 63, v3
	v_cmp_ne_u32_e32 vcc, 63, v4
	v_addc_co_u32_e32 v6, vcc, 0, v3, vcc
	v_lshlrev_b32_e32 v6, 2, v6
	s_waitcnt vmcnt(0)
	ds_bpermute_b32 v8, v6, v1
	ds_bpermute_b32 v7, v6, v2
	s_min_u32 s2, s4, 0x100
	v_and_b32_e32 v5, 0xc0, v0
	v_sub_u32_e64 v5, s2, v5 clamp
	v_add_u32_e32 v6, 1, v4
	v_cmp_lt_u32_e32 vcc, v6, v5
	v_mov_b32_e32 v6, v1
	s_and_saveexec_b64 s[0:1], vcc
	s_cbranch_execz .LBB162_190
; %bb.189:
	s_waitcnt lgkmcnt(1)
	v_add_co_u32_e32 v6, vcc, v1, v8
	v_addc_co_u32_e32 v2, vcc, 0, v2, vcc
	v_add_co_u32_e32 v1, vcc, 0, v6
	s_waitcnt lgkmcnt(0)
	v_addc_co_u32_e32 v2, vcc, v7, v2, vcc
.LBB162_190:
	s_or_b64 exec, exec, s[0:1]
	v_cmp_gt_u32_e32 vcc, 62, v4
	s_waitcnt lgkmcnt(0)
	v_cndmask_b32_e64 v7, 0, 2, vcc
	v_add_lshl_u32 v7, v7, v3, 2
	ds_bpermute_b32 v8, v7, v6
	ds_bpermute_b32 v7, v7, v2
	v_add_u32_e32 v9, 2, v4
	v_cmp_lt_u32_e32 vcc, v9, v5
	s_and_saveexec_b64 s[0:1], vcc
	s_cbranch_execz .LBB162_192
; %bb.191:
	s_waitcnt lgkmcnt(1)
	v_add_co_u32_e32 v6, vcc, v1, v8
	v_addc_co_u32_e32 v2, vcc, 0, v2, vcc
	v_add_co_u32_e32 v1, vcc, 0, v6
	s_waitcnt lgkmcnt(0)
	v_addc_co_u32_e32 v2, vcc, v7, v2, vcc
.LBB162_192:
	s_or_b64 exec, exec, s[0:1]
	v_cmp_gt_u32_e32 vcc, 60, v4
	s_waitcnt lgkmcnt(0)
	v_cndmask_b32_e64 v7, 0, 4, vcc
	v_add_lshl_u32 v7, v7, v3, 2
	ds_bpermute_b32 v8, v7, v6
	ds_bpermute_b32 v7, v7, v2
	v_add_u32_e32 v9, 4, v4
	v_cmp_lt_u32_e32 vcc, v9, v5
	;; [unrolled: 19-line block ×4, first 2 shown]
	s_and_saveexec_b64 s[0:1], vcc
	s_cbranch_execz .LBB162_198
; %bb.197:
	s_waitcnt lgkmcnt(1)
	v_add_co_u32_e32 v6, vcc, v1, v8
	v_addc_co_u32_e32 v2, vcc, 0, v2, vcc
	v_add_co_u32_e32 v1, vcc, 0, v6
	s_waitcnt lgkmcnt(0)
	v_addc_co_u32_e32 v2, vcc, v7, v2, vcc
.LBB162_198:
	s_or_b64 exec, exec, s[0:1]
	s_waitcnt lgkmcnt(0)
	v_lshlrev_b32_e32 v7, 2, v3
	v_or_b32_e32 v8, 0x80, v7
	ds_bpermute_b32 v6, v8, v6
	ds_bpermute_b32 v8, v8, v2
	v_add_u32_e32 v4, 32, v4
	s_waitcnt lgkmcnt(1)
	v_add_co_u32_e32 v6, vcc, v1, v6
	v_addc_co_u32_e32 v9, vcc, 0, v2, vcc
	v_add_co_u32_e32 v6, vcc, 0, v6
	s_waitcnt lgkmcnt(0)
	v_addc_co_u32_e32 v8, vcc, v9, v8, vcc
	v_cmp_lt_u32_e32 vcc, v4, v5
	v_cndmask_b32_e32 v2, v2, v8, vcc
	v_cndmask_b32_e32 v1, v1, v6, vcc
	v_cmp_eq_u32_e32 vcc, 0, v3
	s_and_saveexec_b64 s[0:1], vcc
; %bb.199:
	v_lshrrev_b32_e32 v4, 3, v0
	v_and_b32_e32 v4, 24, v4
	ds_write_b64 v4, v[1:2] offset:160
; %bb.200:
	s_or_b64 exec, exec, s[0:1]
	v_cmp_gt_u32_e32 vcc, 4, v0
	s_waitcnt lgkmcnt(0)
	s_barrier
	s_and_saveexec_b64 s[0:1], vcc
	s_cbranch_execz .LBB162_204
; %bb.201:
	v_lshlrev_b32_e32 v1, 3, v3
	ds_read_b64 v[1:2], v1 offset:160
	v_and_b32_e32 v4, 3, v3
	v_cmp_ne_u32_e32 vcc, 3, v4
	v_addc_co_u32_e32 v3, vcc, 0, v3, vcc
	v_lshlrev_b32_e32 v3, 2, v3
	s_waitcnt lgkmcnt(0)
	ds_bpermute_b32 v6, v3, v1
	ds_bpermute_b32 v5, v3, v2
	s_add_i32 s2, s2, 63
	s_lshr_b32 s4, s2, 6
	v_add_u32_e32 v3, 1, v4
	v_cmp_gt_u32_e32 vcc, s4, v3
	v_mov_b32_e32 v3, v1
	s_and_saveexec_b64 s[2:3], vcc
	s_cbranch_execz .LBB162_203
; %bb.202:
	s_waitcnt lgkmcnt(1)
	v_add_co_u32_e32 v3, vcc, v1, v6
	v_addc_co_u32_e32 v2, vcc, 0, v2, vcc
	v_add_co_u32_e32 v1, vcc, 0, v3
	s_waitcnt lgkmcnt(0)
	v_addc_co_u32_e32 v2, vcc, v5, v2, vcc
.LBB162_203:
	s_or_b64 exec, exec, s[2:3]
	s_waitcnt lgkmcnt(0)
	v_or_b32_e32 v5, 8, v7
	ds_bpermute_b32 v3, v5, v3
	ds_bpermute_b32 v5, v5, v2
	v_add_u32_e32 v4, 2, v4
	s_waitcnt lgkmcnt(1)
	v_add_co_u32_e32 v3, vcc, v1, v3
	v_addc_co_u32_e32 v6, vcc, 0, v2, vcc
	v_add_co_u32_e32 v3, vcc, 0, v3
	s_waitcnt lgkmcnt(0)
	v_addc_co_u32_e32 v5, vcc, v6, v5, vcc
	v_cmp_gt_u32_e32 vcc, s4, v4
	v_cndmask_b32_e32 v2, v2, v5, vcc
	v_cndmask_b32_e32 v1, v1, v3, vcc
.LBB162_204:
	s_or_b64 exec, exec, s[0:1]
.LBB162_205:
	v_mov_b32_e32 v3, s6
	v_cmp_eq_u32_e64 s[2:3], 0, v0
	v_mov_b32_e32 v4, s7
.LBB162_206:
	s_and_saveexec_b64 s[0:1], s[2:3]
	s_cbranch_execz .LBB162_208
; %bb.207:
	v_lshlrev_b64 v[3:4], 3, v[3:4]
	v_mov_b32_e32 v0, s21
	v_add_co_u32_e32 v3, vcc, s20, v3
	v_addc_co_u32_e32 v4, vcc, v0, v4, vcc
	s_cmp_lg_u64 s[18:19], 0
	s_cselect_b64 vcc, -1, 0
	v_cndmask_b32_e32 v0, 0, v1, vcc
	v_cndmask_b32_e32 v2, 0, v2, vcc
	v_mov_b32_e32 v1, s23
	v_add_co_u32_e32 v0, vcc, s22, v0
	v_addc_co_u32_e32 v1, vcc, v2, v1, vcc
	global_store_dwordx2 v[3:4], v[0:1], off
.LBB162_208:
	s_endpgm
	.section	.rodata,"a",@progbits
	.p2align	6, 0x0
	.amdhsa_kernel _ZN7rocprim17ROCPRIM_400000_NS6detail17trampoline_kernelINS0_14default_configENS1_22reduce_config_selectorIlEEZNS1_11reduce_implILb1ES3_PlS7_lN6hipcub16HIPCUB_304000_NS6detail34convert_binary_result_type_wrapperINS9_3SumENS9_22TransformInputIteratorIb7NonZeroIiEPilEElEEEE10hipError_tPvRmT1_T2_T3_mT4_P12ihipStream_tbEUlT_E1_NS1_11comp_targetILNS1_3genE2ELNS1_11target_archE906ELNS1_3gpuE6ELNS1_3repE0EEENS1_30default_config_static_selectorELNS0_4arch9wavefront6targetE1EEEvSM_
		.amdhsa_group_segment_fixed_size 192
		.amdhsa_private_segment_fixed_size 0
		.amdhsa_kernarg_size 48
		.amdhsa_user_sgpr_count 6
		.amdhsa_user_sgpr_private_segment_buffer 1
		.amdhsa_user_sgpr_dispatch_ptr 0
		.amdhsa_user_sgpr_queue_ptr 0
		.amdhsa_user_sgpr_kernarg_segment_ptr 1
		.amdhsa_user_sgpr_dispatch_id 0
		.amdhsa_user_sgpr_flat_scratch_init 0
		.amdhsa_user_sgpr_private_segment_size 0
		.amdhsa_uses_dynamic_stack 0
		.amdhsa_system_sgpr_private_segment_wavefront_offset 0
		.amdhsa_system_sgpr_workgroup_id_x 1
		.amdhsa_system_sgpr_workgroup_id_y 0
		.amdhsa_system_sgpr_workgroup_id_z 0
		.amdhsa_system_sgpr_workgroup_info 0
		.amdhsa_system_vgpr_workitem_id 0
		.amdhsa_next_free_vgpr 34
		.amdhsa_next_free_sgpr 28
		.amdhsa_reserve_vcc 1
		.amdhsa_reserve_flat_scratch 0
		.amdhsa_float_round_mode_32 0
		.amdhsa_float_round_mode_16_64 0
		.amdhsa_float_denorm_mode_32 3
		.amdhsa_float_denorm_mode_16_64 3
		.amdhsa_dx10_clamp 1
		.amdhsa_ieee_mode 1
		.amdhsa_fp16_overflow 0
		.amdhsa_exception_fp_ieee_invalid_op 0
		.amdhsa_exception_fp_denorm_src 0
		.amdhsa_exception_fp_ieee_div_zero 0
		.amdhsa_exception_fp_ieee_overflow 0
		.amdhsa_exception_fp_ieee_underflow 0
		.amdhsa_exception_fp_ieee_inexact 0
		.amdhsa_exception_int_div_zero 0
	.end_amdhsa_kernel
	.section	.text._ZN7rocprim17ROCPRIM_400000_NS6detail17trampoline_kernelINS0_14default_configENS1_22reduce_config_selectorIlEEZNS1_11reduce_implILb1ES3_PlS7_lN6hipcub16HIPCUB_304000_NS6detail34convert_binary_result_type_wrapperINS9_3SumENS9_22TransformInputIteratorIb7NonZeroIiEPilEElEEEE10hipError_tPvRmT1_T2_T3_mT4_P12ihipStream_tbEUlT_E1_NS1_11comp_targetILNS1_3genE2ELNS1_11target_archE906ELNS1_3gpuE6ELNS1_3repE0EEENS1_30default_config_static_selectorELNS0_4arch9wavefront6targetE1EEEvSM_,"axG",@progbits,_ZN7rocprim17ROCPRIM_400000_NS6detail17trampoline_kernelINS0_14default_configENS1_22reduce_config_selectorIlEEZNS1_11reduce_implILb1ES3_PlS7_lN6hipcub16HIPCUB_304000_NS6detail34convert_binary_result_type_wrapperINS9_3SumENS9_22TransformInputIteratorIb7NonZeroIiEPilEElEEEE10hipError_tPvRmT1_T2_T3_mT4_P12ihipStream_tbEUlT_E1_NS1_11comp_targetILNS1_3genE2ELNS1_11target_archE906ELNS1_3gpuE6ELNS1_3repE0EEENS1_30default_config_static_selectorELNS0_4arch9wavefront6targetE1EEEvSM_,comdat
.Lfunc_end162:
	.size	_ZN7rocprim17ROCPRIM_400000_NS6detail17trampoline_kernelINS0_14default_configENS1_22reduce_config_selectorIlEEZNS1_11reduce_implILb1ES3_PlS7_lN6hipcub16HIPCUB_304000_NS6detail34convert_binary_result_type_wrapperINS9_3SumENS9_22TransformInputIteratorIb7NonZeroIiEPilEElEEEE10hipError_tPvRmT1_T2_T3_mT4_P12ihipStream_tbEUlT_E1_NS1_11comp_targetILNS1_3genE2ELNS1_11target_archE906ELNS1_3gpuE6ELNS1_3repE0EEENS1_30default_config_static_selectorELNS0_4arch9wavefront6targetE1EEEvSM_, .Lfunc_end162-_ZN7rocprim17ROCPRIM_400000_NS6detail17trampoline_kernelINS0_14default_configENS1_22reduce_config_selectorIlEEZNS1_11reduce_implILb1ES3_PlS7_lN6hipcub16HIPCUB_304000_NS6detail34convert_binary_result_type_wrapperINS9_3SumENS9_22TransformInputIteratorIb7NonZeroIiEPilEElEEEE10hipError_tPvRmT1_T2_T3_mT4_P12ihipStream_tbEUlT_E1_NS1_11comp_targetILNS1_3genE2ELNS1_11target_archE906ELNS1_3gpuE6ELNS1_3repE0EEENS1_30default_config_static_selectorELNS0_4arch9wavefront6targetE1EEEvSM_
                                        ; -- End function
	.set _ZN7rocprim17ROCPRIM_400000_NS6detail17trampoline_kernelINS0_14default_configENS1_22reduce_config_selectorIlEEZNS1_11reduce_implILb1ES3_PlS7_lN6hipcub16HIPCUB_304000_NS6detail34convert_binary_result_type_wrapperINS9_3SumENS9_22TransformInputIteratorIb7NonZeroIiEPilEElEEEE10hipError_tPvRmT1_T2_T3_mT4_P12ihipStream_tbEUlT_E1_NS1_11comp_targetILNS1_3genE2ELNS1_11target_archE906ELNS1_3gpuE6ELNS1_3repE0EEENS1_30default_config_static_selectorELNS0_4arch9wavefront6targetE1EEEvSM_.num_vgpr, 34
	.set _ZN7rocprim17ROCPRIM_400000_NS6detail17trampoline_kernelINS0_14default_configENS1_22reduce_config_selectorIlEEZNS1_11reduce_implILb1ES3_PlS7_lN6hipcub16HIPCUB_304000_NS6detail34convert_binary_result_type_wrapperINS9_3SumENS9_22TransformInputIteratorIb7NonZeroIiEPilEElEEEE10hipError_tPvRmT1_T2_T3_mT4_P12ihipStream_tbEUlT_E1_NS1_11comp_targetILNS1_3genE2ELNS1_11target_archE906ELNS1_3gpuE6ELNS1_3repE0EEENS1_30default_config_static_selectorELNS0_4arch9wavefront6targetE1EEEvSM_.num_agpr, 0
	.set _ZN7rocprim17ROCPRIM_400000_NS6detail17trampoline_kernelINS0_14default_configENS1_22reduce_config_selectorIlEEZNS1_11reduce_implILb1ES3_PlS7_lN6hipcub16HIPCUB_304000_NS6detail34convert_binary_result_type_wrapperINS9_3SumENS9_22TransformInputIteratorIb7NonZeroIiEPilEElEEEE10hipError_tPvRmT1_T2_T3_mT4_P12ihipStream_tbEUlT_E1_NS1_11comp_targetILNS1_3genE2ELNS1_11target_archE906ELNS1_3gpuE6ELNS1_3repE0EEENS1_30default_config_static_selectorELNS0_4arch9wavefront6targetE1EEEvSM_.numbered_sgpr, 28
	.set _ZN7rocprim17ROCPRIM_400000_NS6detail17trampoline_kernelINS0_14default_configENS1_22reduce_config_selectorIlEEZNS1_11reduce_implILb1ES3_PlS7_lN6hipcub16HIPCUB_304000_NS6detail34convert_binary_result_type_wrapperINS9_3SumENS9_22TransformInputIteratorIb7NonZeroIiEPilEElEEEE10hipError_tPvRmT1_T2_T3_mT4_P12ihipStream_tbEUlT_E1_NS1_11comp_targetILNS1_3genE2ELNS1_11target_archE906ELNS1_3gpuE6ELNS1_3repE0EEENS1_30default_config_static_selectorELNS0_4arch9wavefront6targetE1EEEvSM_.num_named_barrier, 0
	.set _ZN7rocprim17ROCPRIM_400000_NS6detail17trampoline_kernelINS0_14default_configENS1_22reduce_config_selectorIlEEZNS1_11reduce_implILb1ES3_PlS7_lN6hipcub16HIPCUB_304000_NS6detail34convert_binary_result_type_wrapperINS9_3SumENS9_22TransformInputIteratorIb7NonZeroIiEPilEElEEEE10hipError_tPvRmT1_T2_T3_mT4_P12ihipStream_tbEUlT_E1_NS1_11comp_targetILNS1_3genE2ELNS1_11target_archE906ELNS1_3gpuE6ELNS1_3repE0EEENS1_30default_config_static_selectorELNS0_4arch9wavefront6targetE1EEEvSM_.private_seg_size, 0
	.set _ZN7rocprim17ROCPRIM_400000_NS6detail17trampoline_kernelINS0_14default_configENS1_22reduce_config_selectorIlEEZNS1_11reduce_implILb1ES3_PlS7_lN6hipcub16HIPCUB_304000_NS6detail34convert_binary_result_type_wrapperINS9_3SumENS9_22TransformInputIteratorIb7NonZeroIiEPilEElEEEE10hipError_tPvRmT1_T2_T3_mT4_P12ihipStream_tbEUlT_E1_NS1_11comp_targetILNS1_3genE2ELNS1_11target_archE906ELNS1_3gpuE6ELNS1_3repE0EEENS1_30default_config_static_selectorELNS0_4arch9wavefront6targetE1EEEvSM_.uses_vcc, 1
	.set _ZN7rocprim17ROCPRIM_400000_NS6detail17trampoline_kernelINS0_14default_configENS1_22reduce_config_selectorIlEEZNS1_11reduce_implILb1ES3_PlS7_lN6hipcub16HIPCUB_304000_NS6detail34convert_binary_result_type_wrapperINS9_3SumENS9_22TransformInputIteratorIb7NonZeroIiEPilEElEEEE10hipError_tPvRmT1_T2_T3_mT4_P12ihipStream_tbEUlT_E1_NS1_11comp_targetILNS1_3genE2ELNS1_11target_archE906ELNS1_3gpuE6ELNS1_3repE0EEENS1_30default_config_static_selectorELNS0_4arch9wavefront6targetE1EEEvSM_.uses_flat_scratch, 0
	.set _ZN7rocprim17ROCPRIM_400000_NS6detail17trampoline_kernelINS0_14default_configENS1_22reduce_config_selectorIlEEZNS1_11reduce_implILb1ES3_PlS7_lN6hipcub16HIPCUB_304000_NS6detail34convert_binary_result_type_wrapperINS9_3SumENS9_22TransformInputIteratorIb7NonZeroIiEPilEElEEEE10hipError_tPvRmT1_T2_T3_mT4_P12ihipStream_tbEUlT_E1_NS1_11comp_targetILNS1_3genE2ELNS1_11target_archE906ELNS1_3gpuE6ELNS1_3repE0EEENS1_30default_config_static_selectorELNS0_4arch9wavefront6targetE1EEEvSM_.has_dyn_sized_stack, 0
	.set _ZN7rocprim17ROCPRIM_400000_NS6detail17trampoline_kernelINS0_14default_configENS1_22reduce_config_selectorIlEEZNS1_11reduce_implILb1ES3_PlS7_lN6hipcub16HIPCUB_304000_NS6detail34convert_binary_result_type_wrapperINS9_3SumENS9_22TransformInputIteratorIb7NonZeroIiEPilEElEEEE10hipError_tPvRmT1_T2_T3_mT4_P12ihipStream_tbEUlT_E1_NS1_11comp_targetILNS1_3genE2ELNS1_11target_archE906ELNS1_3gpuE6ELNS1_3repE0EEENS1_30default_config_static_selectorELNS0_4arch9wavefront6targetE1EEEvSM_.has_recursion, 0
	.set _ZN7rocprim17ROCPRIM_400000_NS6detail17trampoline_kernelINS0_14default_configENS1_22reduce_config_selectorIlEEZNS1_11reduce_implILb1ES3_PlS7_lN6hipcub16HIPCUB_304000_NS6detail34convert_binary_result_type_wrapperINS9_3SumENS9_22TransformInputIteratorIb7NonZeroIiEPilEElEEEE10hipError_tPvRmT1_T2_T3_mT4_P12ihipStream_tbEUlT_E1_NS1_11comp_targetILNS1_3genE2ELNS1_11target_archE906ELNS1_3gpuE6ELNS1_3repE0EEENS1_30default_config_static_selectorELNS0_4arch9wavefront6targetE1EEEvSM_.has_indirect_call, 0
	.section	.AMDGPU.csdata,"",@progbits
; Kernel info:
; codeLenInByte = 8996
; TotalNumSgprs: 32
; NumVgprs: 34
; ScratchSize: 0
; MemoryBound: 0
; FloatMode: 240
; IeeeMode: 1
; LDSByteSize: 192 bytes/workgroup (compile time only)
; SGPRBlocks: 3
; VGPRBlocks: 8
; NumSGPRsForWavesPerEU: 32
; NumVGPRsForWavesPerEU: 34
; Occupancy: 7
; WaveLimiterHint : 1
; COMPUTE_PGM_RSRC2:SCRATCH_EN: 0
; COMPUTE_PGM_RSRC2:USER_SGPR: 6
; COMPUTE_PGM_RSRC2:TRAP_HANDLER: 0
; COMPUTE_PGM_RSRC2:TGID_X_EN: 1
; COMPUTE_PGM_RSRC2:TGID_Y_EN: 0
; COMPUTE_PGM_RSRC2:TGID_Z_EN: 0
; COMPUTE_PGM_RSRC2:TIDIG_COMP_CNT: 0
	.section	.text._ZN7rocprim17ROCPRIM_400000_NS6detail17trampoline_kernelINS0_14default_configENS1_22reduce_config_selectorIlEEZNS1_11reduce_implILb1ES3_PlS7_lN6hipcub16HIPCUB_304000_NS6detail34convert_binary_result_type_wrapperINS9_3SumENS9_22TransformInputIteratorIb7NonZeroIiEPilEElEEEE10hipError_tPvRmT1_T2_T3_mT4_P12ihipStream_tbEUlT_E1_NS1_11comp_targetILNS1_3genE10ELNS1_11target_archE1201ELNS1_3gpuE5ELNS1_3repE0EEENS1_30default_config_static_selectorELNS0_4arch9wavefront6targetE1EEEvSM_,"axG",@progbits,_ZN7rocprim17ROCPRIM_400000_NS6detail17trampoline_kernelINS0_14default_configENS1_22reduce_config_selectorIlEEZNS1_11reduce_implILb1ES3_PlS7_lN6hipcub16HIPCUB_304000_NS6detail34convert_binary_result_type_wrapperINS9_3SumENS9_22TransformInputIteratorIb7NonZeroIiEPilEElEEEE10hipError_tPvRmT1_T2_T3_mT4_P12ihipStream_tbEUlT_E1_NS1_11comp_targetILNS1_3genE10ELNS1_11target_archE1201ELNS1_3gpuE5ELNS1_3repE0EEENS1_30default_config_static_selectorELNS0_4arch9wavefront6targetE1EEEvSM_,comdat
	.protected	_ZN7rocprim17ROCPRIM_400000_NS6detail17trampoline_kernelINS0_14default_configENS1_22reduce_config_selectorIlEEZNS1_11reduce_implILb1ES3_PlS7_lN6hipcub16HIPCUB_304000_NS6detail34convert_binary_result_type_wrapperINS9_3SumENS9_22TransformInputIteratorIb7NonZeroIiEPilEElEEEE10hipError_tPvRmT1_T2_T3_mT4_P12ihipStream_tbEUlT_E1_NS1_11comp_targetILNS1_3genE10ELNS1_11target_archE1201ELNS1_3gpuE5ELNS1_3repE0EEENS1_30default_config_static_selectorELNS0_4arch9wavefront6targetE1EEEvSM_ ; -- Begin function _ZN7rocprim17ROCPRIM_400000_NS6detail17trampoline_kernelINS0_14default_configENS1_22reduce_config_selectorIlEEZNS1_11reduce_implILb1ES3_PlS7_lN6hipcub16HIPCUB_304000_NS6detail34convert_binary_result_type_wrapperINS9_3SumENS9_22TransformInputIteratorIb7NonZeroIiEPilEElEEEE10hipError_tPvRmT1_T2_T3_mT4_P12ihipStream_tbEUlT_E1_NS1_11comp_targetILNS1_3genE10ELNS1_11target_archE1201ELNS1_3gpuE5ELNS1_3repE0EEENS1_30default_config_static_selectorELNS0_4arch9wavefront6targetE1EEEvSM_
	.globl	_ZN7rocprim17ROCPRIM_400000_NS6detail17trampoline_kernelINS0_14default_configENS1_22reduce_config_selectorIlEEZNS1_11reduce_implILb1ES3_PlS7_lN6hipcub16HIPCUB_304000_NS6detail34convert_binary_result_type_wrapperINS9_3SumENS9_22TransformInputIteratorIb7NonZeroIiEPilEElEEEE10hipError_tPvRmT1_T2_T3_mT4_P12ihipStream_tbEUlT_E1_NS1_11comp_targetILNS1_3genE10ELNS1_11target_archE1201ELNS1_3gpuE5ELNS1_3repE0EEENS1_30default_config_static_selectorELNS0_4arch9wavefront6targetE1EEEvSM_
	.p2align	8
	.type	_ZN7rocprim17ROCPRIM_400000_NS6detail17trampoline_kernelINS0_14default_configENS1_22reduce_config_selectorIlEEZNS1_11reduce_implILb1ES3_PlS7_lN6hipcub16HIPCUB_304000_NS6detail34convert_binary_result_type_wrapperINS9_3SumENS9_22TransformInputIteratorIb7NonZeroIiEPilEElEEEE10hipError_tPvRmT1_T2_T3_mT4_P12ihipStream_tbEUlT_E1_NS1_11comp_targetILNS1_3genE10ELNS1_11target_archE1201ELNS1_3gpuE5ELNS1_3repE0EEENS1_30default_config_static_selectorELNS0_4arch9wavefront6targetE1EEEvSM_,@function
_ZN7rocprim17ROCPRIM_400000_NS6detail17trampoline_kernelINS0_14default_configENS1_22reduce_config_selectorIlEEZNS1_11reduce_implILb1ES3_PlS7_lN6hipcub16HIPCUB_304000_NS6detail34convert_binary_result_type_wrapperINS9_3SumENS9_22TransformInputIteratorIb7NonZeroIiEPilEElEEEE10hipError_tPvRmT1_T2_T3_mT4_P12ihipStream_tbEUlT_E1_NS1_11comp_targetILNS1_3genE10ELNS1_11target_archE1201ELNS1_3gpuE5ELNS1_3repE0EEENS1_30default_config_static_selectorELNS0_4arch9wavefront6targetE1EEEvSM_: ; @_ZN7rocprim17ROCPRIM_400000_NS6detail17trampoline_kernelINS0_14default_configENS1_22reduce_config_selectorIlEEZNS1_11reduce_implILb1ES3_PlS7_lN6hipcub16HIPCUB_304000_NS6detail34convert_binary_result_type_wrapperINS9_3SumENS9_22TransformInputIteratorIb7NonZeroIiEPilEElEEEE10hipError_tPvRmT1_T2_T3_mT4_P12ihipStream_tbEUlT_E1_NS1_11comp_targetILNS1_3genE10ELNS1_11target_archE1201ELNS1_3gpuE5ELNS1_3repE0EEENS1_30default_config_static_selectorELNS0_4arch9wavefront6targetE1EEEvSM_
; %bb.0:
	.section	.rodata,"a",@progbits
	.p2align	6, 0x0
	.amdhsa_kernel _ZN7rocprim17ROCPRIM_400000_NS6detail17trampoline_kernelINS0_14default_configENS1_22reduce_config_selectorIlEEZNS1_11reduce_implILb1ES3_PlS7_lN6hipcub16HIPCUB_304000_NS6detail34convert_binary_result_type_wrapperINS9_3SumENS9_22TransformInputIteratorIb7NonZeroIiEPilEElEEEE10hipError_tPvRmT1_T2_T3_mT4_P12ihipStream_tbEUlT_E1_NS1_11comp_targetILNS1_3genE10ELNS1_11target_archE1201ELNS1_3gpuE5ELNS1_3repE0EEENS1_30default_config_static_selectorELNS0_4arch9wavefront6targetE1EEEvSM_
		.amdhsa_group_segment_fixed_size 0
		.amdhsa_private_segment_fixed_size 0
		.amdhsa_kernarg_size 48
		.amdhsa_user_sgpr_count 6
		.amdhsa_user_sgpr_private_segment_buffer 1
		.amdhsa_user_sgpr_dispatch_ptr 0
		.amdhsa_user_sgpr_queue_ptr 0
		.amdhsa_user_sgpr_kernarg_segment_ptr 1
		.amdhsa_user_sgpr_dispatch_id 0
		.amdhsa_user_sgpr_flat_scratch_init 0
		.amdhsa_user_sgpr_private_segment_size 0
		.amdhsa_uses_dynamic_stack 0
		.amdhsa_system_sgpr_private_segment_wavefront_offset 0
		.amdhsa_system_sgpr_workgroup_id_x 1
		.amdhsa_system_sgpr_workgroup_id_y 0
		.amdhsa_system_sgpr_workgroup_id_z 0
		.amdhsa_system_sgpr_workgroup_info 0
		.amdhsa_system_vgpr_workitem_id 0
		.amdhsa_next_free_vgpr 1
		.amdhsa_next_free_sgpr 0
		.amdhsa_reserve_vcc 0
		.amdhsa_reserve_flat_scratch 0
		.amdhsa_float_round_mode_32 0
		.amdhsa_float_round_mode_16_64 0
		.amdhsa_float_denorm_mode_32 3
		.amdhsa_float_denorm_mode_16_64 3
		.amdhsa_dx10_clamp 1
		.amdhsa_ieee_mode 1
		.amdhsa_fp16_overflow 0
		.amdhsa_exception_fp_ieee_invalid_op 0
		.amdhsa_exception_fp_denorm_src 0
		.amdhsa_exception_fp_ieee_div_zero 0
		.amdhsa_exception_fp_ieee_overflow 0
		.amdhsa_exception_fp_ieee_underflow 0
		.amdhsa_exception_fp_ieee_inexact 0
		.amdhsa_exception_int_div_zero 0
	.end_amdhsa_kernel
	.section	.text._ZN7rocprim17ROCPRIM_400000_NS6detail17trampoline_kernelINS0_14default_configENS1_22reduce_config_selectorIlEEZNS1_11reduce_implILb1ES3_PlS7_lN6hipcub16HIPCUB_304000_NS6detail34convert_binary_result_type_wrapperINS9_3SumENS9_22TransformInputIteratorIb7NonZeroIiEPilEElEEEE10hipError_tPvRmT1_T2_T3_mT4_P12ihipStream_tbEUlT_E1_NS1_11comp_targetILNS1_3genE10ELNS1_11target_archE1201ELNS1_3gpuE5ELNS1_3repE0EEENS1_30default_config_static_selectorELNS0_4arch9wavefront6targetE1EEEvSM_,"axG",@progbits,_ZN7rocprim17ROCPRIM_400000_NS6detail17trampoline_kernelINS0_14default_configENS1_22reduce_config_selectorIlEEZNS1_11reduce_implILb1ES3_PlS7_lN6hipcub16HIPCUB_304000_NS6detail34convert_binary_result_type_wrapperINS9_3SumENS9_22TransformInputIteratorIb7NonZeroIiEPilEElEEEE10hipError_tPvRmT1_T2_T3_mT4_P12ihipStream_tbEUlT_E1_NS1_11comp_targetILNS1_3genE10ELNS1_11target_archE1201ELNS1_3gpuE5ELNS1_3repE0EEENS1_30default_config_static_selectorELNS0_4arch9wavefront6targetE1EEEvSM_,comdat
.Lfunc_end163:
	.size	_ZN7rocprim17ROCPRIM_400000_NS6detail17trampoline_kernelINS0_14default_configENS1_22reduce_config_selectorIlEEZNS1_11reduce_implILb1ES3_PlS7_lN6hipcub16HIPCUB_304000_NS6detail34convert_binary_result_type_wrapperINS9_3SumENS9_22TransformInputIteratorIb7NonZeroIiEPilEElEEEE10hipError_tPvRmT1_T2_T3_mT4_P12ihipStream_tbEUlT_E1_NS1_11comp_targetILNS1_3genE10ELNS1_11target_archE1201ELNS1_3gpuE5ELNS1_3repE0EEENS1_30default_config_static_selectorELNS0_4arch9wavefront6targetE1EEEvSM_, .Lfunc_end163-_ZN7rocprim17ROCPRIM_400000_NS6detail17trampoline_kernelINS0_14default_configENS1_22reduce_config_selectorIlEEZNS1_11reduce_implILb1ES3_PlS7_lN6hipcub16HIPCUB_304000_NS6detail34convert_binary_result_type_wrapperINS9_3SumENS9_22TransformInputIteratorIb7NonZeroIiEPilEElEEEE10hipError_tPvRmT1_T2_T3_mT4_P12ihipStream_tbEUlT_E1_NS1_11comp_targetILNS1_3genE10ELNS1_11target_archE1201ELNS1_3gpuE5ELNS1_3repE0EEENS1_30default_config_static_selectorELNS0_4arch9wavefront6targetE1EEEvSM_
                                        ; -- End function
	.set _ZN7rocprim17ROCPRIM_400000_NS6detail17trampoline_kernelINS0_14default_configENS1_22reduce_config_selectorIlEEZNS1_11reduce_implILb1ES3_PlS7_lN6hipcub16HIPCUB_304000_NS6detail34convert_binary_result_type_wrapperINS9_3SumENS9_22TransformInputIteratorIb7NonZeroIiEPilEElEEEE10hipError_tPvRmT1_T2_T3_mT4_P12ihipStream_tbEUlT_E1_NS1_11comp_targetILNS1_3genE10ELNS1_11target_archE1201ELNS1_3gpuE5ELNS1_3repE0EEENS1_30default_config_static_selectorELNS0_4arch9wavefront6targetE1EEEvSM_.num_vgpr, 0
	.set _ZN7rocprim17ROCPRIM_400000_NS6detail17trampoline_kernelINS0_14default_configENS1_22reduce_config_selectorIlEEZNS1_11reduce_implILb1ES3_PlS7_lN6hipcub16HIPCUB_304000_NS6detail34convert_binary_result_type_wrapperINS9_3SumENS9_22TransformInputIteratorIb7NonZeroIiEPilEElEEEE10hipError_tPvRmT1_T2_T3_mT4_P12ihipStream_tbEUlT_E1_NS1_11comp_targetILNS1_3genE10ELNS1_11target_archE1201ELNS1_3gpuE5ELNS1_3repE0EEENS1_30default_config_static_selectorELNS0_4arch9wavefront6targetE1EEEvSM_.num_agpr, 0
	.set _ZN7rocprim17ROCPRIM_400000_NS6detail17trampoline_kernelINS0_14default_configENS1_22reduce_config_selectorIlEEZNS1_11reduce_implILb1ES3_PlS7_lN6hipcub16HIPCUB_304000_NS6detail34convert_binary_result_type_wrapperINS9_3SumENS9_22TransformInputIteratorIb7NonZeroIiEPilEElEEEE10hipError_tPvRmT1_T2_T3_mT4_P12ihipStream_tbEUlT_E1_NS1_11comp_targetILNS1_3genE10ELNS1_11target_archE1201ELNS1_3gpuE5ELNS1_3repE0EEENS1_30default_config_static_selectorELNS0_4arch9wavefront6targetE1EEEvSM_.numbered_sgpr, 0
	.set _ZN7rocprim17ROCPRIM_400000_NS6detail17trampoline_kernelINS0_14default_configENS1_22reduce_config_selectorIlEEZNS1_11reduce_implILb1ES3_PlS7_lN6hipcub16HIPCUB_304000_NS6detail34convert_binary_result_type_wrapperINS9_3SumENS9_22TransformInputIteratorIb7NonZeroIiEPilEElEEEE10hipError_tPvRmT1_T2_T3_mT4_P12ihipStream_tbEUlT_E1_NS1_11comp_targetILNS1_3genE10ELNS1_11target_archE1201ELNS1_3gpuE5ELNS1_3repE0EEENS1_30default_config_static_selectorELNS0_4arch9wavefront6targetE1EEEvSM_.num_named_barrier, 0
	.set _ZN7rocprim17ROCPRIM_400000_NS6detail17trampoline_kernelINS0_14default_configENS1_22reduce_config_selectorIlEEZNS1_11reduce_implILb1ES3_PlS7_lN6hipcub16HIPCUB_304000_NS6detail34convert_binary_result_type_wrapperINS9_3SumENS9_22TransformInputIteratorIb7NonZeroIiEPilEElEEEE10hipError_tPvRmT1_T2_T3_mT4_P12ihipStream_tbEUlT_E1_NS1_11comp_targetILNS1_3genE10ELNS1_11target_archE1201ELNS1_3gpuE5ELNS1_3repE0EEENS1_30default_config_static_selectorELNS0_4arch9wavefront6targetE1EEEvSM_.private_seg_size, 0
	.set _ZN7rocprim17ROCPRIM_400000_NS6detail17trampoline_kernelINS0_14default_configENS1_22reduce_config_selectorIlEEZNS1_11reduce_implILb1ES3_PlS7_lN6hipcub16HIPCUB_304000_NS6detail34convert_binary_result_type_wrapperINS9_3SumENS9_22TransformInputIteratorIb7NonZeroIiEPilEElEEEE10hipError_tPvRmT1_T2_T3_mT4_P12ihipStream_tbEUlT_E1_NS1_11comp_targetILNS1_3genE10ELNS1_11target_archE1201ELNS1_3gpuE5ELNS1_3repE0EEENS1_30default_config_static_selectorELNS0_4arch9wavefront6targetE1EEEvSM_.uses_vcc, 0
	.set _ZN7rocprim17ROCPRIM_400000_NS6detail17trampoline_kernelINS0_14default_configENS1_22reduce_config_selectorIlEEZNS1_11reduce_implILb1ES3_PlS7_lN6hipcub16HIPCUB_304000_NS6detail34convert_binary_result_type_wrapperINS9_3SumENS9_22TransformInputIteratorIb7NonZeroIiEPilEElEEEE10hipError_tPvRmT1_T2_T3_mT4_P12ihipStream_tbEUlT_E1_NS1_11comp_targetILNS1_3genE10ELNS1_11target_archE1201ELNS1_3gpuE5ELNS1_3repE0EEENS1_30default_config_static_selectorELNS0_4arch9wavefront6targetE1EEEvSM_.uses_flat_scratch, 0
	.set _ZN7rocprim17ROCPRIM_400000_NS6detail17trampoline_kernelINS0_14default_configENS1_22reduce_config_selectorIlEEZNS1_11reduce_implILb1ES3_PlS7_lN6hipcub16HIPCUB_304000_NS6detail34convert_binary_result_type_wrapperINS9_3SumENS9_22TransformInputIteratorIb7NonZeroIiEPilEElEEEE10hipError_tPvRmT1_T2_T3_mT4_P12ihipStream_tbEUlT_E1_NS1_11comp_targetILNS1_3genE10ELNS1_11target_archE1201ELNS1_3gpuE5ELNS1_3repE0EEENS1_30default_config_static_selectorELNS0_4arch9wavefront6targetE1EEEvSM_.has_dyn_sized_stack, 0
	.set _ZN7rocprim17ROCPRIM_400000_NS6detail17trampoline_kernelINS0_14default_configENS1_22reduce_config_selectorIlEEZNS1_11reduce_implILb1ES3_PlS7_lN6hipcub16HIPCUB_304000_NS6detail34convert_binary_result_type_wrapperINS9_3SumENS9_22TransformInputIteratorIb7NonZeroIiEPilEElEEEE10hipError_tPvRmT1_T2_T3_mT4_P12ihipStream_tbEUlT_E1_NS1_11comp_targetILNS1_3genE10ELNS1_11target_archE1201ELNS1_3gpuE5ELNS1_3repE0EEENS1_30default_config_static_selectorELNS0_4arch9wavefront6targetE1EEEvSM_.has_recursion, 0
	.set _ZN7rocprim17ROCPRIM_400000_NS6detail17trampoline_kernelINS0_14default_configENS1_22reduce_config_selectorIlEEZNS1_11reduce_implILb1ES3_PlS7_lN6hipcub16HIPCUB_304000_NS6detail34convert_binary_result_type_wrapperINS9_3SumENS9_22TransformInputIteratorIb7NonZeroIiEPilEElEEEE10hipError_tPvRmT1_T2_T3_mT4_P12ihipStream_tbEUlT_E1_NS1_11comp_targetILNS1_3genE10ELNS1_11target_archE1201ELNS1_3gpuE5ELNS1_3repE0EEENS1_30default_config_static_selectorELNS0_4arch9wavefront6targetE1EEEvSM_.has_indirect_call, 0
	.section	.AMDGPU.csdata,"",@progbits
; Kernel info:
; codeLenInByte = 0
; TotalNumSgprs: 4
; NumVgprs: 0
; ScratchSize: 0
; MemoryBound: 0
; FloatMode: 240
; IeeeMode: 1
; LDSByteSize: 0 bytes/workgroup (compile time only)
; SGPRBlocks: 0
; VGPRBlocks: 0
; NumSGPRsForWavesPerEU: 4
; NumVGPRsForWavesPerEU: 1
; Occupancy: 10
; WaveLimiterHint : 0
; COMPUTE_PGM_RSRC2:SCRATCH_EN: 0
; COMPUTE_PGM_RSRC2:USER_SGPR: 6
; COMPUTE_PGM_RSRC2:TRAP_HANDLER: 0
; COMPUTE_PGM_RSRC2:TGID_X_EN: 1
; COMPUTE_PGM_RSRC2:TGID_Y_EN: 0
; COMPUTE_PGM_RSRC2:TGID_Z_EN: 0
; COMPUTE_PGM_RSRC2:TIDIG_COMP_CNT: 0
	.section	.text._ZN7rocprim17ROCPRIM_400000_NS6detail17trampoline_kernelINS0_14default_configENS1_22reduce_config_selectorIlEEZNS1_11reduce_implILb1ES3_PlS7_lN6hipcub16HIPCUB_304000_NS6detail34convert_binary_result_type_wrapperINS9_3SumENS9_22TransformInputIteratorIb7NonZeroIiEPilEElEEEE10hipError_tPvRmT1_T2_T3_mT4_P12ihipStream_tbEUlT_E1_NS1_11comp_targetILNS1_3genE10ELNS1_11target_archE1200ELNS1_3gpuE4ELNS1_3repE0EEENS1_30default_config_static_selectorELNS0_4arch9wavefront6targetE1EEEvSM_,"axG",@progbits,_ZN7rocprim17ROCPRIM_400000_NS6detail17trampoline_kernelINS0_14default_configENS1_22reduce_config_selectorIlEEZNS1_11reduce_implILb1ES3_PlS7_lN6hipcub16HIPCUB_304000_NS6detail34convert_binary_result_type_wrapperINS9_3SumENS9_22TransformInputIteratorIb7NonZeroIiEPilEElEEEE10hipError_tPvRmT1_T2_T3_mT4_P12ihipStream_tbEUlT_E1_NS1_11comp_targetILNS1_3genE10ELNS1_11target_archE1200ELNS1_3gpuE4ELNS1_3repE0EEENS1_30default_config_static_selectorELNS0_4arch9wavefront6targetE1EEEvSM_,comdat
	.protected	_ZN7rocprim17ROCPRIM_400000_NS6detail17trampoline_kernelINS0_14default_configENS1_22reduce_config_selectorIlEEZNS1_11reduce_implILb1ES3_PlS7_lN6hipcub16HIPCUB_304000_NS6detail34convert_binary_result_type_wrapperINS9_3SumENS9_22TransformInputIteratorIb7NonZeroIiEPilEElEEEE10hipError_tPvRmT1_T2_T3_mT4_P12ihipStream_tbEUlT_E1_NS1_11comp_targetILNS1_3genE10ELNS1_11target_archE1200ELNS1_3gpuE4ELNS1_3repE0EEENS1_30default_config_static_selectorELNS0_4arch9wavefront6targetE1EEEvSM_ ; -- Begin function _ZN7rocprim17ROCPRIM_400000_NS6detail17trampoline_kernelINS0_14default_configENS1_22reduce_config_selectorIlEEZNS1_11reduce_implILb1ES3_PlS7_lN6hipcub16HIPCUB_304000_NS6detail34convert_binary_result_type_wrapperINS9_3SumENS9_22TransformInputIteratorIb7NonZeroIiEPilEElEEEE10hipError_tPvRmT1_T2_T3_mT4_P12ihipStream_tbEUlT_E1_NS1_11comp_targetILNS1_3genE10ELNS1_11target_archE1200ELNS1_3gpuE4ELNS1_3repE0EEENS1_30default_config_static_selectorELNS0_4arch9wavefront6targetE1EEEvSM_
	.globl	_ZN7rocprim17ROCPRIM_400000_NS6detail17trampoline_kernelINS0_14default_configENS1_22reduce_config_selectorIlEEZNS1_11reduce_implILb1ES3_PlS7_lN6hipcub16HIPCUB_304000_NS6detail34convert_binary_result_type_wrapperINS9_3SumENS9_22TransformInputIteratorIb7NonZeroIiEPilEElEEEE10hipError_tPvRmT1_T2_T3_mT4_P12ihipStream_tbEUlT_E1_NS1_11comp_targetILNS1_3genE10ELNS1_11target_archE1200ELNS1_3gpuE4ELNS1_3repE0EEENS1_30default_config_static_selectorELNS0_4arch9wavefront6targetE1EEEvSM_
	.p2align	8
	.type	_ZN7rocprim17ROCPRIM_400000_NS6detail17trampoline_kernelINS0_14default_configENS1_22reduce_config_selectorIlEEZNS1_11reduce_implILb1ES3_PlS7_lN6hipcub16HIPCUB_304000_NS6detail34convert_binary_result_type_wrapperINS9_3SumENS9_22TransformInputIteratorIb7NonZeroIiEPilEElEEEE10hipError_tPvRmT1_T2_T3_mT4_P12ihipStream_tbEUlT_E1_NS1_11comp_targetILNS1_3genE10ELNS1_11target_archE1200ELNS1_3gpuE4ELNS1_3repE0EEENS1_30default_config_static_selectorELNS0_4arch9wavefront6targetE1EEEvSM_,@function
_ZN7rocprim17ROCPRIM_400000_NS6detail17trampoline_kernelINS0_14default_configENS1_22reduce_config_selectorIlEEZNS1_11reduce_implILb1ES3_PlS7_lN6hipcub16HIPCUB_304000_NS6detail34convert_binary_result_type_wrapperINS9_3SumENS9_22TransformInputIteratorIb7NonZeroIiEPilEElEEEE10hipError_tPvRmT1_T2_T3_mT4_P12ihipStream_tbEUlT_E1_NS1_11comp_targetILNS1_3genE10ELNS1_11target_archE1200ELNS1_3gpuE4ELNS1_3repE0EEENS1_30default_config_static_selectorELNS0_4arch9wavefront6targetE1EEEvSM_: ; @_ZN7rocprim17ROCPRIM_400000_NS6detail17trampoline_kernelINS0_14default_configENS1_22reduce_config_selectorIlEEZNS1_11reduce_implILb1ES3_PlS7_lN6hipcub16HIPCUB_304000_NS6detail34convert_binary_result_type_wrapperINS9_3SumENS9_22TransformInputIteratorIb7NonZeroIiEPilEElEEEE10hipError_tPvRmT1_T2_T3_mT4_P12ihipStream_tbEUlT_E1_NS1_11comp_targetILNS1_3genE10ELNS1_11target_archE1200ELNS1_3gpuE4ELNS1_3repE0EEENS1_30default_config_static_selectorELNS0_4arch9wavefront6targetE1EEEvSM_
; %bb.0:
	.section	.rodata,"a",@progbits
	.p2align	6, 0x0
	.amdhsa_kernel _ZN7rocprim17ROCPRIM_400000_NS6detail17trampoline_kernelINS0_14default_configENS1_22reduce_config_selectorIlEEZNS1_11reduce_implILb1ES3_PlS7_lN6hipcub16HIPCUB_304000_NS6detail34convert_binary_result_type_wrapperINS9_3SumENS9_22TransformInputIteratorIb7NonZeroIiEPilEElEEEE10hipError_tPvRmT1_T2_T3_mT4_P12ihipStream_tbEUlT_E1_NS1_11comp_targetILNS1_3genE10ELNS1_11target_archE1200ELNS1_3gpuE4ELNS1_3repE0EEENS1_30default_config_static_selectorELNS0_4arch9wavefront6targetE1EEEvSM_
		.amdhsa_group_segment_fixed_size 0
		.amdhsa_private_segment_fixed_size 0
		.amdhsa_kernarg_size 48
		.amdhsa_user_sgpr_count 6
		.amdhsa_user_sgpr_private_segment_buffer 1
		.amdhsa_user_sgpr_dispatch_ptr 0
		.amdhsa_user_sgpr_queue_ptr 0
		.amdhsa_user_sgpr_kernarg_segment_ptr 1
		.amdhsa_user_sgpr_dispatch_id 0
		.amdhsa_user_sgpr_flat_scratch_init 0
		.amdhsa_user_sgpr_private_segment_size 0
		.amdhsa_uses_dynamic_stack 0
		.amdhsa_system_sgpr_private_segment_wavefront_offset 0
		.amdhsa_system_sgpr_workgroup_id_x 1
		.amdhsa_system_sgpr_workgroup_id_y 0
		.amdhsa_system_sgpr_workgroup_id_z 0
		.amdhsa_system_sgpr_workgroup_info 0
		.amdhsa_system_vgpr_workitem_id 0
		.amdhsa_next_free_vgpr 1
		.amdhsa_next_free_sgpr 0
		.amdhsa_reserve_vcc 0
		.amdhsa_reserve_flat_scratch 0
		.amdhsa_float_round_mode_32 0
		.amdhsa_float_round_mode_16_64 0
		.amdhsa_float_denorm_mode_32 3
		.amdhsa_float_denorm_mode_16_64 3
		.amdhsa_dx10_clamp 1
		.amdhsa_ieee_mode 1
		.amdhsa_fp16_overflow 0
		.amdhsa_exception_fp_ieee_invalid_op 0
		.amdhsa_exception_fp_denorm_src 0
		.amdhsa_exception_fp_ieee_div_zero 0
		.amdhsa_exception_fp_ieee_overflow 0
		.amdhsa_exception_fp_ieee_underflow 0
		.amdhsa_exception_fp_ieee_inexact 0
		.amdhsa_exception_int_div_zero 0
	.end_amdhsa_kernel
	.section	.text._ZN7rocprim17ROCPRIM_400000_NS6detail17trampoline_kernelINS0_14default_configENS1_22reduce_config_selectorIlEEZNS1_11reduce_implILb1ES3_PlS7_lN6hipcub16HIPCUB_304000_NS6detail34convert_binary_result_type_wrapperINS9_3SumENS9_22TransformInputIteratorIb7NonZeroIiEPilEElEEEE10hipError_tPvRmT1_T2_T3_mT4_P12ihipStream_tbEUlT_E1_NS1_11comp_targetILNS1_3genE10ELNS1_11target_archE1200ELNS1_3gpuE4ELNS1_3repE0EEENS1_30default_config_static_selectorELNS0_4arch9wavefront6targetE1EEEvSM_,"axG",@progbits,_ZN7rocprim17ROCPRIM_400000_NS6detail17trampoline_kernelINS0_14default_configENS1_22reduce_config_selectorIlEEZNS1_11reduce_implILb1ES3_PlS7_lN6hipcub16HIPCUB_304000_NS6detail34convert_binary_result_type_wrapperINS9_3SumENS9_22TransformInputIteratorIb7NonZeroIiEPilEElEEEE10hipError_tPvRmT1_T2_T3_mT4_P12ihipStream_tbEUlT_E1_NS1_11comp_targetILNS1_3genE10ELNS1_11target_archE1200ELNS1_3gpuE4ELNS1_3repE0EEENS1_30default_config_static_selectorELNS0_4arch9wavefront6targetE1EEEvSM_,comdat
.Lfunc_end164:
	.size	_ZN7rocprim17ROCPRIM_400000_NS6detail17trampoline_kernelINS0_14default_configENS1_22reduce_config_selectorIlEEZNS1_11reduce_implILb1ES3_PlS7_lN6hipcub16HIPCUB_304000_NS6detail34convert_binary_result_type_wrapperINS9_3SumENS9_22TransformInputIteratorIb7NonZeroIiEPilEElEEEE10hipError_tPvRmT1_T2_T3_mT4_P12ihipStream_tbEUlT_E1_NS1_11comp_targetILNS1_3genE10ELNS1_11target_archE1200ELNS1_3gpuE4ELNS1_3repE0EEENS1_30default_config_static_selectorELNS0_4arch9wavefront6targetE1EEEvSM_, .Lfunc_end164-_ZN7rocprim17ROCPRIM_400000_NS6detail17trampoline_kernelINS0_14default_configENS1_22reduce_config_selectorIlEEZNS1_11reduce_implILb1ES3_PlS7_lN6hipcub16HIPCUB_304000_NS6detail34convert_binary_result_type_wrapperINS9_3SumENS9_22TransformInputIteratorIb7NonZeroIiEPilEElEEEE10hipError_tPvRmT1_T2_T3_mT4_P12ihipStream_tbEUlT_E1_NS1_11comp_targetILNS1_3genE10ELNS1_11target_archE1200ELNS1_3gpuE4ELNS1_3repE0EEENS1_30default_config_static_selectorELNS0_4arch9wavefront6targetE1EEEvSM_
                                        ; -- End function
	.set _ZN7rocprim17ROCPRIM_400000_NS6detail17trampoline_kernelINS0_14default_configENS1_22reduce_config_selectorIlEEZNS1_11reduce_implILb1ES3_PlS7_lN6hipcub16HIPCUB_304000_NS6detail34convert_binary_result_type_wrapperINS9_3SumENS9_22TransformInputIteratorIb7NonZeroIiEPilEElEEEE10hipError_tPvRmT1_T2_T3_mT4_P12ihipStream_tbEUlT_E1_NS1_11comp_targetILNS1_3genE10ELNS1_11target_archE1200ELNS1_3gpuE4ELNS1_3repE0EEENS1_30default_config_static_selectorELNS0_4arch9wavefront6targetE1EEEvSM_.num_vgpr, 0
	.set _ZN7rocprim17ROCPRIM_400000_NS6detail17trampoline_kernelINS0_14default_configENS1_22reduce_config_selectorIlEEZNS1_11reduce_implILb1ES3_PlS7_lN6hipcub16HIPCUB_304000_NS6detail34convert_binary_result_type_wrapperINS9_3SumENS9_22TransformInputIteratorIb7NonZeroIiEPilEElEEEE10hipError_tPvRmT1_T2_T3_mT4_P12ihipStream_tbEUlT_E1_NS1_11comp_targetILNS1_3genE10ELNS1_11target_archE1200ELNS1_3gpuE4ELNS1_3repE0EEENS1_30default_config_static_selectorELNS0_4arch9wavefront6targetE1EEEvSM_.num_agpr, 0
	.set _ZN7rocprim17ROCPRIM_400000_NS6detail17trampoline_kernelINS0_14default_configENS1_22reduce_config_selectorIlEEZNS1_11reduce_implILb1ES3_PlS7_lN6hipcub16HIPCUB_304000_NS6detail34convert_binary_result_type_wrapperINS9_3SumENS9_22TransformInputIteratorIb7NonZeroIiEPilEElEEEE10hipError_tPvRmT1_T2_T3_mT4_P12ihipStream_tbEUlT_E1_NS1_11comp_targetILNS1_3genE10ELNS1_11target_archE1200ELNS1_3gpuE4ELNS1_3repE0EEENS1_30default_config_static_selectorELNS0_4arch9wavefront6targetE1EEEvSM_.numbered_sgpr, 0
	.set _ZN7rocprim17ROCPRIM_400000_NS6detail17trampoline_kernelINS0_14default_configENS1_22reduce_config_selectorIlEEZNS1_11reduce_implILb1ES3_PlS7_lN6hipcub16HIPCUB_304000_NS6detail34convert_binary_result_type_wrapperINS9_3SumENS9_22TransformInputIteratorIb7NonZeroIiEPilEElEEEE10hipError_tPvRmT1_T2_T3_mT4_P12ihipStream_tbEUlT_E1_NS1_11comp_targetILNS1_3genE10ELNS1_11target_archE1200ELNS1_3gpuE4ELNS1_3repE0EEENS1_30default_config_static_selectorELNS0_4arch9wavefront6targetE1EEEvSM_.num_named_barrier, 0
	.set _ZN7rocprim17ROCPRIM_400000_NS6detail17trampoline_kernelINS0_14default_configENS1_22reduce_config_selectorIlEEZNS1_11reduce_implILb1ES3_PlS7_lN6hipcub16HIPCUB_304000_NS6detail34convert_binary_result_type_wrapperINS9_3SumENS9_22TransformInputIteratorIb7NonZeroIiEPilEElEEEE10hipError_tPvRmT1_T2_T3_mT4_P12ihipStream_tbEUlT_E1_NS1_11comp_targetILNS1_3genE10ELNS1_11target_archE1200ELNS1_3gpuE4ELNS1_3repE0EEENS1_30default_config_static_selectorELNS0_4arch9wavefront6targetE1EEEvSM_.private_seg_size, 0
	.set _ZN7rocprim17ROCPRIM_400000_NS6detail17trampoline_kernelINS0_14default_configENS1_22reduce_config_selectorIlEEZNS1_11reduce_implILb1ES3_PlS7_lN6hipcub16HIPCUB_304000_NS6detail34convert_binary_result_type_wrapperINS9_3SumENS9_22TransformInputIteratorIb7NonZeroIiEPilEElEEEE10hipError_tPvRmT1_T2_T3_mT4_P12ihipStream_tbEUlT_E1_NS1_11comp_targetILNS1_3genE10ELNS1_11target_archE1200ELNS1_3gpuE4ELNS1_3repE0EEENS1_30default_config_static_selectorELNS0_4arch9wavefront6targetE1EEEvSM_.uses_vcc, 0
	.set _ZN7rocprim17ROCPRIM_400000_NS6detail17trampoline_kernelINS0_14default_configENS1_22reduce_config_selectorIlEEZNS1_11reduce_implILb1ES3_PlS7_lN6hipcub16HIPCUB_304000_NS6detail34convert_binary_result_type_wrapperINS9_3SumENS9_22TransformInputIteratorIb7NonZeroIiEPilEElEEEE10hipError_tPvRmT1_T2_T3_mT4_P12ihipStream_tbEUlT_E1_NS1_11comp_targetILNS1_3genE10ELNS1_11target_archE1200ELNS1_3gpuE4ELNS1_3repE0EEENS1_30default_config_static_selectorELNS0_4arch9wavefront6targetE1EEEvSM_.uses_flat_scratch, 0
	.set _ZN7rocprim17ROCPRIM_400000_NS6detail17trampoline_kernelINS0_14default_configENS1_22reduce_config_selectorIlEEZNS1_11reduce_implILb1ES3_PlS7_lN6hipcub16HIPCUB_304000_NS6detail34convert_binary_result_type_wrapperINS9_3SumENS9_22TransformInputIteratorIb7NonZeroIiEPilEElEEEE10hipError_tPvRmT1_T2_T3_mT4_P12ihipStream_tbEUlT_E1_NS1_11comp_targetILNS1_3genE10ELNS1_11target_archE1200ELNS1_3gpuE4ELNS1_3repE0EEENS1_30default_config_static_selectorELNS0_4arch9wavefront6targetE1EEEvSM_.has_dyn_sized_stack, 0
	.set _ZN7rocprim17ROCPRIM_400000_NS6detail17trampoline_kernelINS0_14default_configENS1_22reduce_config_selectorIlEEZNS1_11reduce_implILb1ES3_PlS7_lN6hipcub16HIPCUB_304000_NS6detail34convert_binary_result_type_wrapperINS9_3SumENS9_22TransformInputIteratorIb7NonZeroIiEPilEElEEEE10hipError_tPvRmT1_T2_T3_mT4_P12ihipStream_tbEUlT_E1_NS1_11comp_targetILNS1_3genE10ELNS1_11target_archE1200ELNS1_3gpuE4ELNS1_3repE0EEENS1_30default_config_static_selectorELNS0_4arch9wavefront6targetE1EEEvSM_.has_recursion, 0
	.set _ZN7rocprim17ROCPRIM_400000_NS6detail17trampoline_kernelINS0_14default_configENS1_22reduce_config_selectorIlEEZNS1_11reduce_implILb1ES3_PlS7_lN6hipcub16HIPCUB_304000_NS6detail34convert_binary_result_type_wrapperINS9_3SumENS9_22TransformInputIteratorIb7NonZeroIiEPilEElEEEE10hipError_tPvRmT1_T2_T3_mT4_P12ihipStream_tbEUlT_E1_NS1_11comp_targetILNS1_3genE10ELNS1_11target_archE1200ELNS1_3gpuE4ELNS1_3repE0EEENS1_30default_config_static_selectorELNS0_4arch9wavefront6targetE1EEEvSM_.has_indirect_call, 0
	.section	.AMDGPU.csdata,"",@progbits
; Kernel info:
; codeLenInByte = 0
; TotalNumSgprs: 4
; NumVgprs: 0
; ScratchSize: 0
; MemoryBound: 0
; FloatMode: 240
; IeeeMode: 1
; LDSByteSize: 0 bytes/workgroup (compile time only)
; SGPRBlocks: 0
; VGPRBlocks: 0
; NumSGPRsForWavesPerEU: 4
; NumVGPRsForWavesPerEU: 1
; Occupancy: 10
; WaveLimiterHint : 0
; COMPUTE_PGM_RSRC2:SCRATCH_EN: 0
; COMPUTE_PGM_RSRC2:USER_SGPR: 6
; COMPUTE_PGM_RSRC2:TRAP_HANDLER: 0
; COMPUTE_PGM_RSRC2:TGID_X_EN: 1
; COMPUTE_PGM_RSRC2:TGID_Y_EN: 0
; COMPUTE_PGM_RSRC2:TGID_Z_EN: 0
; COMPUTE_PGM_RSRC2:TIDIG_COMP_CNT: 0
	.section	.text._ZN7rocprim17ROCPRIM_400000_NS6detail17trampoline_kernelINS0_14default_configENS1_22reduce_config_selectorIlEEZNS1_11reduce_implILb1ES3_PlS7_lN6hipcub16HIPCUB_304000_NS6detail34convert_binary_result_type_wrapperINS9_3SumENS9_22TransformInputIteratorIb7NonZeroIiEPilEElEEEE10hipError_tPvRmT1_T2_T3_mT4_P12ihipStream_tbEUlT_E1_NS1_11comp_targetILNS1_3genE9ELNS1_11target_archE1100ELNS1_3gpuE3ELNS1_3repE0EEENS1_30default_config_static_selectorELNS0_4arch9wavefront6targetE1EEEvSM_,"axG",@progbits,_ZN7rocprim17ROCPRIM_400000_NS6detail17trampoline_kernelINS0_14default_configENS1_22reduce_config_selectorIlEEZNS1_11reduce_implILb1ES3_PlS7_lN6hipcub16HIPCUB_304000_NS6detail34convert_binary_result_type_wrapperINS9_3SumENS9_22TransformInputIteratorIb7NonZeroIiEPilEElEEEE10hipError_tPvRmT1_T2_T3_mT4_P12ihipStream_tbEUlT_E1_NS1_11comp_targetILNS1_3genE9ELNS1_11target_archE1100ELNS1_3gpuE3ELNS1_3repE0EEENS1_30default_config_static_selectorELNS0_4arch9wavefront6targetE1EEEvSM_,comdat
	.protected	_ZN7rocprim17ROCPRIM_400000_NS6detail17trampoline_kernelINS0_14default_configENS1_22reduce_config_selectorIlEEZNS1_11reduce_implILb1ES3_PlS7_lN6hipcub16HIPCUB_304000_NS6detail34convert_binary_result_type_wrapperINS9_3SumENS9_22TransformInputIteratorIb7NonZeroIiEPilEElEEEE10hipError_tPvRmT1_T2_T3_mT4_P12ihipStream_tbEUlT_E1_NS1_11comp_targetILNS1_3genE9ELNS1_11target_archE1100ELNS1_3gpuE3ELNS1_3repE0EEENS1_30default_config_static_selectorELNS0_4arch9wavefront6targetE1EEEvSM_ ; -- Begin function _ZN7rocprim17ROCPRIM_400000_NS6detail17trampoline_kernelINS0_14default_configENS1_22reduce_config_selectorIlEEZNS1_11reduce_implILb1ES3_PlS7_lN6hipcub16HIPCUB_304000_NS6detail34convert_binary_result_type_wrapperINS9_3SumENS9_22TransformInputIteratorIb7NonZeroIiEPilEElEEEE10hipError_tPvRmT1_T2_T3_mT4_P12ihipStream_tbEUlT_E1_NS1_11comp_targetILNS1_3genE9ELNS1_11target_archE1100ELNS1_3gpuE3ELNS1_3repE0EEENS1_30default_config_static_selectorELNS0_4arch9wavefront6targetE1EEEvSM_
	.globl	_ZN7rocprim17ROCPRIM_400000_NS6detail17trampoline_kernelINS0_14default_configENS1_22reduce_config_selectorIlEEZNS1_11reduce_implILb1ES3_PlS7_lN6hipcub16HIPCUB_304000_NS6detail34convert_binary_result_type_wrapperINS9_3SumENS9_22TransformInputIteratorIb7NonZeroIiEPilEElEEEE10hipError_tPvRmT1_T2_T3_mT4_P12ihipStream_tbEUlT_E1_NS1_11comp_targetILNS1_3genE9ELNS1_11target_archE1100ELNS1_3gpuE3ELNS1_3repE0EEENS1_30default_config_static_selectorELNS0_4arch9wavefront6targetE1EEEvSM_
	.p2align	8
	.type	_ZN7rocprim17ROCPRIM_400000_NS6detail17trampoline_kernelINS0_14default_configENS1_22reduce_config_selectorIlEEZNS1_11reduce_implILb1ES3_PlS7_lN6hipcub16HIPCUB_304000_NS6detail34convert_binary_result_type_wrapperINS9_3SumENS9_22TransformInputIteratorIb7NonZeroIiEPilEElEEEE10hipError_tPvRmT1_T2_T3_mT4_P12ihipStream_tbEUlT_E1_NS1_11comp_targetILNS1_3genE9ELNS1_11target_archE1100ELNS1_3gpuE3ELNS1_3repE0EEENS1_30default_config_static_selectorELNS0_4arch9wavefront6targetE1EEEvSM_,@function
_ZN7rocprim17ROCPRIM_400000_NS6detail17trampoline_kernelINS0_14default_configENS1_22reduce_config_selectorIlEEZNS1_11reduce_implILb1ES3_PlS7_lN6hipcub16HIPCUB_304000_NS6detail34convert_binary_result_type_wrapperINS9_3SumENS9_22TransformInputIteratorIb7NonZeroIiEPilEElEEEE10hipError_tPvRmT1_T2_T3_mT4_P12ihipStream_tbEUlT_E1_NS1_11comp_targetILNS1_3genE9ELNS1_11target_archE1100ELNS1_3gpuE3ELNS1_3repE0EEENS1_30default_config_static_selectorELNS0_4arch9wavefront6targetE1EEEvSM_: ; @_ZN7rocprim17ROCPRIM_400000_NS6detail17trampoline_kernelINS0_14default_configENS1_22reduce_config_selectorIlEEZNS1_11reduce_implILb1ES3_PlS7_lN6hipcub16HIPCUB_304000_NS6detail34convert_binary_result_type_wrapperINS9_3SumENS9_22TransformInputIteratorIb7NonZeroIiEPilEElEEEE10hipError_tPvRmT1_T2_T3_mT4_P12ihipStream_tbEUlT_E1_NS1_11comp_targetILNS1_3genE9ELNS1_11target_archE1100ELNS1_3gpuE3ELNS1_3repE0EEENS1_30default_config_static_selectorELNS0_4arch9wavefront6targetE1EEEvSM_
; %bb.0:
	.section	.rodata,"a",@progbits
	.p2align	6, 0x0
	.amdhsa_kernel _ZN7rocprim17ROCPRIM_400000_NS6detail17trampoline_kernelINS0_14default_configENS1_22reduce_config_selectorIlEEZNS1_11reduce_implILb1ES3_PlS7_lN6hipcub16HIPCUB_304000_NS6detail34convert_binary_result_type_wrapperINS9_3SumENS9_22TransformInputIteratorIb7NonZeroIiEPilEElEEEE10hipError_tPvRmT1_T2_T3_mT4_P12ihipStream_tbEUlT_E1_NS1_11comp_targetILNS1_3genE9ELNS1_11target_archE1100ELNS1_3gpuE3ELNS1_3repE0EEENS1_30default_config_static_selectorELNS0_4arch9wavefront6targetE1EEEvSM_
		.amdhsa_group_segment_fixed_size 0
		.amdhsa_private_segment_fixed_size 0
		.amdhsa_kernarg_size 48
		.amdhsa_user_sgpr_count 6
		.amdhsa_user_sgpr_private_segment_buffer 1
		.amdhsa_user_sgpr_dispatch_ptr 0
		.amdhsa_user_sgpr_queue_ptr 0
		.amdhsa_user_sgpr_kernarg_segment_ptr 1
		.amdhsa_user_sgpr_dispatch_id 0
		.amdhsa_user_sgpr_flat_scratch_init 0
		.amdhsa_user_sgpr_private_segment_size 0
		.amdhsa_uses_dynamic_stack 0
		.amdhsa_system_sgpr_private_segment_wavefront_offset 0
		.amdhsa_system_sgpr_workgroup_id_x 1
		.amdhsa_system_sgpr_workgroup_id_y 0
		.amdhsa_system_sgpr_workgroup_id_z 0
		.amdhsa_system_sgpr_workgroup_info 0
		.amdhsa_system_vgpr_workitem_id 0
		.amdhsa_next_free_vgpr 1
		.amdhsa_next_free_sgpr 0
		.amdhsa_reserve_vcc 0
		.amdhsa_reserve_flat_scratch 0
		.amdhsa_float_round_mode_32 0
		.amdhsa_float_round_mode_16_64 0
		.amdhsa_float_denorm_mode_32 3
		.amdhsa_float_denorm_mode_16_64 3
		.amdhsa_dx10_clamp 1
		.amdhsa_ieee_mode 1
		.amdhsa_fp16_overflow 0
		.amdhsa_exception_fp_ieee_invalid_op 0
		.amdhsa_exception_fp_denorm_src 0
		.amdhsa_exception_fp_ieee_div_zero 0
		.amdhsa_exception_fp_ieee_overflow 0
		.amdhsa_exception_fp_ieee_underflow 0
		.amdhsa_exception_fp_ieee_inexact 0
		.amdhsa_exception_int_div_zero 0
	.end_amdhsa_kernel
	.section	.text._ZN7rocprim17ROCPRIM_400000_NS6detail17trampoline_kernelINS0_14default_configENS1_22reduce_config_selectorIlEEZNS1_11reduce_implILb1ES3_PlS7_lN6hipcub16HIPCUB_304000_NS6detail34convert_binary_result_type_wrapperINS9_3SumENS9_22TransformInputIteratorIb7NonZeroIiEPilEElEEEE10hipError_tPvRmT1_T2_T3_mT4_P12ihipStream_tbEUlT_E1_NS1_11comp_targetILNS1_3genE9ELNS1_11target_archE1100ELNS1_3gpuE3ELNS1_3repE0EEENS1_30default_config_static_selectorELNS0_4arch9wavefront6targetE1EEEvSM_,"axG",@progbits,_ZN7rocprim17ROCPRIM_400000_NS6detail17trampoline_kernelINS0_14default_configENS1_22reduce_config_selectorIlEEZNS1_11reduce_implILb1ES3_PlS7_lN6hipcub16HIPCUB_304000_NS6detail34convert_binary_result_type_wrapperINS9_3SumENS9_22TransformInputIteratorIb7NonZeroIiEPilEElEEEE10hipError_tPvRmT1_T2_T3_mT4_P12ihipStream_tbEUlT_E1_NS1_11comp_targetILNS1_3genE9ELNS1_11target_archE1100ELNS1_3gpuE3ELNS1_3repE0EEENS1_30default_config_static_selectorELNS0_4arch9wavefront6targetE1EEEvSM_,comdat
.Lfunc_end165:
	.size	_ZN7rocprim17ROCPRIM_400000_NS6detail17trampoline_kernelINS0_14default_configENS1_22reduce_config_selectorIlEEZNS1_11reduce_implILb1ES3_PlS7_lN6hipcub16HIPCUB_304000_NS6detail34convert_binary_result_type_wrapperINS9_3SumENS9_22TransformInputIteratorIb7NonZeroIiEPilEElEEEE10hipError_tPvRmT1_T2_T3_mT4_P12ihipStream_tbEUlT_E1_NS1_11comp_targetILNS1_3genE9ELNS1_11target_archE1100ELNS1_3gpuE3ELNS1_3repE0EEENS1_30default_config_static_selectorELNS0_4arch9wavefront6targetE1EEEvSM_, .Lfunc_end165-_ZN7rocprim17ROCPRIM_400000_NS6detail17trampoline_kernelINS0_14default_configENS1_22reduce_config_selectorIlEEZNS1_11reduce_implILb1ES3_PlS7_lN6hipcub16HIPCUB_304000_NS6detail34convert_binary_result_type_wrapperINS9_3SumENS9_22TransformInputIteratorIb7NonZeroIiEPilEElEEEE10hipError_tPvRmT1_T2_T3_mT4_P12ihipStream_tbEUlT_E1_NS1_11comp_targetILNS1_3genE9ELNS1_11target_archE1100ELNS1_3gpuE3ELNS1_3repE0EEENS1_30default_config_static_selectorELNS0_4arch9wavefront6targetE1EEEvSM_
                                        ; -- End function
	.set _ZN7rocprim17ROCPRIM_400000_NS6detail17trampoline_kernelINS0_14default_configENS1_22reduce_config_selectorIlEEZNS1_11reduce_implILb1ES3_PlS7_lN6hipcub16HIPCUB_304000_NS6detail34convert_binary_result_type_wrapperINS9_3SumENS9_22TransformInputIteratorIb7NonZeroIiEPilEElEEEE10hipError_tPvRmT1_T2_T3_mT4_P12ihipStream_tbEUlT_E1_NS1_11comp_targetILNS1_3genE9ELNS1_11target_archE1100ELNS1_3gpuE3ELNS1_3repE0EEENS1_30default_config_static_selectorELNS0_4arch9wavefront6targetE1EEEvSM_.num_vgpr, 0
	.set _ZN7rocprim17ROCPRIM_400000_NS6detail17trampoline_kernelINS0_14default_configENS1_22reduce_config_selectorIlEEZNS1_11reduce_implILb1ES3_PlS7_lN6hipcub16HIPCUB_304000_NS6detail34convert_binary_result_type_wrapperINS9_3SumENS9_22TransformInputIteratorIb7NonZeroIiEPilEElEEEE10hipError_tPvRmT1_T2_T3_mT4_P12ihipStream_tbEUlT_E1_NS1_11comp_targetILNS1_3genE9ELNS1_11target_archE1100ELNS1_3gpuE3ELNS1_3repE0EEENS1_30default_config_static_selectorELNS0_4arch9wavefront6targetE1EEEvSM_.num_agpr, 0
	.set _ZN7rocprim17ROCPRIM_400000_NS6detail17trampoline_kernelINS0_14default_configENS1_22reduce_config_selectorIlEEZNS1_11reduce_implILb1ES3_PlS7_lN6hipcub16HIPCUB_304000_NS6detail34convert_binary_result_type_wrapperINS9_3SumENS9_22TransformInputIteratorIb7NonZeroIiEPilEElEEEE10hipError_tPvRmT1_T2_T3_mT4_P12ihipStream_tbEUlT_E1_NS1_11comp_targetILNS1_3genE9ELNS1_11target_archE1100ELNS1_3gpuE3ELNS1_3repE0EEENS1_30default_config_static_selectorELNS0_4arch9wavefront6targetE1EEEvSM_.numbered_sgpr, 0
	.set _ZN7rocprim17ROCPRIM_400000_NS6detail17trampoline_kernelINS0_14default_configENS1_22reduce_config_selectorIlEEZNS1_11reduce_implILb1ES3_PlS7_lN6hipcub16HIPCUB_304000_NS6detail34convert_binary_result_type_wrapperINS9_3SumENS9_22TransformInputIteratorIb7NonZeroIiEPilEElEEEE10hipError_tPvRmT1_T2_T3_mT4_P12ihipStream_tbEUlT_E1_NS1_11comp_targetILNS1_3genE9ELNS1_11target_archE1100ELNS1_3gpuE3ELNS1_3repE0EEENS1_30default_config_static_selectorELNS0_4arch9wavefront6targetE1EEEvSM_.num_named_barrier, 0
	.set _ZN7rocprim17ROCPRIM_400000_NS6detail17trampoline_kernelINS0_14default_configENS1_22reduce_config_selectorIlEEZNS1_11reduce_implILb1ES3_PlS7_lN6hipcub16HIPCUB_304000_NS6detail34convert_binary_result_type_wrapperINS9_3SumENS9_22TransformInputIteratorIb7NonZeroIiEPilEElEEEE10hipError_tPvRmT1_T2_T3_mT4_P12ihipStream_tbEUlT_E1_NS1_11comp_targetILNS1_3genE9ELNS1_11target_archE1100ELNS1_3gpuE3ELNS1_3repE0EEENS1_30default_config_static_selectorELNS0_4arch9wavefront6targetE1EEEvSM_.private_seg_size, 0
	.set _ZN7rocprim17ROCPRIM_400000_NS6detail17trampoline_kernelINS0_14default_configENS1_22reduce_config_selectorIlEEZNS1_11reduce_implILb1ES3_PlS7_lN6hipcub16HIPCUB_304000_NS6detail34convert_binary_result_type_wrapperINS9_3SumENS9_22TransformInputIteratorIb7NonZeroIiEPilEElEEEE10hipError_tPvRmT1_T2_T3_mT4_P12ihipStream_tbEUlT_E1_NS1_11comp_targetILNS1_3genE9ELNS1_11target_archE1100ELNS1_3gpuE3ELNS1_3repE0EEENS1_30default_config_static_selectorELNS0_4arch9wavefront6targetE1EEEvSM_.uses_vcc, 0
	.set _ZN7rocprim17ROCPRIM_400000_NS6detail17trampoline_kernelINS0_14default_configENS1_22reduce_config_selectorIlEEZNS1_11reduce_implILb1ES3_PlS7_lN6hipcub16HIPCUB_304000_NS6detail34convert_binary_result_type_wrapperINS9_3SumENS9_22TransformInputIteratorIb7NonZeroIiEPilEElEEEE10hipError_tPvRmT1_T2_T3_mT4_P12ihipStream_tbEUlT_E1_NS1_11comp_targetILNS1_3genE9ELNS1_11target_archE1100ELNS1_3gpuE3ELNS1_3repE0EEENS1_30default_config_static_selectorELNS0_4arch9wavefront6targetE1EEEvSM_.uses_flat_scratch, 0
	.set _ZN7rocprim17ROCPRIM_400000_NS6detail17trampoline_kernelINS0_14default_configENS1_22reduce_config_selectorIlEEZNS1_11reduce_implILb1ES3_PlS7_lN6hipcub16HIPCUB_304000_NS6detail34convert_binary_result_type_wrapperINS9_3SumENS9_22TransformInputIteratorIb7NonZeroIiEPilEElEEEE10hipError_tPvRmT1_T2_T3_mT4_P12ihipStream_tbEUlT_E1_NS1_11comp_targetILNS1_3genE9ELNS1_11target_archE1100ELNS1_3gpuE3ELNS1_3repE0EEENS1_30default_config_static_selectorELNS0_4arch9wavefront6targetE1EEEvSM_.has_dyn_sized_stack, 0
	.set _ZN7rocprim17ROCPRIM_400000_NS6detail17trampoline_kernelINS0_14default_configENS1_22reduce_config_selectorIlEEZNS1_11reduce_implILb1ES3_PlS7_lN6hipcub16HIPCUB_304000_NS6detail34convert_binary_result_type_wrapperINS9_3SumENS9_22TransformInputIteratorIb7NonZeroIiEPilEElEEEE10hipError_tPvRmT1_T2_T3_mT4_P12ihipStream_tbEUlT_E1_NS1_11comp_targetILNS1_3genE9ELNS1_11target_archE1100ELNS1_3gpuE3ELNS1_3repE0EEENS1_30default_config_static_selectorELNS0_4arch9wavefront6targetE1EEEvSM_.has_recursion, 0
	.set _ZN7rocprim17ROCPRIM_400000_NS6detail17trampoline_kernelINS0_14default_configENS1_22reduce_config_selectorIlEEZNS1_11reduce_implILb1ES3_PlS7_lN6hipcub16HIPCUB_304000_NS6detail34convert_binary_result_type_wrapperINS9_3SumENS9_22TransformInputIteratorIb7NonZeroIiEPilEElEEEE10hipError_tPvRmT1_T2_T3_mT4_P12ihipStream_tbEUlT_E1_NS1_11comp_targetILNS1_3genE9ELNS1_11target_archE1100ELNS1_3gpuE3ELNS1_3repE0EEENS1_30default_config_static_selectorELNS0_4arch9wavefront6targetE1EEEvSM_.has_indirect_call, 0
	.section	.AMDGPU.csdata,"",@progbits
; Kernel info:
; codeLenInByte = 0
; TotalNumSgprs: 4
; NumVgprs: 0
; ScratchSize: 0
; MemoryBound: 0
; FloatMode: 240
; IeeeMode: 1
; LDSByteSize: 0 bytes/workgroup (compile time only)
; SGPRBlocks: 0
; VGPRBlocks: 0
; NumSGPRsForWavesPerEU: 4
; NumVGPRsForWavesPerEU: 1
; Occupancy: 10
; WaveLimiterHint : 0
; COMPUTE_PGM_RSRC2:SCRATCH_EN: 0
; COMPUTE_PGM_RSRC2:USER_SGPR: 6
; COMPUTE_PGM_RSRC2:TRAP_HANDLER: 0
; COMPUTE_PGM_RSRC2:TGID_X_EN: 1
; COMPUTE_PGM_RSRC2:TGID_Y_EN: 0
; COMPUTE_PGM_RSRC2:TGID_Z_EN: 0
; COMPUTE_PGM_RSRC2:TIDIG_COMP_CNT: 0
	.section	.text._ZN7rocprim17ROCPRIM_400000_NS6detail17trampoline_kernelINS0_14default_configENS1_22reduce_config_selectorIlEEZNS1_11reduce_implILb1ES3_PlS7_lN6hipcub16HIPCUB_304000_NS6detail34convert_binary_result_type_wrapperINS9_3SumENS9_22TransformInputIteratorIb7NonZeroIiEPilEElEEEE10hipError_tPvRmT1_T2_T3_mT4_P12ihipStream_tbEUlT_E1_NS1_11comp_targetILNS1_3genE8ELNS1_11target_archE1030ELNS1_3gpuE2ELNS1_3repE0EEENS1_30default_config_static_selectorELNS0_4arch9wavefront6targetE1EEEvSM_,"axG",@progbits,_ZN7rocprim17ROCPRIM_400000_NS6detail17trampoline_kernelINS0_14default_configENS1_22reduce_config_selectorIlEEZNS1_11reduce_implILb1ES3_PlS7_lN6hipcub16HIPCUB_304000_NS6detail34convert_binary_result_type_wrapperINS9_3SumENS9_22TransformInputIteratorIb7NonZeroIiEPilEElEEEE10hipError_tPvRmT1_T2_T3_mT4_P12ihipStream_tbEUlT_E1_NS1_11comp_targetILNS1_3genE8ELNS1_11target_archE1030ELNS1_3gpuE2ELNS1_3repE0EEENS1_30default_config_static_selectorELNS0_4arch9wavefront6targetE1EEEvSM_,comdat
	.protected	_ZN7rocprim17ROCPRIM_400000_NS6detail17trampoline_kernelINS0_14default_configENS1_22reduce_config_selectorIlEEZNS1_11reduce_implILb1ES3_PlS7_lN6hipcub16HIPCUB_304000_NS6detail34convert_binary_result_type_wrapperINS9_3SumENS9_22TransformInputIteratorIb7NonZeroIiEPilEElEEEE10hipError_tPvRmT1_T2_T3_mT4_P12ihipStream_tbEUlT_E1_NS1_11comp_targetILNS1_3genE8ELNS1_11target_archE1030ELNS1_3gpuE2ELNS1_3repE0EEENS1_30default_config_static_selectorELNS0_4arch9wavefront6targetE1EEEvSM_ ; -- Begin function _ZN7rocprim17ROCPRIM_400000_NS6detail17trampoline_kernelINS0_14default_configENS1_22reduce_config_selectorIlEEZNS1_11reduce_implILb1ES3_PlS7_lN6hipcub16HIPCUB_304000_NS6detail34convert_binary_result_type_wrapperINS9_3SumENS9_22TransformInputIteratorIb7NonZeroIiEPilEElEEEE10hipError_tPvRmT1_T2_T3_mT4_P12ihipStream_tbEUlT_E1_NS1_11comp_targetILNS1_3genE8ELNS1_11target_archE1030ELNS1_3gpuE2ELNS1_3repE0EEENS1_30default_config_static_selectorELNS0_4arch9wavefront6targetE1EEEvSM_
	.globl	_ZN7rocprim17ROCPRIM_400000_NS6detail17trampoline_kernelINS0_14default_configENS1_22reduce_config_selectorIlEEZNS1_11reduce_implILb1ES3_PlS7_lN6hipcub16HIPCUB_304000_NS6detail34convert_binary_result_type_wrapperINS9_3SumENS9_22TransformInputIteratorIb7NonZeroIiEPilEElEEEE10hipError_tPvRmT1_T2_T3_mT4_P12ihipStream_tbEUlT_E1_NS1_11comp_targetILNS1_3genE8ELNS1_11target_archE1030ELNS1_3gpuE2ELNS1_3repE0EEENS1_30default_config_static_selectorELNS0_4arch9wavefront6targetE1EEEvSM_
	.p2align	8
	.type	_ZN7rocprim17ROCPRIM_400000_NS6detail17trampoline_kernelINS0_14default_configENS1_22reduce_config_selectorIlEEZNS1_11reduce_implILb1ES3_PlS7_lN6hipcub16HIPCUB_304000_NS6detail34convert_binary_result_type_wrapperINS9_3SumENS9_22TransformInputIteratorIb7NonZeroIiEPilEElEEEE10hipError_tPvRmT1_T2_T3_mT4_P12ihipStream_tbEUlT_E1_NS1_11comp_targetILNS1_3genE8ELNS1_11target_archE1030ELNS1_3gpuE2ELNS1_3repE0EEENS1_30default_config_static_selectorELNS0_4arch9wavefront6targetE1EEEvSM_,@function
_ZN7rocprim17ROCPRIM_400000_NS6detail17trampoline_kernelINS0_14default_configENS1_22reduce_config_selectorIlEEZNS1_11reduce_implILb1ES3_PlS7_lN6hipcub16HIPCUB_304000_NS6detail34convert_binary_result_type_wrapperINS9_3SumENS9_22TransformInputIteratorIb7NonZeroIiEPilEElEEEE10hipError_tPvRmT1_T2_T3_mT4_P12ihipStream_tbEUlT_E1_NS1_11comp_targetILNS1_3genE8ELNS1_11target_archE1030ELNS1_3gpuE2ELNS1_3repE0EEENS1_30default_config_static_selectorELNS0_4arch9wavefront6targetE1EEEvSM_: ; @_ZN7rocprim17ROCPRIM_400000_NS6detail17trampoline_kernelINS0_14default_configENS1_22reduce_config_selectorIlEEZNS1_11reduce_implILb1ES3_PlS7_lN6hipcub16HIPCUB_304000_NS6detail34convert_binary_result_type_wrapperINS9_3SumENS9_22TransformInputIteratorIb7NonZeroIiEPilEElEEEE10hipError_tPvRmT1_T2_T3_mT4_P12ihipStream_tbEUlT_E1_NS1_11comp_targetILNS1_3genE8ELNS1_11target_archE1030ELNS1_3gpuE2ELNS1_3repE0EEENS1_30default_config_static_selectorELNS0_4arch9wavefront6targetE1EEEvSM_
; %bb.0:
	.section	.rodata,"a",@progbits
	.p2align	6, 0x0
	.amdhsa_kernel _ZN7rocprim17ROCPRIM_400000_NS6detail17trampoline_kernelINS0_14default_configENS1_22reduce_config_selectorIlEEZNS1_11reduce_implILb1ES3_PlS7_lN6hipcub16HIPCUB_304000_NS6detail34convert_binary_result_type_wrapperINS9_3SumENS9_22TransformInputIteratorIb7NonZeroIiEPilEElEEEE10hipError_tPvRmT1_T2_T3_mT4_P12ihipStream_tbEUlT_E1_NS1_11comp_targetILNS1_3genE8ELNS1_11target_archE1030ELNS1_3gpuE2ELNS1_3repE0EEENS1_30default_config_static_selectorELNS0_4arch9wavefront6targetE1EEEvSM_
		.amdhsa_group_segment_fixed_size 0
		.amdhsa_private_segment_fixed_size 0
		.amdhsa_kernarg_size 48
		.amdhsa_user_sgpr_count 6
		.amdhsa_user_sgpr_private_segment_buffer 1
		.amdhsa_user_sgpr_dispatch_ptr 0
		.amdhsa_user_sgpr_queue_ptr 0
		.amdhsa_user_sgpr_kernarg_segment_ptr 1
		.amdhsa_user_sgpr_dispatch_id 0
		.amdhsa_user_sgpr_flat_scratch_init 0
		.amdhsa_user_sgpr_private_segment_size 0
		.amdhsa_uses_dynamic_stack 0
		.amdhsa_system_sgpr_private_segment_wavefront_offset 0
		.amdhsa_system_sgpr_workgroup_id_x 1
		.amdhsa_system_sgpr_workgroup_id_y 0
		.amdhsa_system_sgpr_workgroup_id_z 0
		.amdhsa_system_sgpr_workgroup_info 0
		.amdhsa_system_vgpr_workitem_id 0
		.amdhsa_next_free_vgpr 1
		.amdhsa_next_free_sgpr 0
		.amdhsa_reserve_vcc 0
		.amdhsa_reserve_flat_scratch 0
		.amdhsa_float_round_mode_32 0
		.amdhsa_float_round_mode_16_64 0
		.amdhsa_float_denorm_mode_32 3
		.amdhsa_float_denorm_mode_16_64 3
		.amdhsa_dx10_clamp 1
		.amdhsa_ieee_mode 1
		.amdhsa_fp16_overflow 0
		.amdhsa_exception_fp_ieee_invalid_op 0
		.amdhsa_exception_fp_denorm_src 0
		.amdhsa_exception_fp_ieee_div_zero 0
		.amdhsa_exception_fp_ieee_overflow 0
		.amdhsa_exception_fp_ieee_underflow 0
		.amdhsa_exception_fp_ieee_inexact 0
		.amdhsa_exception_int_div_zero 0
	.end_amdhsa_kernel
	.section	.text._ZN7rocprim17ROCPRIM_400000_NS6detail17trampoline_kernelINS0_14default_configENS1_22reduce_config_selectorIlEEZNS1_11reduce_implILb1ES3_PlS7_lN6hipcub16HIPCUB_304000_NS6detail34convert_binary_result_type_wrapperINS9_3SumENS9_22TransformInputIteratorIb7NonZeroIiEPilEElEEEE10hipError_tPvRmT1_T2_T3_mT4_P12ihipStream_tbEUlT_E1_NS1_11comp_targetILNS1_3genE8ELNS1_11target_archE1030ELNS1_3gpuE2ELNS1_3repE0EEENS1_30default_config_static_selectorELNS0_4arch9wavefront6targetE1EEEvSM_,"axG",@progbits,_ZN7rocprim17ROCPRIM_400000_NS6detail17trampoline_kernelINS0_14default_configENS1_22reduce_config_selectorIlEEZNS1_11reduce_implILb1ES3_PlS7_lN6hipcub16HIPCUB_304000_NS6detail34convert_binary_result_type_wrapperINS9_3SumENS9_22TransformInputIteratorIb7NonZeroIiEPilEElEEEE10hipError_tPvRmT1_T2_T3_mT4_P12ihipStream_tbEUlT_E1_NS1_11comp_targetILNS1_3genE8ELNS1_11target_archE1030ELNS1_3gpuE2ELNS1_3repE0EEENS1_30default_config_static_selectorELNS0_4arch9wavefront6targetE1EEEvSM_,comdat
.Lfunc_end166:
	.size	_ZN7rocprim17ROCPRIM_400000_NS6detail17trampoline_kernelINS0_14default_configENS1_22reduce_config_selectorIlEEZNS1_11reduce_implILb1ES3_PlS7_lN6hipcub16HIPCUB_304000_NS6detail34convert_binary_result_type_wrapperINS9_3SumENS9_22TransformInputIteratorIb7NonZeroIiEPilEElEEEE10hipError_tPvRmT1_T2_T3_mT4_P12ihipStream_tbEUlT_E1_NS1_11comp_targetILNS1_3genE8ELNS1_11target_archE1030ELNS1_3gpuE2ELNS1_3repE0EEENS1_30default_config_static_selectorELNS0_4arch9wavefront6targetE1EEEvSM_, .Lfunc_end166-_ZN7rocprim17ROCPRIM_400000_NS6detail17trampoline_kernelINS0_14default_configENS1_22reduce_config_selectorIlEEZNS1_11reduce_implILb1ES3_PlS7_lN6hipcub16HIPCUB_304000_NS6detail34convert_binary_result_type_wrapperINS9_3SumENS9_22TransformInputIteratorIb7NonZeroIiEPilEElEEEE10hipError_tPvRmT1_T2_T3_mT4_P12ihipStream_tbEUlT_E1_NS1_11comp_targetILNS1_3genE8ELNS1_11target_archE1030ELNS1_3gpuE2ELNS1_3repE0EEENS1_30default_config_static_selectorELNS0_4arch9wavefront6targetE1EEEvSM_
                                        ; -- End function
	.set _ZN7rocprim17ROCPRIM_400000_NS6detail17trampoline_kernelINS0_14default_configENS1_22reduce_config_selectorIlEEZNS1_11reduce_implILb1ES3_PlS7_lN6hipcub16HIPCUB_304000_NS6detail34convert_binary_result_type_wrapperINS9_3SumENS9_22TransformInputIteratorIb7NonZeroIiEPilEElEEEE10hipError_tPvRmT1_T2_T3_mT4_P12ihipStream_tbEUlT_E1_NS1_11comp_targetILNS1_3genE8ELNS1_11target_archE1030ELNS1_3gpuE2ELNS1_3repE0EEENS1_30default_config_static_selectorELNS0_4arch9wavefront6targetE1EEEvSM_.num_vgpr, 0
	.set _ZN7rocprim17ROCPRIM_400000_NS6detail17trampoline_kernelINS0_14default_configENS1_22reduce_config_selectorIlEEZNS1_11reduce_implILb1ES3_PlS7_lN6hipcub16HIPCUB_304000_NS6detail34convert_binary_result_type_wrapperINS9_3SumENS9_22TransformInputIteratorIb7NonZeroIiEPilEElEEEE10hipError_tPvRmT1_T2_T3_mT4_P12ihipStream_tbEUlT_E1_NS1_11comp_targetILNS1_3genE8ELNS1_11target_archE1030ELNS1_3gpuE2ELNS1_3repE0EEENS1_30default_config_static_selectorELNS0_4arch9wavefront6targetE1EEEvSM_.num_agpr, 0
	.set _ZN7rocprim17ROCPRIM_400000_NS6detail17trampoline_kernelINS0_14default_configENS1_22reduce_config_selectorIlEEZNS1_11reduce_implILb1ES3_PlS7_lN6hipcub16HIPCUB_304000_NS6detail34convert_binary_result_type_wrapperINS9_3SumENS9_22TransformInputIteratorIb7NonZeroIiEPilEElEEEE10hipError_tPvRmT1_T2_T3_mT4_P12ihipStream_tbEUlT_E1_NS1_11comp_targetILNS1_3genE8ELNS1_11target_archE1030ELNS1_3gpuE2ELNS1_3repE0EEENS1_30default_config_static_selectorELNS0_4arch9wavefront6targetE1EEEvSM_.numbered_sgpr, 0
	.set _ZN7rocprim17ROCPRIM_400000_NS6detail17trampoline_kernelINS0_14default_configENS1_22reduce_config_selectorIlEEZNS1_11reduce_implILb1ES3_PlS7_lN6hipcub16HIPCUB_304000_NS6detail34convert_binary_result_type_wrapperINS9_3SumENS9_22TransformInputIteratorIb7NonZeroIiEPilEElEEEE10hipError_tPvRmT1_T2_T3_mT4_P12ihipStream_tbEUlT_E1_NS1_11comp_targetILNS1_3genE8ELNS1_11target_archE1030ELNS1_3gpuE2ELNS1_3repE0EEENS1_30default_config_static_selectorELNS0_4arch9wavefront6targetE1EEEvSM_.num_named_barrier, 0
	.set _ZN7rocprim17ROCPRIM_400000_NS6detail17trampoline_kernelINS0_14default_configENS1_22reduce_config_selectorIlEEZNS1_11reduce_implILb1ES3_PlS7_lN6hipcub16HIPCUB_304000_NS6detail34convert_binary_result_type_wrapperINS9_3SumENS9_22TransformInputIteratorIb7NonZeroIiEPilEElEEEE10hipError_tPvRmT1_T2_T3_mT4_P12ihipStream_tbEUlT_E1_NS1_11comp_targetILNS1_3genE8ELNS1_11target_archE1030ELNS1_3gpuE2ELNS1_3repE0EEENS1_30default_config_static_selectorELNS0_4arch9wavefront6targetE1EEEvSM_.private_seg_size, 0
	.set _ZN7rocprim17ROCPRIM_400000_NS6detail17trampoline_kernelINS0_14default_configENS1_22reduce_config_selectorIlEEZNS1_11reduce_implILb1ES3_PlS7_lN6hipcub16HIPCUB_304000_NS6detail34convert_binary_result_type_wrapperINS9_3SumENS9_22TransformInputIteratorIb7NonZeroIiEPilEElEEEE10hipError_tPvRmT1_T2_T3_mT4_P12ihipStream_tbEUlT_E1_NS1_11comp_targetILNS1_3genE8ELNS1_11target_archE1030ELNS1_3gpuE2ELNS1_3repE0EEENS1_30default_config_static_selectorELNS0_4arch9wavefront6targetE1EEEvSM_.uses_vcc, 0
	.set _ZN7rocprim17ROCPRIM_400000_NS6detail17trampoline_kernelINS0_14default_configENS1_22reduce_config_selectorIlEEZNS1_11reduce_implILb1ES3_PlS7_lN6hipcub16HIPCUB_304000_NS6detail34convert_binary_result_type_wrapperINS9_3SumENS9_22TransformInputIteratorIb7NonZeroIiEPilEElEEEE10hipError_tPvRmT1_T2_T3_mT4_P12ihipStream_tbEUlT_E1_NS1_11comp_targetILNS1_3genE8ELNS1_11target_archE1030ELNS1_3gpuE2ELNS1_3repE0EEENS1_30default_config_static_selectorELNS0_4arch9wavefront6targetE1EEEvSM_.uses_flat_scratch, 0
	.set _ZN7rocprim17ROCPRIM_400000_NS6detail17trampoline_kernelINS0_14default_configENS1_22reduce_config_selectorIlEEZNS1_11reduce_implILb1ES3_PlS7_lN6hipcub16HIPCUB_304000_NS6detail34convert_binary_result_type_wrapperINS9_3SumENS9_22TransformInputIteratorIb7NonZeroIiEPilEElEEEE10hipError_tPvRmT1_T2_T3_mT4_P12ihipStream_tbEUlT_E1_NS1_11comp_targetILNS1_3genE8ELNS1_11target_archE1030ELNS1_3gpuE2ELNS1_3repE0EEENS1_30default_config_static_selectorELNS0_4arch9wavefront6targetE1EEEvSM_.has_dyn_sized_stack, 0
	.set _ZN7rocprim17ROCPRIM_400000_NS6detail17trampoline_kernelINS0_14default_configENS1_22reduce_config_selectorIlEEZNS1_11reduce_implILb1ES3_PlS7_lN6hipcub16HIPCUB_304000_NS6detail34convert_binary_result_type_wrapperINS9_3SumENS9_22TransformInputIteratorIb7NonZeroIiEPilEElEEEE10hipError_tPvRmT1_T2_T3_mT4_P12ihipStream_tbEUlT_E1_NS1_11comp_targetILNS1_3genE8ELNS1_11target_archE1030ELNS1_3gpuE2ELNS1_3repE0EEENS1_30default_config_static_selectorELNS0_4arch9wavefront6targetE1EEEvSM_.has_recursion, 0
	.set _ZN7rocprim17ROCPRIM_400000_NS6detail17trampoline_kernelINS0_14default_configENS1_22reduce_config_selectorIlEEZNS1_11reduce_implILb1ES3_PlS7_lN6hipcub16HIPCUB_304000_NS6detail34convert_binary_result_type_wrapperINS9_3SumENS9_22TransformInputIteratorIb7NonZeroIiEPilEElEEEE10hipError_tPvRmT1_T2_T3_mT4_P12ihipStream_tbEUlT_E1_NS1_11comp_targetILNS1_3genE8ELNS1_11target_archE1030ELNS1_3gpuE2ELNS1_3repE0EEENS1_30default_config_static_selectorELNS0_4arch9wavefront6targetE1EEEvSM_.has_indirect_call, 0
	.section	.AMDGPU.csdata,"",@progbits
; Kernel info:
; codeLenInByte = 0
; TotalNumSgprs: 4
; NumVgprs: 0
; ScratchSize: 0
; MemoryBound: 0
; FloatMode: 240
; IeeeMode: 1
; LDSByteSize: 0 bytes/workgroup (compile time only)
; SGPRBlocks: 0
; VGPRBlocks: 0
; NumSGPRsForWavesPerEU: 4
; NumVGPRsForWavesPerEU: 1
; Occupancy: 10
; WaveLimiterHint : 0
; COMPUTE_PGM_RSRC2:SCRATCH_EN: 0
; COMPUTE_PGM_RSRC2:USER_SGPR: 6
; COMPUTE_PGM_RSRC2:TRAP_HANDLER: 0
; COMPUTE_PGM_RSRC2:TGID_X_EN: 1
; COMPUTE_PGM_RSRC2:TGID_Y_EN: 0
; COMPUTE_PGM_RSRC2:TGID_Z_EN: 0
; COMPUTE_PGM_RSRC2:TIDIG_COMP_CNT: 0
	.section	.text._ZN7rocprim17ROCPRIM_400000_NS6detail17trampoline_kernelINS0_14default_configENS1_22reduce_config_selectorIbEEZNS1_11reduce_implILb1ES3_N6hipcub16HIPCUB_304000_NS22TransformInputIteratorIb7NonZeroIiEPilEEPllNS8_6detail34convert_binary_result_type_wrapperINS8_3SumESD_lEEEE10hipError_tPvRmT1_T2_T3_mT4_P12ihipStream_tbEUlT_E0_NS1_11comp_targetILNS1_3genE0ELNS1_11target_archE4294967295ELNS1_3gpuE0ELNS1_3repE0EEENS1_30default_config_static_selectorELNS0_4arch9wavefront6targetE1EEEvSM_,"axG",@progbits,_ZN7rocprim17ROCPRIM_400000_NS6detail17trampoline_kernelINS0_14default_configENS1_22reduce_config_selectorIbEEZNS1_11reduce_implILb1ES3_N6hipcub16HIPCUB_304000_NS22TransformInputIteratorIb7NonZeroIiEPilEEPllNS8_6detail34convert_binary_result_type_wrapperINS8_3SumESD_lEEEE10hipError_tPvRmT1_T2_T3_mT4_P12ihipStream_tbEUlT_E0_NS1_11comp_targetILNS1_3genE0ELNS1_11target_archE4294967295ELNS1_3gpuE0ELNS1_3repE0EEENS1_30default_config_static_selectorELNS0_4arch9wavefront6targetE1EEEvSM_,comdat
	.protected	_ZN7rocprim17ROCPRIM_400000_NS6detail17trampoline_kernelINS0_14default_configENS1_22reduce_config_selectorIbEEZNS1_11reduce_implILb1ES3_N6hipcub16HIPCUB_304000_NS22TransformInputIteratorIb7NonZeroIiEPilEEPllNS8_6detail34convert_binary_result_type_wrapperINS8_3SumESD_lEEEE10hipError_tPvRmT1_T2_T3_mT4_P12ihipStream_tbEUlT_E0_NS1_11comp_targetILNS1_3genE0ELNS1_11target_archE4294967295ELNS1_3gpuE0ELNS1_3repE0EEENS1_30default_config_static_selectorELNS0_4arch9wavefront6targetE1EEEvSM_ ; -- Begin function _ZN7rocprim17ROCPRIM_400000_NS6detail17trampoline_kernelINS0_14default_configENS1_22reduce_config_selectorIbEEZNS1_11reduce_implILb1ES3_N6hipcub16HIPCUB_304000_NS22TransformInputIteratorIb7NonZeroIiEPilEEPllNS8_6detail34convert_binary_result_type_wrapperINS8_3SumESD_lEEEE10hipError_tPvRmT1_T2_T3_mT4_P12ihipStream_tbEUlT_E0_NS1_11comp_targetILNS1_3genE0ELNS1_11target_archE4294967295ELNS1_3gpuE0ELNS1_3repE0EEENS1_30default_config_static_selectorELNS0_4arch9wavefront6targetE1EEEvSM_
	.globl	_ZN7rocprim17ROCPRIM_400000_NS6detail17trampoline_kernelINS0_14default_configENS1_22reduce_config_selectorIbEEZNS1_11reduce_implILb1ES3_N6hipcub16HIPCUB_304000_NS22TransformInputIteratorIb7NonZeroIiEPilEEPllNS8_6detail34convert_binary_result_type_wrapperINS8_3SumESD_lEEEE10hipError_tPvRmT1_T2_T3_mT4_P12ihipStream_tbEUlT_E0_NS1_11comp_targetILNS1_3genE0ELNS1_11target_archE4294967295ELNS1_3gpuE0ELNS1_3repE0EEENS1_30default_config_static_selectorELNS0_4arch9wavefront6targetE1EEEvSM_
	.p2align	8
	.type	_ZN7rocprim17ROCPRIM_400000_NS6detail17trampoline_kernelINS0_14default_configENS1_22reduce_config_selectorIbEEZNS1_11reduce_implILb1ES3_N6hipcub16HIPCUB_304000_NS22TransformInputIteratorIb7NonZeroIiEPilEEPllNS8_6detail34convert_binary_result_type_wrapperINS8_3SumESD_lEEEE10hipError_tPvRmT1_T2_T3_mT4_P12ihipStream_tbEUlT_E0_NS1_11comp_targetILNS1_3genE0ELNS1_11target_archE4294967295ELNS1_3gpuE0ELNS1_3repE0EEENS1_30default_config_static_selectorELNS0_4arch9wavefront6targetE1EEEvSM_,@function
_ZN7rocprim17ROCPRIM_400000_NS6detail17trampoline_kernelINS0_14default_configENS1_22reduce_config_selectorIbEEZNS1_11reduce_implILb1ES3_N6hipcub16HIPCUB_304000_NS22TransformInputIteratorIb7NonZeroIiEPilEEPllNS8_6detail34convert_binary_result_type_wrapperINS8_3SumESD_lEEEE10hipError_tPvRmT1_T2_T3_mT4_P12ihipStream_tbEUlT_E0_NS1_11comp_targetILNS1_3genE0ELNS1_11target_archE4294967295ELNS1_3gpuE0ELNS1_3repE0EEENS1_30default_config_static_selectorELNS0_4arch9wavefront6targetE1EEEvSM_: ; @_ZN7rocprim17ROCPRIM_400000_NS6detail17trampoline_kernelINS0_14default_configENS1_22reduce_config_selectorIbEEZNS1_11reduce_implILb1ES3_N6hipcub16HIPCUB_304000_NS22TransformInputIteratorIb7NonZeroIiEPilEEPllNS8_6detail34convert_binary_result_type_wrapperINS8_3SumESD_lEEEE10hipError_tPvRmT1_T2_T3_mT4_P12ihipStream_tbEUlT_E0_NS1_11comp_targetILNS1_3genE0ELNS1_11target_archE4294967295ELNS1_3gpuE0ELNS1_3repE0EEENS1_30default_config_static_selectorELNS0_4arch9wavefront6targetE1EEEvSM_
; %bb.0:
	.section	.rodata,"a",@progbits
	.p2align	6, 0x0
	.amdhsa_kernel _ZN7rocprim17ROCPRIM_400000_NS6detail17trampoline_kernelINS0_14default_configENS1_22reduce_config_selectorIbEEZNS1_11reduce_implILb1ES3_N6hipcub16HIPCUB_304000_NS22TransformInputIteratorIb7NonZeroIiEPilEEPllNS8_6detail34convert_binary_result_type_wrapperINS8_3SumESD_lEEEE10hipError_tPvRmT1_T2_T3_mT4_P12ihipStream_tbEUlT_E0_NS1_11comp_targetILNS1_3genE0ELNS1_11target_archE4294967295ELNS1_3gpuE0ELNS1_3repE0EEENS1_30default_config_static_selectorELNS0_4arch9wavefront6targetE1EEEvSM_
		.amdhsa_group_segment_fixed_size 0
		.amdhsa_private_segment_fixed_size 0
		.amdhsa_kernarg_size 72
		.amdhsa_user_sgpr_count 6
		.amdhsa_user_sgpr_private_segment_buffer 1
		.amdhsa_user_sgpr_dispatch_ptr 0
		.amdhsa_user_sgpr_queue_ptr 0
		.amdhsa_user_sgpr_kernarg_segment_ptr 1
		.amdhsa_user_sgpr_dispatch_id 0
		.amdhsa_user_sgpr_flat_scratch_init 0
		.amdhsa_user_sgpr_private_segment_size 0
		.amdhsa_uses_dynamic_stack 0
		.amdhsa_system_sgpr_private_segment_wavefront_offset 0
		.amdhsa_system_sgpr_workgroup_id_x 1
		.amdhsa_system_sgpr_workgroup_id_y 0
		.amdhsa_system_sgpr_workgroup_id_z 0
		.amdhsa_system_sgpr_workgroup_info 0
		.amdhsa_system_vgpr_workitem_id 0
		.amdhsa_next_free_vgpr 1
		.amdhsa_next_free_sgpr 0
		.amdhsa_reserve_vcc 0
		.amdhsa_reserve_flat_scratch 0
		.amdhsa_float_round_mode_32 0
		.amdhsa_float_round_mode_16_64 0
		.amdhsa_float_denorm_mode_32 3
		.amdhsa_float_denorm_mode_16_64 3
		.amdhsa_dx10_clamp 1
		.amdhsa_ieee_mode 1
		.amdhsa_fp16_overflow 0
		.amdhsa_exception_fp_ieee_invalid_op 0
		.amdhsa_exception_fp_denorm_src 0
		.amdhsa_exception_fp_ieee_div_zero 0
		.amdhsa_exception_fp_ieee_overflow 0
		.amdhsa_exception_fp_ieee_underflow 0
		.amdhsa_exception_fp_ieee_inexact 0
		.amdhsa_exception_int_div_zero 0
	.end_amdhsa_kernel
	.section	.text._ZN7rocprim17ROCPRIM_400000_NS6detail17trampoline_kernelINS0_14default_configENS1_22reduce_config_selectorIbEEZNS1_11reduce_implILb1ES3_N6hipcub16HIPCUB_304000_NS22TransformInputIteratorIb7NonZeroIiEPilEEPllNS8_6detail34convert_binary_result_type_wrapperINS8_3SumESD_lEEEE10hipError_tPvRmT1_T2_T3_mT4_P12ihipStream_tbEUlT_E0_NS1_11comp_targetILNS1_3genE0ELNS1_11target_archE4294967295ELNS1_3gpuE0ELNS1_3repE0EEENS1_30default_config_static_selectorELNS0_4arch9wavefront6targetE1EEEvSM_,"axG",@progbits,_ZN7rocprim17ROCPRIM_400000_NS6detail17trampoline_kernelINS0_14default_configENS1_22reduce_config_selectorIbEEZNS1_11reduce_implILb1ES3_N6hipcub16HIPCUB_304000_NS22TransformInputIteratorIb7NonZeroIiEPilEEPllNS8_6detail34convert_binary_result_type_wrapperINS8_3SumESD_lEEEE10hipError_tPvRmT1_T2_T3_mT4_P12ihipStream_tbEUlT_E0_NS1_11comp_targetILNS1_3genE0ELNS1_11target_archE4294967295ELNS1_3gpuE0ELNS1_3repE0EEENS1_30default_config_static_selectorELNS0_4arch9wavefront6targetE1EEEvSM_,comdat
.Lfunc_end167:
	.size	_ZN7rocprim17ROCPRIM_400000_NS6detail17trampoline_kernelINS0_14default_configENS1_22reduce_config_selectorIbEEZNS1_11reduce_implILb1ES3_N6hipcub16HIPCUB_304000_NS22TransformInputIteratorIb7NonZeroIiEPilEEPllNS8_6detail34convert_binary_result_type_wrapperINS8_3SumESD_lEEEE10hipError_tPvRmT1_T2_T3_mT4_P12ihipStream_tbEUlT_E0_NS1_11comp_targetILNS1_3genE0ELNS1_11target_archE4294967295ELNS1_3gpuE0ELNS1_3repE0EEENS1_30default_config_static_selectorELNS0_4arch9wavefront6targetE1EEEvSM_, .Lfunc_end167-_ZN7rocprim17ROCPRIM_400000_NS6detail17trampoline_kernelINS0_14default_configENS1_22reduce_config_selectorIbEEZNS1_11reduce_implILb1ES3_N6hipcub16HIPCUB_304000_NS22TransformInputIteratorIb7NonZeroIiEPilEEPllNS8_6detail34convert_binary_result_type_wrapperINS8_3SumESD_lEEEE10hipError_tPvRmT1_T2_T3_mT4_P12ihipStream_tbEUlT_E0_NS1_11comp_targetILNS1_3genE0ELNS1_11target_archE4294967295ELNS1_3gpuE0ELNS1_3repE0EEENS1_30default_config_static_selectorELNS0_4arch9wavefront6targetE1EEEvSM_
                                        ; -- End function
	.set _ZN7rocprim17ROCPRIM_400000_NS6detail17trampoline_kernelINS0_14default_configENS1_22reduce_config_selectorIbEEZNS1_11reduce_implILb1ES3_N6hipcub16HIPCUB_304000_NS22TransformInputIteratorIb7NonZeroIiEPilEEPllNS8_6detail34convert_binary_result_type_wrapperINS8_3SumESD_lEEEE10hipError_tPvRmT1_T2_T3_mT4_P12ihipStream_tbEUlT_E0_NS1_11comp_targetILNS1_3genE0ELNS1_11target_archE4294967295ELNS1_3gpuE0ELNS1_3repE0EEENS1_30default_config_static_selectorELNS0_4arch9wavefront6targetE1EEEvSM_.num_vgpr, 0
	.set _ZN7rocprim17ROCPRIM_400000_NS6detail17trampoline_kernelINS0_14default_configENS1_22reduce_config_selectorIbEEZNS1_11reduce_implILb1ES3_N6hipcub16HIPCUB_304000_NS22TransformInputIteratorIb7NonZeroIiEPilEEPllNS8_6detail34convert_binary_result_type_wrapperINS8_3SumESD_lEEEE10hipError_tPvRmT1_T2_T3_mT4_P12ihipStream_tbEUlT_E0_NS1_11comp_targetILNS1_3genE0ELNS1_11target_archE4294967295ELNS1_3gpuE0ELNS1_3repE0EEENS1_30default_config_static_selectorELNS0_4arch9wavefront6targetE1EEEvSM_.num_agpr, 0
	.set _ZN7rocprim17ROCPRIM_400000_NS6detail17trampoline_kernelINS0_14default_configENS1_22reduce_config_selectorIbEEZNS1_11reduce_implILb1ES3_N6hipcub16HIPCUB_304000_NS22TransformInputIteratorIb7NonZeroIiEPilEEPllNS8_6detail34convert_binary_result_type_wrapperINS8_3SumESD_lEEEE10hipError_tPvRmT1_T2_T3_mT4_P12ihipStream_tbEUlT_E0_NS1_11comp_targetILNS1_3genE0ELNS1_11target_archE4294967295ELNS1_3gpuE0ELNS1_3repE0EEENS1_30default_config_static_selectorELNS0_4arch9wavefront6targetE1EEEvSM_.numbered_sgpr, 0
	.set _ZN7rocprim17ROCPRIM_400000_NS6detail17trampoline_kernelINS0_14default_configENS1_22reduce_config_selectorIbEEZNS1_11reduce_implILb1ES3_N6hipcub16HIPCUB_304000_NS22TransformInputIteratorIb7NonZeroIiEPilEEPllNS8_6detail34convert_binary_result_type_wrapperINS8_3SumESD_lEEEE10hipError_tPvRmT1_T2_T3_mT4_P12ihipStream_tbEUlT_E0_NS1_11comp_targetILNS1_3genE0ELNS1_11target_archE4294967295ELNS1_3gpuE0ELNS1_3repE0EEENS1_30default_config_static_selectorELNS0_4arch9wavefront6targetE1EEEvSM_.num_named_barrier, 0
	.set _ZN7rocprim17ROCPRIM_400000_NS6detail17trampoline_kernelINS0_14default_configENS1_22reduce_config_selectorIbEEZNS1_11reduce_implILb1ES3_N6hipcub16HIPCUB_304000_NS22TransformInputIteratorIb7NonZeroIiEPilEEPllNS8_6detail34convert_binary_result_type_wrapperINS8_3SumESD_lEEEE10hipError_tPvRmT1_T2_T3_mT4_P12ihipStream_tbEUlT_E0_NS1_11comp_targetILNS1_3genE0ELNS1_11target_archE4294967295ELNS1_3gpuE0ELNS1_3repE0EEENS1_30default_config_static_selectorELNS0_4arch9wavefront6targetE1EEEvSM_.private_seg_size, 0
	.set _ZN7rocprim17ROCPRIM_400000_NS6detail17trampoline_kernelINS0_14default_configENS1_22reduce_config_selectorIbEEZNS1_11reduce_implILb1ES3_N6hipcub16HIPCUB_304000_NS22TransformInputIteratorIb7NonZeroIiEPilEEPllNS8_6detail34convert_binary_result_type_wrapperINS8_3SumESD_lEEEE10hipError_tPvRmT1_T2_T3_mT4_P12ihipStream_tbEUlT_E0_NS1_11comp_targetILNS1_3genE0ELNS1_11target_archE4294967295ELNS1_3gpuE0ELNS1_3repE0EEENS1_30default_config_static_selectorELNS0_4arch9wavefront6targetE1EEEvSM_.uses_vcc, 0
	.set _ZN7rocprim17ROCPRIM_400000_NS6detail17trampoline_kernelINS0_14default_configENS1_22reduce_config_selectorIbEEZNS1_11reduce_implILb1ES3_N6hipcub16HIPCUB_304000_NS22TransformInputIteratorIb7NonZeroIiEPilEEPllNS8_6detail34convert_binary_result_type_wrapperINS8_3SumESD_lEEEE10hipError_tPvRmT1_T2_T3_mT4_P12ihipStream_tbEUlT_E0_NS1_11comp_targetILNS1_3genE0ELNS1_11target_archE4294967295ELNS1_3gpuE0ELNS1_3repE0EEENS1_30default_config_static_selectorELNS0_4arch9wavefront6targetE1EEEvSM_.uses_flat_scratch, 0
	.set _ZN7rocprim17ROCPRIM_400000_NS6detail17trampoline_kernelINS0_14default_configENS1_22reduce_config_selectorIbEEZNS1_11reduce_implILb1ES3_N6hipcub16HIPCUB_304000_NS22TransformInputIteratorIb7NonZeroIiEPilEEPllNS8_6detail34convert_binary_result_type_wrapperINS8_3SumESD_lEEEE10hipError_tPvRmT1_T2_T3_mT4_P12ihipStream_tbEUlT_E0_NS1_11comp_targetILNS1_3genE0ELNS1_11target_archE4294967295ELNS1_3gpuE0ELNS1_3repE0EEENS1_30default_config_static_selectorELNS0_4arch9wavefront6targetE1EEEvSM_.has_dyn_sized_stack, 0
	.set _ZN7rocprim17ROCPRIM_400000_NS6detail17trampoline_kernelINS0_14default_configENS1_22reduce_config_selectorIbEEZNS1_11reduce_implILb1ES3_N6hipcub16HIPCUB_304000_NS22TransformInputIteratorIb7NonZeroIiEPilEEPllNS8_6detail34convert_binary_result_type_wrapperINS8_3SumESD_lEEEE10hipError_tPvRmT1_T2_T3_mT4_P12ihipStream_tbEUlT_E0_NS1_11comp_targetILNS1_3genE0ELNS1_11target_archE4294967295ELNS1_3gpuE0ELNS1_3repE0EEENS1_30default_config_static_selectorELNS0_4arch9wavefront6targetE1EEEvSM_.has_recursion, 0
	.set _ZN7rocprim17ROCPRIM_400000_NS6detail17trampoline_kernelINS0_14default_configENS1_22reduce_config_selectorIbEEZNS1_11reduce_implILb1ES3_N6hipcub16HIPCUB_304000_NS22TransformInputIteratorIb7NonZeroIiEPilEEPllNS8_6detail34convert_binary_result_type_wrapperINS8_3SumESD_lEEEE10hipError_tPvRmT1_T2_T3_mT4_P12ihipStream_tbEUlT_E0_NS1_11comp_targetILNS1_3genE0ELNS1_11target_archE4294967295ELNS1_3gpuE0ELNS1_3repE0EEENS1_30default_config_static_selectorELNS0_4arch9wavefront6targetE1EEEvSM_.has_indirect_call, 0
	.section	.AMDGPU.csdata,"",@progbits
; Kernel info:
; codeLenInByte = 0
; TotalNumSgprs: 4
; NumVgprs: 0
; ScratchSize: 0
; MemoryBound: 0
; FloatMode: 240
; IeeeMode: 1
; LDSByteSize: 0 bytes/workgroup (compile time only)
; SGPRBlocks: 0
; VGPRBlocks: 0
; NumSGPRsForWavesPerEU: 4
; NumVGPRsForWavesPerEU: 1
; Occupancy: 10
; WaveLimiterHint : 0
; COMPUTE_PGM_RSRC2:SCRATCH_EN: 0
; COMPUTE_PGM_RSRC2:USER_SGPR: 6
; COMPUTE_PGM_RSRC2:TRAP_HANDLER: 0
; COMPUTE_PGM_RSRC2:TGID_X_EN: 1
; COMPUTE_PGM_RSRC2:TGID_Y_EN: 0
; COMPUTE_PGM_RSRC2:TGID_Z_EN: 0
; COMPUTE_PGM_RSRC2:TIDIG_COMP_CNT: 0
	.section	.text._ZN7rocprim17ROCPRIM_400000_NS6detail17trampoline_kernelINS0_14default_configENS1_22reduce_config_selectorIbEEZNS1_11reduce_implILb1ES3_N6hipcub16HIPCUB_304000_NS22TransformInputIteratorIb7NonZeroIiEPilEEPllNS8_6detail34convert_binary_result_type_wrapperINS8_3SumESD_lEEEE10hipError_tPvRmT1_T2_T3_mT4_P12ihipStream_tbEUlT_E0_NS1_11comp_targetILNS1_3genE5ELNS1_11target_archE942ELNS1_3gpuE9ELNS1_3repE0EEENS1_30default_config_static_selectorELNS0_4arch9wavefront6targetE1EEEvSM_,"axG",@progbits,_ZN7rocprim17ROCPRIM_400000_NS6detail17trampoline_kernelINS0_14default_configENS1_22reduce_config_selectorIbEEZNS1_11reduce_implILb1ES3_N6hipcub16HIPCUB_304000_NS22TransformInputIteratorIb7NonZeroIiEPilEEPllNS8_6detail34convert_binary_result_type_wrapperINS8_3SumESD_lEEEE10hipError_tPvRmT1_T2_T3_mT4_P12ihipStream_tbEUlT_E0_NS1_11comp_targetILNS1_3genE5ELNS1_11target_archE942ELNS1_3gpuE9ELNS1_3repE0EEENS1_30default_config_static_selectorELNS0_4arch9wavefront6targetE1EEEvSM_,comdat
	.protected	_ZN7rocprim17ROCPRIM_400000_NS6detail17trampoline_kernelINS0_14default_configENS1_22reduce_config_selectorIbEEZNS1_11reduce_implILb1ES3_N6hipcub16HIPCUB_304000_NS22TransformInputIteratorIb7NonZeroIiEPilEEPllNS8_6detail34convert_binary_result_type_wrapperINS8_3SumESD_lEEEE10hipError_tPvRmT1_T2_T3_mT4_P12ihipStream_tbEUlT_E0_NS1_11comp_targetILNS1_3genE5ELNS1_11target_archE942ELNS1_3gpuE9ELNS1_3repE0EEENS1_30default_config_static_selectorELNS0_4arch9wavefront6targetE1EEEvSM_ ; -- Begin function _ZN7rocprim17ROCPRIM_400000_NS6detail17trampoline_kernelINS0_14default_configENS1_22reduce_config_selectorIbEEZNS1_11reduce_implILb1ES3_N6hipcub16HIPCUB_304000_NS22TransformInputIteratorIb7NonZeroIiEPilEEPllNS8_6detail34convert_binary_result_type_wrapperINS8_3SumESD_lEEEE10hipError_tPvRmT1_T2_T3_mT4_P12ihipStream_tbEUlT_E0_NS1_11comp_targetILNS1_3genE5ELNS1_11target_archE942ELNS1_3gpuE9ELNS1_3repE0EEENS1_30default_config_static_selectorELNS0_4arch9wavefront6targetE1EEEvSM_
	.globl	_ZN7rocprim17ROCPRIM_400000_NS6detail17trampoline_kernelINS0_14default_configENS1_22reduce_config_selectorIbEEZNS1_11reduce_implILb1ES3_N6hipcub16HIPCUB_304000_NS22TransformInputIteratorIb7NonZeroIiEPilEEPllNS8_6detail34convert_binary_result_type_wrapperINS8_3SumESD_lEEEE10hipError_tPvRmT1_T2_T3_mT4_P12ihipStream_tbEUlT_E0_NS1_11comp_targetILNS1_3genE5ELNS1_11target_archE942ELNS1_3gpuE9ELNS1_3repE0EEENS1_30default_config_static_selectorELNS0_4arch9wavefront6targetE1EEEvSM_
	.p2align	8
	.type	_ZN7rocprim17ROCPRIM_400000_NS6detail17trampoline_kernelINS0_14default_configENS1_22reduce_config_selectorIbEEZNS1_11reduce_implILb1ES3_N6hipcub16HIPCUB_304000_NS22TransformInputIteratorIb7NonZeroIiEPilEEPllNS8_6detail34convert_binary_result_type_wrapperINS8_3SumESD_lEEEE10hipError_tPvRmT1_T2_T3_mT4_P12ihipStream_tbEUlT_E0_NS1_11comp_targetILNS1_3genE5ELNS1_11target_archE942ELNS1_3gpuE9ELNS1_3repE0EEENS1_30default_config_static_selectorELNS0_4arch9wavefront6targetE1EEEvSM_,@function
_ZN7rocprim17ROCPRIM_400000_NS6detail17trampoline_kernelINS0_14default_configENS1_22reduce_config_selectorIbEEZNS1_11reduce_implILb1ES3_N6hipcub16HIPCUB_304000_NS22TransformInputIteratorIb7NonZeroIiEPilEEPllNS8_6detail34convert_binary_result_type_wrapperINS8_3SumESD_lEEEE10hipError_tPvRmT1_T2_T3_mT4_P12ihipStream_tbEUlT_E0_NS1_11comp_targetILNS1_3genE5ELNS1_11target_archE942ELNS1_3gpuE9ELNS1_3repE0EEENS1_30default_config_static_selectorELNS0_4arch9wavefront6targetE1EEEvSM_: ; @_ZN7rocprim17ROCPRIM_400000_NS6detail17trampoline_kernelINS0_14default_configENS1_22reduce_config_selectorIbEEZNS1_11reduce_implILb1ES3_N6hipcub16HIPCUB_304000_NS22TransformInputIteratorIb7NonZeroIiEPilEEPllNS8_6detail34convert_binary_result_type_wrapperINS8_3SumESD_lEEEE10hipError_tPvRmT1_T2_T3_mT4_P12ihipStream_tbEUlT_E0_NS1_11comp_targetILNS1_3genE5ELNS1_11target_archE942ELNS1_3gpuE9ELNS1_3repE0EEENS1_30default_config_static_selectorELNS0_4arch9wavefront6targetE1EEEvSM_
; %bb.0:
	.section	.rodata,"a",@progbits
	.p2align	6, 0x0
	.amdhsa_kernel _ZN7rocprim17ROCPRIM_400000_NS6detail17trampoline_kernelINS0_14default_configENS1_22reduce_config_selectorIbEEZNS1_11reduce_implILb1ES3_N6hipcub16HIPCUB_304000_NS22TransformInputIteratorIb7NonZeroIiEPilEEPllNS8_6detail34convert_binary_result_type_wrapperINS8_3SumESD_lEEEE10hipError_tPvRmT1_T2_T3_mT4_P12ihipStream_tbEUlT_E0_NS1_11comp_targetILNS1_3genE5ELNS1_11target_archE942ELNS1_3gpuE9ELNS1_3repE0EEENS1_30default_config_static_selectorELNS0_4arch9wavefront6targetE1EEEvSM_
		.amdhsa_group_segment_fixed_size 0
		.amdhsa_private_segment_fixed_size 0
		.amdhsa_kernarg_size 72
		.amdhsa_user_sgpr_count 6
		.amdhsa_user_sgpr_private_segment_buffer 1
		.amdhsa_user_sgpr_dispatch_ptr 0
		.amdhsa_user_sgpr_queue_ptr 0
		.amdhsa_user_sgpr_kernarg_segment_ptr 1
		.amdhsa_user_sgpr_dispatch_id 0
		.amdhsa_user_sgpr_flat_scratch_init 0
		.amdhsa_user_sgpr_private_segment_size 0
		.amdhsa_uses_dynamic_stack 0
		.amdhsa_system_sgpr_private_segment_wavefront_offset 0
		.amdhsa_system_sgpr_workgroup_id_x 1
		.amdhsa_system_sgpr_workgroup_id_y 0
		.amdhsa_system_sgpr_workgroup_id_z 0
		.amdhsa_system_sgpr_workgroup_info 0
		.amdhsa_system_vgpr_workitem_id 0
		.amdhsa_next_free_vgpr 1
		.amdhsa_next_free_sgpr 0
		.amdhsa_reserve_vcc 0
		.amdhsa_reserve_flat_scratch 0
		.amdhsa_float_round_mode_32 0
		.amdhsa_float_round_mode_16_64 0
		.amdhsa_float_denorm_mode_32 3
		.amdhsa_float_denorm_mode_16_64 3
		.amdhsa_dx10_clamp 1
		.amdhsa_ieee_mode 1
		.amdhsa_fp16_overflow 0
		.amdhsa_exception_fp_ieee_invalid_op 0
		.amdhsa_exception_fp_denorm_src 0
		.amdhsa_exception_fp_ieee_div_zero 0
		.amdhsa_exception_fp_ieee_overflow 0
		.amdhsa_exception_fp_ieee_underflow 0
		.amdhsa_exception_fp_ieee_inexact 0
		.amdhsa_exception_int_div_zero 0
	.end_amdhsa_kernel
	.section	.text._ZN7rocprim17ROCPRIM_400000_NS6detail17trampoline_kernelINS0_14default_configENS1_22reduce_config_selectorIbEEZNS1_11reduce_implILb1ES3_N6hipcub16HIPCUB_304000_NS22TransformInputIteratorIb7NonZeroIiEPilEEPllNS8_6detail34convert_binary_result_type_wrapperINS8_3SumESD_lEEEE10hipError_tPvRmT1_T2_T3_mT4_P12ihipStream_tbEUlT_E0_NS1_11comp_targetILNS1_3genE5ELNS1_11target_archE942ELNS1_3gpuE9ELNS1_3repE0EEENS1_30default_config_static_selectorELNS0_4arch9wavefront6targetE1EEEvSM_,"axG",@progbits,_ZN7rocprim17ROCPRIM_400000_NS6detail17trampoline_kernelINS0_14default_configENS1_22reduce_config_selectorIbEEZNS1_11reduce_implILb1ES3_N6hipcub16HIPCUB_304000_NS22TransformInputIteratorIb7NonZeroIiEPilEEPllNS8_6detail34convert_binary_result_type_wrapperINS8_3SumESD_lEEEE10hipError_tPvRmT1_T2_T3_mT4_P12ihipStream_tbEUlT_E0_NS1_11comp_targetILNS1_3genE5ELNS1_11target_archE942ELNS1_3gpuE9ELNS1_3repE0EEENS1_30default_config_static_selectorELNS0_4arch9wavefront6targetE1EEEvSM_,comdat
.Lfunc_end168:
	.size	_ZN7rocprim17ROCPRIM_400000_NS6detail17trampoline_kernelINS0_14default_configENS1_22reduce_config_selectorIbEEZNS1_11reduce_implILb1ES3_N6hipcub16HIPCUB_304000_NS22TransformInputIteratorIb7NonZeroIiEPilEEPllNS8_6detail34convert_binary_result_type_wrapperINS8_3SumESD_lEEEE10hipError_tPvRmT1_T2_T3_mT4_P12ihipStream_tbEUlT_E0_NS1_11comp_targetILNS1_3genE5ELNS1_11target_archE942ELNS1_3gpuE9ELNS1_3repE0EEENS1_30default_config_static_selectorELNS0_4arch9wavefront6targetE1EEEvSM_, .Lfunc_end168-_ZN7rocprim17ROCPRIM_400000_NS6detail17trampoline_kernelINS0_14default_configENS1_22reduce_config_selectorIbEEZNS1_11reduce_implILb1ES3_N6hipcub16HIPCUB_304000_NS22TransformInputIteratorIb7NonZeroIiEPilEEPllNS8_6detail34convert_binary_result_type_wrapperINS8_3SumESD_lEEEE10hipError_tPvRmT1_T2_T3_mT4_P12ihipStream_tbEUlT_E0_NS1_11comp_targetILNS1_3genE5ELNS1_11target_archE942ELNS1_3gpuE9ELNS1_3repE0EEENS1_30default_config_static_selectorELNS0_4arch9wavefront6targetE1EEEvSM_
                                        ; -- End function
	.set _ZN7rocprim17ROCPRIM_400000_NS6detail17trampoline_kernelINS0_14default_configENS1_22reduce_config_selectorIbEEZNS1_11reduce_implILb1ES3_N6hipcub16HIPCUB_304000_NS22TransformInputIteratorIb7NonZeroIiEPilEEPllNS8_6detail34convert_binary_result_type_wrapperINS8_3SumESD_lEEEE10hipError_tPvRmT1_T2_T3_mT4_P12ihipStream_tbEUlT_E0_NS1_11comp_targetILNS1_3genE5ELNS1_11target_archE942ELNS1_3gpuE9ELNS1_3repE0EEENS1_30default_config_static_selectorELNS0_4arch9wavefront6targetE1EEEvSM_.num_vgpr, 0
	.set _ZN7rocprim17ROCPRIM_400000_NS6detail17trampoline_kernelINS0_14default_configENS1_22reduce_config_selectorIbEEZNS1_11reduce_implILb1ES3_N6hipcub16HIPCUB_304000_NS22TransformInputIteratorIb7NonZeroIiEPilEEPllNS8_6detail34convert_binary_result_type_wrapperINS8_3SumESD_lEEEE10hipError_tPvRmT1_T2_T3_mT4_P12ihipStream_tbEUlT_E0_NS1_11comp_targetILNS1_3genE5ELNS1_11target_archE942ELNS1_3gpuE9ELNS1_3repE0EEENS1_30default_config_static_selectorELNS0_4arch9wavefront6targetE1EEEvSM_.num_agpr, 0
	.set _ZN7rocprim17ROCPRIM_400000_NS6detail17trampoline_kernelINS0_14default_configENS1_22reduce_config_selectorIbEEZNS1_11reduce_implILb1ES3_N6hipcub16HIPCUB_304000_NS22TransformInputIteratorIb7NonZeroIiEPilEEPllNS8_6detail34convert_binary_result_type_wrapperINS8_3SumESD_lEEEE10hipError_tPvRmT1_T2_T3_mT4_P12ihipStream_tbEUlT_E0_NS1_11comp_targetILNS1_3genE5ELNS1_11target_archE942ELNS1_3gpuE9ELNS1_3repE0EEENS1_30default_config_static_selectorELNS0_4arch9wavefront6targetE1EEEvSM_.numbered_sgpr, 0
	.set _ZN7rocprim17ROCPRIM_400000_NS6detail17trampoline_kernelINS0_14default_configENS1_22reduce_config_selectorIbEEZNS1_11reduce_implILb1ES3_N6hipcub16HIPCUB_304000_NS22TransformInputIteratorIb7NonZeroIiEPilEEPllNS8_6detail34convert_binary_result_type_wrapperINS8_3SumESD_lEEEE10hipError_tPvRmT1_T2_T3_mT4_P12ihipStream_tbEUlT_E0_NS1_11comp_targetILNS1_3genE5ELNS1_11target_archE942ELNS1_3gpuE9ELNS1_3repE0EEENS1_30default_config_static_selectorELNS0_4arch9wavefront6targetE1EEEvSM_.num_named_barrier, 0
	.set _ZN7rocprim17ROCPRIM_400000_NS6detail17trampoline_kernelINS0_14default_configENS1_22reduce_config_selectorIbEEZNS1_11reduce_implILb1ES3_N6hipcub16HIPCUB_304000_NS22TransformInputIteratorIb7NonZeroIiEPilEEPllNS8_6detail34convert_binary_result_type_wrapperINS8_3SumESD_lEEEE10hipError_tPvRmT1_T2_T3_mT4_P12ihipStream_tbEUlT_E0_NS1_11comp_targetILNS1_3genE5ELNS1_11target_archE942ELNS1_3gpuE9ELNS1_3repE0EEENS1_30default_config_static_selectorELNS0_4arch9wavefront6targetE1EEEvSM_.private_seg_size, 0
	.set _ZN7rocprim17ROCPRIM_400000_NS6detail17trampoline_kernelINS0_14default_configENS1_22reduce_config_selectorIbEEZNS1_11reduce_implILb1ES3_N6hipcub16HIPCUB_304000_NS22TransformInputIteratorIb7NonZeroIiEPilEEPllNS8_6detail34convert_binary_result_type_wrapperINS8_3SumESD_lEEEE10hipError_tPvRmT1_T2_T3_mT4_P12ihipStream_tbEUlT_E0_NS1_11comp_targetILNS1_3genE5ELNS1_11target_archE942ELNS1_3gpuE9ELNS1_3repE0EEENS1_30default_config_static_selectorELNS0_4arch9wavefront6targetE1EEEvSM_.uses_vcc, 0
	.set _ZN7rocprim17ROCPRIM_400000_NS6detail17trampoline_kernelINS0_14default_configENS1_22reduce_config_selectorIbEEZNS1_11reduce_implILb1ES3_N6hipcub16HIPCUB_304000_NS22TransformInputIteratorIb7NonZeroIiEPilEEPllNS8_6detail34convert_binary_result_type_wrapperINS8_3SumESD_lEEEE10hipError_tPvRmT1_T2_T3_mT4_P12ihipStream_tbEUlT_E0_NS1_11comp_targetILNS1_3genE5ELNS1_11target_archE942ELNS1_3gpuE9ELNS1_3repE0EEENS1_30default_config_static_selectorELNS0_4arch9wavefront6targetE1EEEvSM_.uses_flat_scratch, 0
	.set _ZN7rocprim17ROCPRIM_400000_NS6detail17trampoline_kernelINS0_14default_configENS1_22reduce_config_selectorIbEEZNS1_11reduce_implILb1ES3_N6hipcub16HIPCUB_304000_NS22TransformInputIteratorIb7NonZeroIiEPilEEPllNS8_6detail34convert_binary_result_type_wrapperINS8_3SumESD_lEEEE10hipError_tPvRmT1_T2_T3_mT4_P12ihipStream_tbEUlT_E0_NS1_11comp_targetILNS1_3genE5ELNS1_11target_archE942ELNS1_3gpuE9ELNS1_3repE0EEENS1_30default_config_static_selectorELNS0_4arch9wavefront6targetE1EEEvSM_.has_dyn_sized_stack, 0
	.set _ZN7rocprim17ROCPRIM_400000_NS6detail17trampoline_kernelINS0_14default_configENS1_22reduce_config_selectorIbEEZNS1_11reduce_implILb1ES3_N6hipcub16HIPCUB_304000_NS22TransformInputIteratorIb7NonZeroIiEPilEEPllNS8_6detail34convert_binary_result_type_wrapperINS8_3SumESD_lEEEE10hipError_tPvRmT1_T2_T3_mT4_P12ihipStream_tbEUlT_E0_NS1_11comp_targetILNS1_3genE5ELNS1_11target_archE942ELNS1_3gpuE9ELNS1_3repE0EEENS1_30default_config_static_selectorELNS0_4arch9wavefront6targetE1EEEvSM_.has_recursion, 0
	.set _ZN7rocprim17ROCPRIM_400000_NS6detail17trampoline_kernelINS0_14default_configENS1_22reduce_config_selectorIbEEZNS1_11reduce_implILb1ES3_N6hipcub16HIPCUB_304000_NS22TransformInputIteratorIb7NonZeroIiEPilEEPllNS8_6detail34convert_binary_result_type_wrapperINS8_3SumESD_lEEEE10hipError_tPvRmT1_T2_T3_mT4_P12ihipStream_tbEUlT_E0_NS1_11comp_targetILNS1_3genE5ELNS1_11target_archE942ELNS1_3gpuE9ELNS1_3repE0EEENS1_30default_config_static_selectorELNS0_4arch9wavefront6targetE1EEEvSM_.has_indirect_call, 0
	.section	.AMDGPU.csdata,"",@progbits
; Kernel info:
; codeLenInByte = 0
; TotalNumSgprs: 4
; NumVgprs: 0
; ScratchSize: 0
; MemoryBound: 0
; FloatMode: 240
; IeeeMode: 1
; LDSByteSize: 0 bytes/workgroup (compile time only)
; SGPRBlocks: 0
; VGPRBlocks: 0
; NumSGPRsForWavesPerEU: 4
; NumVGPRsForWavesPerEU: 1
; Occupancy: 10
; WaveLimiterHint : 0
; COMPUTE_PGM_RSRC2:SCRATCH_EN: 0
; COMPUTE_PGM_RSRC2:USER_SGPR: 6
; COMPUTE_PGM_RSRC2:TRAP_HANDLER: 0
; COMPUTE_PGM_RSRC2:TGID_X_EN: 1
; COMPUTE_PGM_RSRC2:TGID_Y_EN: 0
; COMPUTE_PGM_RSRC2:TGID_Z_EN: 0
; COMPUTE_PGM_RSRC2:TIDIG_COMP_CNT: 0
	.section	.text._ZN7rocprim17ROCPRIM_400000_NS6detail17trampoline_kernelINS0_14default_configENS1_22reduce_config_selectorIbEEZNS1_11reduce_implILb1ES3_N6hipcub16HIPCUB_304000_NS22TransformInputIteratorIb7NonZeroIiEPilEEPllNS8_6detail34convert_binary_result_type_wrapperINS8_3SumESD_lEEEE10hipError_tPvRmT1_T2_T3_mT4_P12ihipStream_tbEUlT_E0_NS1_11comp_targetILNS1_3genE4ELNS1_11target_archE910ELNS1_3gpuE8ELNS1_3repE0EEENS1_30default_config_static_selectorELNS0_4arch9wavefront6targetE1EEEvSM_,"axG",@progbits,_ZN7rocprim17ROCPRIM_400000_NS6detail17trampoline_kernelINS0_14default_configENS1_22reduce_config_selectorIbEEZNS1_11reduce_implILb1ES3_N6hipcub16HIPCUB_304000_NS22TransformInputIteratorIb7NonZeroIiEPilEEPllNS8_6detail34convert_binary_result_type_wrapperINS8_3SumESD_lEEEE10hipError_tPvRmT1_T2_T3_mT4_P12ihipStream_tbEUlT_E0_NS1_11comp_targetILNS1_3genE4ELNS1_11target_archE910ELNS1_3gpuE8ELNS1_3repE0EEENS1_30default_config_static_selectorELNS0_4arch9wavefront6targetE1EEEvSM_,comdat
	.protected	_ZN7rocprim17ROCPRIM_400000_NS6detail17trampoline_kernelINS0_14default_configENS1_22reduce_config_selectorIbEEZNS1_11reduce_implILb1ES3_N6hipcub16HIPCUB_304000_NS22TransformInputIteratorIb7NonZeroIiEPilEEPllNS8_6detail34convert_binary_result_type_wrapperINS8_3SumESD_lEEEE10hipError_tPvRmT1_T2_T3_mT4_P12ihipStream_tbEUlT_E0_NS1_11comp_targetILNS1_3genE4ELNS1_11target_archE910ELNS1_3gpuE8ELNS1_3repE0EEENS1_30default_config_static_selectorELNS0_4arch9wavefront6targetE1EEEvSM_ ; -- Begin function _ZN7rocprim17ROCPRIM_400000_NS6detail17trampoline_kernelINS0_14default_configENS1_22reduce_config_selectorIbEEZNS1_11reduce_implILb1ES3_N6hipcub16HIPCUB_304000_NS22TransformInputIteratorIb7NonZeroIiEPilEEPllNS8_6detail34convert_binary_result_type_wrapperINS8_3SumESD_lEEEE10hipError_tPvRmT1_T2_T3_mT4_P12ihipStream_tbEUlT_E0_NS1_11comp_targetILNS1_3genE4ELNS1_11target_archE910ELNS1_3gpuE8ELNS1_3repE0EEENS1_30default_config_static_selectorELNS0_4arch9wavefront6targetE1EEEvSM_
	.globl	_ZN7rocprim17ROCPRIM_400000_NS6detail17trampoline_kernelINS0_14default_configENS1_22reduce_config_selectorIbEEZNS1_11reduce_implILb1ES3_N6hipcub16HIPCUB_304000_NS22TransformInputIteratorIb7NonZeroIiEPilEEPllNS8_6detail34convert_binary_result_type_wrapperINS8_3SumESD_lEEEE10hipError_tPvRmT1_T2_T3_mT4_P12ihipStream_tbEUlT_E0_NS1_11comp_targetILNS1_3genE4ELNS1_11target_archE910ELNS1_3gpuE8ELNS1_3repE0EEENS1_30default_config_static_selectorELNS0_4arch9wavefront6targetE1EEEvSM_
	.p2align	8
	.type	_ZN7rocprim17ROCPRIM_400000_NS6detail17trampoline_kernelINS0_14default_configENS1_22reduce_config_selectorIbEEZNS1_11reduce_implILb1ES3_N6hipcub16HIPCUB_304000_NS22TransformInputIteratorIb7NonZeroIiEPilEEPllNS8_6detail34convert_binary_result_type_wrapperINS8_3SumESD_lEEEE10hipError_tPvRmT1_T2_T3_mT4_P12ihipStream_tbEUlT_E0_NS1_11comp_targetILNS1_3genE4ELNS1_11target_archE910ELNS1_3gpuE8ELNS1_3repE0EEENS1_30default_config_static_selectorELNS0_4arch9wavefront6targetE1EEEvSM_,@function
_ZN7rocprim17ROCPRIM_400000_NS6detail17trampoline_kernelINS0_14default_configENS1_22reduce_config_selectorIbEEZNS1_11reduce_implILb1ES3_N6hipcub16HIPCUB_304000_NS22TransformInputIteratorIb7NonZeroIiEPilEEPllNS8_6detail34convert_binary_result_type_wrapperINS8_3SumESD_lEEEE10hipError_tPvRmT1_T2_T3_mT4_P12ihipStream_tbEUlT_E0_NS1_11comp_targetILNS1_3genE4ELNS1_11target_archE910ELNS1_3gpuE8ELNS1_3repE0EEENS1_30default_config_static_selectorELNS0_4arch9wavefront6targetE1EEEvSM_: ; @_ZN7rocprim17ROCPRIM_400000_NS6detail17trampoline_kernelINS0_14default_configENS1_22reduce_config_selectorIbEEZNS1_11reduce_implILb1ES3_N6hipcub16HIPCUB_304000_NS22TransformInputIteratorIb7NonZeroIiEPilEEPllNS8_6detail34convert_binary_result_type_wrapperINS8_3SumESD_lEEEE10hipError_tPvRmT1_T2_T3_mT4_P12ihipStream_tbEUlT_E0_NS1_11comp_targetILNS1_3genE4ELNS1_11target_archE910ELNS1_3gpuE8ELNS1_3repE0EEENS1_30default_config_static_selectorELNS0_4arch9wavefront6targetE1EEEvSM_
; %bb.0:
	.section	.rodata,"a",@progbits
	.p2align	6, 0x0
	.amdhsa_kernel _ZN7rocprim17ROCPRIM_400000_NS6detail17trampoline_kernelINS0_14default_configENS1_22reduce_config_selectorIbEEZNS1_11reduce_implILb1ES3_N6hipcub16HIPCUB_304000_NS22TransformInputIteratorIb7NonZeroIiEPilEEPllNS8_6detail34convert_binary_result_type_wrapperINS8_3SumESD_lEEEE10hipError_tPvRmT1_T2_T3_mT4_P12ihipStream_tbEUlT_E0_NS1_11comp_targetILNS1_3genE4ELNS1_11target_archE910ELNS1_3gpuE8ELNS1_3repE0EEENS1_30default_config_static_selectorELNS0_4arch9wavefront6targetE1EEEvSM_
		.amdhsa_group_segment_fixed_size 0
		.amdhsa_private_segment_fixed_size 0
		.amdhsa_kernarg_size 72
		.amdhsa_user_sgpr_count 6
		.amdhsa_user_sgpr_private_segment_buffer 1
		.amdhsa_user_sgpr_dispatch_ptr 0
		.amdhsa_user_sgpr_queue_ptr 0
		.amdhsa_user_sgpr_kernarg_segment_ptr 1
		.amdhsa_user_sgpr_dispatch_id 0
		.amdhsa_user_sgpr_flat_scratch_init 0
		.amdhsa_user_sgpr_private_segment_size 0
		.amdhsa_uses_dynamic_stack 0
		.amdhsa_system_sgpr_private_segment_wavefront_offset 0
		.amdhsa_system_sgpr_workgroup_id_x 1
		.amdhsa_system_sgpr_workgroup_id_y 0
		.amdhsa_system_sgpr_workgroup_id_z 0
		.amdhsa_system_sgpr_workgroup_info 0
		.amdhsa_system_vgpr_workitem_id 0
		.amdhsa_next_free_vgpr 1
		.amdhsa_next_free_sgpr 0
		.amdhsa_reserve_vcc 0
		.amdhsa_reserve_flat_scratch 0
		.amdhsa_float_round_mode_32 0
		.amdhsa_float_round_mode_16_64 0
		.amdhsa_float_denorm_mode_32 3
		.amdhsa_float_denorm_mode_16_64 3
		.amdhsa_dx10_clamp 1
		.amdhsa_ieee_mode 1
		.amdhsa_fp16_overflow 0
		.amdhsa_exception_fp_ieee_invalid_op 0
		.amdhsa_exception_fp_denorm_src 0
		.amdhsa_exception_fp_ieee_div_zero 0
		.amdhsa_exception_fp_ieee_overflow 0
		.amdhsa_exception_fp_ieee_underflow 0
		.amdhsa_exception_fp_ieee_inexact 0
		.amdhsa_exception_int_div_zero 0
	.end_amdhsa_kernel
	.section	.text._ZN7rocprim17ROCPRIM_400000_NS6detail17trampoline_kernelINS0_14default_configENS1_22reduce_config_selectorIbEEZNS1_11reduce_implILb1ES3_N6hipcub16HIPCUB_304000_NS22TransformInputIteratorIb7NonZeroIiEPilEEPllNS8_6detail34convert_binary_result_type_wrapperINS8_3SumESD_lEEEE10hipError_tPvRmT1_T2_T3_mT4_P12ihipStream_tbEUlT_E0_NS1_11comp_targetILNS1_3genE4ELNS1_11target_archE910ELNS1_3gpuE8ELNS1_3repE0EEENS1_30default_config_static_selectorELNS0_4arch9wavefront6targetE1EEEvSM_,"axG",@progbits,_ZN7rocprim17ROCPRIM_400000_NS6detail17trampoline_kernelINS0_14default_configENS1_22reduce_config_selectorIbEEZNS1_11reduce_implILb1ES3_N6hipcub16HIPCUB_304000_NS22TransformInputIteratorIb7NonZeroIiEPilEEPllNS8_6detail34convert_binary_result_type_wrapperINS8_3SumESD_lEEEE10hipError_tPvRmT1_T2_T3_mT4_P12ihipStream_tbEUlT_E0_NS1_11comp_targetILNS1_3genE4ELNS1_11target_archE910ELNS1_3gpuE8ELNS1_3repE0EEENS1_30default_config_static_selectorELNS0_4arch9wavefront6targetE1EEEvSM_,comdat
.Lfunc_end169:
	.size	_ZN7rocprim17ROCPRIM_400000_NS6detail17trampoline_kernelINS0_14default_configENS1_22reduce_config_selectorIbEEZNS1_11reduce_implILb1ES3_N6hipcub16HIPCUB_304000_NS22TransformInputIteratorIb7NonZeroIiEPilEEPllNS8_6detail34convert_binary_result_type_wrapperINS8_3SumESD_lEEEE10hipError_tPvRmT1_T2_T3_mT4_P12ihipStream_tbEUlT_E0_NS1_11comp_targetILNS1_3genE4ELNS1_11target_archE910ELNS1_3gpuE8ELNS1_3repE0EEENS1_30default_config_static_selectorELNS0_4arch9wavefront6targetE1EEEvSM_, .Lfunc_end169-_ZN7rocprim17ROCPRIM_400000_NS6detail17trampoline_kernelINS0_14default_configENS1_22reduce_config_selectorIbEEZNS1_11reduce_implILb1ES3_N6hipcub16HIPCUB_304000_NS22TransformInputIteratorIb7NonZeroIiEPilEEPllNS8_6detail34convert_binary_result_type_wrapperINS8_3SumESD_lEEEE10hipError_tPvRmT1_T2_T3_mT4_P12ihipStream_tbEUlT_E0_NS1_11comp_targetILNS1_3genE4ELNS1_11target_archE910ELNS1_3gpuE8ELNS1_3repE0EEENS1_30default_config_static_selectorELNS0_4arch9wavefront6targetE1EEEvSM_
                                        ; -- End function
	.set _ZN7rocprim17ROCPRIM_400000_NS6detail17trampoline_kernelINS0_14default_configENS1_22reduce_config_selectorIbEEZNS1_11reduce_implILb1ES3_N6hipcub16HIPCUB_304000_NS22TransformInputIteratorIb7NonZeroIiEPilEEPllNS8_6detail34convert_binary_result_type_wrapperINS8_3SumESD_lEEEE10hipError_tPvRmT1_T2_T3_mT4_P12ihipStream_tbEUlT_E0_NS1_11comp_targetILNS1_3genE4ELNS1_11target_archE910ELNS1_3gpuE8ELNS1_3repE0EEENS1_30default_config_static_selectorELNS0_4arch9wavefront6targetE1EEEvSM_.num_vgpr, 0
	.set _ZN7rocprim17ROCPRIM_400000_NS6detail17trampoline_kernelINS0_14default_configENS1_22reduce_config_selectorIbEEZNS1_11reduce_implILb1ES3_N6hipcub16HIPCUB_304000_NS22TransformInputIteratorIb7NonZeroIiEPilEEPllNS8_6detail34convert_binary_result_type_wrapperINS8_3SumESD_lEEEE10hipError_tPvRmT1_T2_T3_mT4_P12ihipStream_tbEUlT_E0_NS1_11comp_targetILNS1_3genE4ELNS1_11target_archE910ELNS1_3gpuE8ELNS1_3repE0EEENS1_30default_config_static_selectorELNS0_4arch9wavefront6targetE1EEEvSM_.num_agpr, 0
	.set _ZN7rocprim17ROCPRIM_400000_NS6detail17trampoline_kernelINS0_14default_configENS1_22reduce_config_selectorIbEEZNS1_11reduce_implILb1ES3_N6hipcub16HIPCUB_304000_NS22TransformInputIteratorIb7NonZeroIiEPilEEPllNS8_6detail34convert_binary_result_type_wrapperINS8_3SumESD_lEEEE10hipError_tPvRmT1_T2_T3_mT4_P12ihipStream_tbEUlT_E0_NS1_11comp_targetILNS1_3genE4ELNS1_11target_archE910ELNS1_3gpuE8ELNS1_3repE0EEENS1_30default_config_static_selectorELNS0_4arch9wavefront6targetE1EEEvSM_.numbered_sgpr, 0
	.set _ZN7rocprim17ROCPRIM_400000_NS6detail17trampoline_kernelINS0_14default_configENS1_22reduce_config_selectorIbEEZNS1_11reduce_implILb1ES3_N6hipcub16HIPCUB_304000_NS22TransformInputIteratorIb7NonZeroIiEPilEEPllNS8_6detail34convert_binary_result_type_wrapperINS8_3SumESD_lEEEE10hipError_tPvRmT1_T2_T3_mT4_P12ihipStream_tbEUlT_E0_NS1_11comp_targetILNS1_3genE4ELNS1_11target_archE910ELNS1_3gpuE8ELNS1_3repE0EEENS1_30default_config_static_selectorELNS0_4arch9wavefront6targetE1EEEvSM_.num_named_barrier, 0
	.set _ZN7rocprim17ROCPRIM_400000_NS6detail17trampoline_kernelINS0_14default_configENS1_22reduce_config_selectorIbEEZNS1_11reduce_implILb1ES3_N6hipcub16HIPCUB_304000_NS22TransformInputIteratorIb7NonZeroIiEPilEEPllNS8_6detail34convert_binary_result_type_wrapperINS8_3SumESD_lEEEE10hipError_tPvRmT1_T2_T3_mT4_P12ihipStream_tbEUlT_E0_NS1_11comp_targetILNS1_3genE4ELNS1_11target_archE910ELNS1_3gpuE8ELNS1_3repE0EEENS1_30default_config_static_selectorELNS0_4arch9wavefront6targetE1EEEvSM_.private_seg_size, 0
	.set _ZN7rocprim17ROCPRIM_400000_NS6detail17trampoline_kernelINS0_14default_configENS1_22reduce_config_selectorIbEEZNS1_11reduce_implILb1ES3_N6hipcub16HIPCUB_304000_NS22TransformInputIteratorIb7NonZeroIiEPilEEPllNS8_6detail34convert_binary_result_type_wrapperINS8_3SumESD_lEEEE10hipError_tPvRmT1_T2_T3_mT4_P12ihipStream_tbEUlT_E0_NS1_11comp_targetILNS1_3genE4ELNS1_11target_archE910ELNS1_3gpuE8ELNS1_3repE0EEENS1_30default_config_static_selectorELNS0_4arch9wavefront6targetE1EEEvSM_.uses_vcc, 0
	.set _ZN7rocprim17ROCPRIM_400000_NS6detail17trampoline_kernelINS0_14default_configENS1_22reduce_config_selectorIbEEZNS1_11reduce_implILb1ES3_N6hipcub16HIPCUB_304000_NS22TransformInputIteratorIb7NonZeroIiEPilEEPllNS8_6detail34convert_binary_result_type_wrapperINS8_3SumESD_lEEEE10hipError_tPvRmT1_T2_T3_mT4_P12ihipStream_tbEUlT_E0_NS1_11comp_targetILNS1_3genE4ELNS1_11target_archE910ELNS1_3gpuE8ELNS1_3repE0EEENS1_30default_config_static_selectorELNS0_4arch9wavefront6targetE1EEEvSM_.uses_flat_scratch, 0
	.set _ZN7rocprim17ROCPRIM_400000_NS6detail17trampoline_kernelINS0_14default_configENS1_22reduce_config_selectorIbEEZNS1_11reduce_implILb1ES3_N6hipcub16HIPCUB_304000_NS22TransformInputIteratorIb7NonZeroIiEPilEEPllNS8_6detail34convert_binary_result_type_wrapperINS8_3SumESD_lEEEE10hipError_tPvRmT1_T2_T3_mT4_P12ihipStream_tbEUlT_E0_NS1_11comp_targetILNS1_3genE4ELNS1_11target_archE910ELNS1_3gpuE8ELNS1_3repE0EEENS1_30default_config_static_selectorELNS0_4arch9wavefront6targetE1EEEvSM_.has_dyn_sized_stack, 0
	.set _ZN7rocprim17ROCPRIM_400000_NS6detail17trampoline_kernelINS0_14default_configENS1_22reduce_config_selectorIbEEZNS1_11reduce_implILb1ES3_N6hipcub16HIPCUB_304000_NS22TransformInputIteratorIb7NonZeroIiEPilEEPllNS8_6detail34convert_binary_result_type_wrapperINS8_3SumESD_lEEEE10hipError_tPvRmT1_T2_T3_mT4_P12ihipStream_tbEUlT_E0_NS1_11comp_targetILNS1_3genE4ELNS1_11target_archE910ELNS1_3gpuE8ELNS1_3repE0EEENS1_30default_config_static_selectorELNS0_4arch9wavefront6targetE1EEEvSM_.has_recursion, 0
	.set _ZN7rocprim17ROCPRIM_400000_NS6detail17trampoline_kernelINS0_14default_configENS1_22reduce_config_selectorIbEEZNS1_11reduce_implILb1ES3_N6hipcub16HIPCUB_304000_NS22TransformInputIteratorIb7NonZeroIiEPilEEPllNS8_6detail34convert_binary_result_type_wrapperINS8_3SumESD_lEEEE10hipError_tPvRmT1_T2_T3_mT4_P12ihipStream_tbEUlT_E0_NS1_11comp_targetILNS1_3genE4ELNS1_11target_archE910ELNS1_3gpuE8ELNS1_3repE0EEENS1_30default_config_static_selectorELNS0_4arch9wavefront6targetE1EEEvSM_.has_indirect_call, 0
	.section	.AMDGPU.csdata,"",@progbits
; Kernel info:
; codeLenInByte = 0
; TotalNumSgprs: 4
; NumVgprs: 0
; ScratchSize: 0
; MemoryBound: 0
; FloatMode: 240
; IeeeMode: 1
; LDSByteSize: 0 bytes/workgroup (compile time only)
; SGPRBlocks: 0
; VGPRBlocks: 0
; NumSGPRsForWavesPerEU: 4
; NumVGPRsForWavesPerEU: 1
; Occupancy: 10
; WaveLimiterHint : 0
; COMPUTE_PGM_RSRC2:SCRATCH_EN: 0
; COMPUTE_PGM_RSRC2:USER_SGPR: 6
; COMPUTE_PGM_RSRC2:TRAP_HANDLER: 0
; COMPUTE_PGM_RSRC2:TGID_X_EN: 1
; COMPUTE_PGM_RSRC2:TGID_Y_EN: 0
; COMPUTE_PGM_RSRC2:TGID_Z_EN: 0
; COMPUTE_PGM_RSRC2:TIDIG_COMP_CNT: 0
	.section	.text._ZN7rocprim17ROCPRIM_400000_NS6detail17trampoline_kernelINS0_14default_configENS1_22reduce_config_selectorIbEEZNS1_11reduce_implILb1ES3_N6hipcub16HIPCUB_304000_NS22TransformInputIteratorIb7NonZeroIiEPilEEPllNS8_6detail34convert_binary_result_type_wrapperINS8_3SumESD_lEEEE10hipError_tPvRmT1_T2_T3_mT4_P12ihipStream_tbEUlT_E0_NS1_11comp_targetILNS1_3genE3ELNS1_11target_archE908ELNS1_3gpuE7ELNS1_3repE0EEENS1_30default_config_static_selectorELNS0_4arch9wavefront6targetE1EEEvSM_,"axG",@progbits,_ZN7rocprim17ROCPRIM_400000_NS6detail17trampoline_kernelINS0_14default_configENS1_22reduce_config_selectorIbEEZNS1_11reduce_implILb1ES3_N6hipcub16HIPCUB_304000_NS22TransformInputIteratorIb7NonZeroIiEPilEEPllNS8_6detail34convert_binary_result_type_wrapperINS8_3SumESD_lEEEE10hipError_tPvRmT1_T2_T3_mT4_P12ihipStream_tbEUlT_E0_NS1_11comp_targetILNS1_3genE3ELNS1_11target_archE908ELNS1_3gpuE7ELNS1_3repE0EEENS1_30default_config_static_selectorELNS0_4arch9wavefront6targetE1EEEvSM_,comdat
	.protected	_ZN7rocprim17ROCPRIM_400000_NS6detail17trampoline_kernelINS0_14default_configENS1_22reduce_config_selectorIbEEZNS1_11reduce_implILb1ES3_N6hipcub16HIPCUB_304000_NS22TransformInputIteratorIb7NonZeroIiEPilEEPllNS8_6detail34convert_binary_result_type_wrapperINS8_3SumESD_lEEEE10hipError_tPvRmT1_T2_T3_mT4_P12ihipStream_tbEUlT_E0_NS1_11comp_targetILNS1_3genE3ELNS1_11target_archE908ELNS1_3gpuE7ELNS1_3repE0EEENS1_30default_config_static_selectorELNS0_4arch9wavefront6targetE1EEEvSM_ ; -- Begin function _ZN7rocprim17ROCPRIM_400000_NS6detail17trampoline_kernelINS0_14default_configENS1_22reduce_config_selectorIbEEZNS1_11reduce_implILb1ES3_N6hipcub16HIPCUB_304000_NS22TransformInputIteratorIb7NonZeroIiEPilEEPllNS8_6detail34convert_binary_result_type_wrapperINS8_3SumESD_lEEEE10hipError_tPvRmT1_T2_T3_mT4_P12ihipStream_tbEUlT_E0_NS1_11comp_targetILNS1_3genE3ELNS1_11target_archE908ELNS1_3gpuE7ELNS1_3repE0EEENS1_30default_config_static_selectorELNS0_4arch9wavefront6targetE1EEEvSM_
	.globl	_ZN7rocprim17ROCPRIM_400000_NS6detail17trampoline_kernelINS0_14default_configENS1_22reduce_config_selectorIbEEZNS1_11reduce_implILb1ES3_N6hipcub16HIPCUB_304000_NS22TransformInputIteratorIb7NonZeroIiEPilEEPllNS8_6detail34convert_binary_result_type_wrapperINS8_3SumESD_lEEEE10hipError_tPvRmT1_T2_T3_mT4_P12ihipStream_tbEUlT_E0_NS1_11comp_targetILNS1_3genE3ELNS1_11target_archE908ELNS1_3gpuE7ELNS1_3repE0EEENS1_30default_config_static_selectorELNS0_4arch9wavefront6targetE1EEEvSM_
	.p2align	8
	.type	_ZN7rocprim17ROCPRIM_400000_NS6detail17trampoline_kernelINS0_14default_configENS1_22reduce_config_selectorIbEEZNS1_11reduce_implILb1ES3_N6hipcub16HIPCUB_304000_NS22TransformInputIteratorIb7NonZeroIiEPilEEPllNS8_6detail34convert_binary_result_type_wrapperINS8_3SumESD_lEEEE10hipError_tPvRmT1_T2_T3_mT4_P12ihipStream_tbEUlT_E0_NS1_11comp_targetILNS1_3genE3ELNS1_11target_archE908ELNS1_3gpuE7ELNS1_3repE0EEENS1_30default_config_static_selectorELNS0_4arch9wavefront6targetE1EEEvSM_,@function
_ZN7rocprim17ROCPRIM_400000_NS6detail17trampoline_kernelINS0_14default_configENS1_22reduce_config_selectorIbEEZNS1_11reduce_implILb1ES3_N6hipcub16HIPCUB_304000_NS22TransformInputIteratorIb7NonZeroIiEPilEEPllNS8_6detail34convert_binary_result_type_wrapperINS8_3SumESD_lEEEE10hipError_tPvRmT1_T2_T3_mT4_P12ihipStream_tbEUlT_E0_NS1_11comp_targetILNS1_3genE3ELNS1_11target_archE908ELNS1_3gpuE7ELNS1_3repE0EEENS1_30default_config_static_selectorELNS0_4arch9wavefront6targetE1EEEvSM_: ; @_ZN7rocprim17ROCPRIM_400000_NS6detail17trampoline_kernelINS0_14default_configENS1_22reduce_config_selectorIbEEZNS1_11reduce_implILb1ES3_N6hipcub16HIPCUB_304000_NS22TransformInputIteratorIb7NonZeroIiEPilEEPllNS8_6detail34convert_binary_result_type_wrapperINS8_3SumESD_lEEEE10hipError_tPvRmT1_T2_T3_mT4_P12ihipStream_tbEUlT_E0_NS1_11comp_targetILNS1_3genE3ELNS1_11target_archE908ELNS1_3gpuE7ELNS1_3repE0EEENS1_30default_config_static_selectorELNS0_4arch9wavefront6targetE1EEEvSM_
; %bb.0:
	.section	.rodata,"a",@progbits
	.p2align	6, 0x0
	.amdhsa_kernel _ZN7rocprim17ROCPRIM_400000_NS6detail17trampoline_kernelINS0_14default_configENS1_22reduce_config_selectorIbEEZNS1_11reduce_implILb1ES3_N6hipcub16HIPCUB_304000_NS22TransformInputIteratorIb7NonZeroIiEPilEEPllNS8_6detail34convert_binary_result_type_wrapperINS8_3SumESD_lEEEE10hipError_tPvRmT1_T2_T3_mT4_P12ihipStream_tbEUlT_E0_NS1_11comp_targetILNS1_3genE3ELNS1_11target_archE908ELNS1_3gpuE7ELNS1_3repE0EEENS1_30default_config_static_selectorELNS0_4arch9wavefront6targetE1EEEvSM_
		.amdhsa_group_segment_fixed_size 0
		.amdhsa_private_segment_fixed_size 0
		.amdhsa_kernarg_size 72
		.amdhsa_user_sgpr_count 6
		.amdhsa_user_sgpr_private_segment_buffer 1
		.amdhsa_user_sgpr_dispatch_ptr 0
		.amdhsa_user_sgpr_queue_ptr 0
		.amdhsa_user_sgpr_kernarg_segment_ptr 1
		.amdhsa_user_sgpr_dispatch_id 0
		.amdhsa_user_sgpr_flat_scratch_init 0
		.amdhsa_user_sgpr_private_segment_size 0
		.amdhsa_uses_dynamic_stack 0
		.amdhsa_system_sgpr_private_segment_wavefront_offset 0
		.amdhsa_system_sgpr_workgroup_id_x 1
		.amdhsa_system_sgpr_workgroup_id_y 0
		.amdhsa_system_sgpr_workgroup_id_z 0
		.amdhsa_system_sgpr_workgroup_info 0
		.amdhsa_system_vgpr_workitem_id 0
		.amdhsa_next_free_vgpr 1
		.amdhsa_next_free_sgpr 0
		.amdhsa_reserve_vcc 0
		.amdhsa_reserve_flat_scratch 0
		.amdhsa_float_round_mode_32 0
		.amdhsa_float_round_mode_16_64 0
		.amdhsa_float_denorm_mode_32 3
		.amdhsa_float_denorm_mode_16_64 3
		.amdhsa_dx10_clamp 1
		.amdhsa_ieee_mode 1
		.amdhsa_fp16_overflow 0
		.amdhsa_exception_fp_ieee_invalid_op 0
		.amdhsa_exception_fp_denorm_src 0
		.amdhsa_exception_fp_ieee_div_zero 0
		.amdhsa_exception_fp_ieee_overflow 0
		.amdhsa_exception_fp_ieee_underflow 0
		.amdhsa_exception_fp_ieee_inexact 0
		.amdhsa_exception_int_div_zero 0
	.end_amdhsa_kernel
	.section	.text._ZN7rocprim17ROCPRIM_400000_NS6detail17trampoline_kernelINS0_14default_configENS1_22reduce_config_selectorIbEEZNS1_11reduce_implILb1ES3_N6hipcub16HIPCUB_304000_NS22TransformInputIteratorIb7NonZeroIiEPilEEPllNS8_6detail34convert_binary_result_type_wrapperINS8_3SumESD_lEEEE10hipError_tPvRmT1_T2_T3_mT4_P12ihipStream_tbEUlT_E0_NS1_11comp_targetILNS1_3genE3ELNS1_11target_archE908ELNS1_3gpuE7ELNS1_3repE0EEENS1_30default_config_static_selectorELNS0_4arch9wavefront6targetE1EEEvSM_,"axG",@progbits,_ZN7rocprim17ROCPRIM_400000_NS6detail17trampoline_kernelINS0_14default_configENS1_22reduce_config_selectorIbEEZNS1_11reduce_implILb1ES3_N6hipcub16HIPCUB_304000_NS22TransformInputIteratorIb7NonZeroIiEPilEEPllNS8_6detail34convert_binary_result_type_wrapperINS8_3SumESD_lEEEE10hipError_tPvRmT1_T2_T3_mT4_P12ihipStream_tbEUlT_E0_NS1_11comp_targetILNS1_3genE3ELNS1_11target_archE908ELNS1_3gpuE7ELNS1_3repE0EEENS1_30default_config_static_selectorELNS0_4arch9wavefront6targetE1EEEvSM_,comdat
.Lfunc_end170:
	.size	_ZN7rocprim17ROCPRIM_400000_NS6detail17trampoline_kernelINS0_14default_configENS1_22reduce_config_selectorIbEEZNS1_11reduce_implILb1ES3_N6hipcub16HIPCUB_304000_NS22TransformInputIteratorIb7NonZeroIiEPilEEPllNS8_6detail34convert_binary_result_type_wrapperINS8_3SumESD_lEEEE10hipError_tPvRmT1_T2_T3_mT4_P12ihipStream_tbEUlT_E0_NS1_11comp_targetILNS1_3genE3ELNS1_11target_archE908ELNS1_3gpuE7ELNS1_3repE0EEENS1_30default_config_static_selectorELNS0_4arch9wavefront6targetE1EEEvSM_, .Lfunc_end170-_ZN7rocprim17ROCPRIM_400000_NS6detail17trampoline_kernelINS0_14default_configENS1_22reduce_config_selectorIbEEZNS1_11reduce_implILb1ES3_N6hipcub16HIPCUB_304000_NS22TransformInputIteratorIb7NonZeroIiEPilEEPllNS8_6detail34convert_binary_result_type_wrapperINS8_3SumESD_lEEEE10hipError_tPvRmT1_T2_T3_mT4_P12ihipStream_tbEUlT_E0_NS1_11comp_targetILNS1_3genE3ELNS1_11target_archE908ELNS1_3gpuE7ELNS1_3repE0EEENS1_30default_config_static_selectorELNS0_4arch9wavefront6targetE1EEEvSM_
                                        ; -- End function
	.set _ZN7rocprim17ROCPRIM_400000_NS6detail17trampoline_kernelINS0_14default_configENS1_22reduce_config_selectorIbEEZNS1_11reduce_implILb1ES3_N6hipcub16HIPCUB_304000_NS22TransformInputIteratorIb7NonZeroIiEPilEEPllNS8_6detail34convert_binary_result_type_wrapperINS8_3SumESD_lEEEE10hipError_tPvRmT1_T2_T3_mT4_P12ihipStream_tbEUlT_E0_NS1_11comp_targetILNS1_3genE3ELNS1_11target_archE908ELNS1_3gpuE7ELNS1_3repE0EEENS1_30default_config_static_selectorELNS0_4arch9wavefront6targetE1EEEvSM_.num_vgpr, 0
	.set _ZN7rocprim17ROCPRIM_400000_NS6detail17trampoline_kernelINS0_14default_configENS1_22reduce_config_selectorIbEEZNS1_11reduce_implILb1ES3_N6hipcub16HIPCUB_304000_NS22TransformInputIteratorIb7NonZeroIiEPilEEPllNS8_6detail34convert_binary_result_type_wrapperINS8_3SumESD_lEEEE10hipError_tPvRmT1_T2_T3_mT4_P12ihipStream_tbEUlT_E0_NS1_11comp_targetILNS1_3genE3ELNS1_11target_archE908ELNS1_3gpuE7ELNS1_3repE0EEENS1_30default_config_static_selectorELNS0_4arch9wavefront6targetE1EEEvSM_.num_agpr, 0
	.set _ZN7rocprim17ROCPRIM_400000_NS6detail17trampoline_kernelINS0_14default_configENS1_22reduce_config_selectorIbEEZNS1_11reduce_implILb1ES3_N6hipcub16HIPCUB_304000_NS22TransformInputIteratorIb7NonZeroIiEPilEEPllNS8_6detail34convert_binary_result_type_wrapperINS8_3SumESD_lEEEE10hipError_tPvRmT1_T2_T3_mT4_P12ihipStream_tbEUlT_E0_NS1_11comp_targetILNS1_3genE3ELNS1_11target_archE908ELNS1_3gpuE7ELNS1_3repE0EEENS1_30default_config_static_selectorELNS0_4arch9wavefront6targetE1EEEvSM_.numbered_sgpr, 0
	.set _ZN7rocprim17ROCPRIM_400000_NS6detail17trampoline_kernelINS0_14default_configENS1_22reduce_config_selectorIbEEZNS1_11reduce_implILb1ES3_N6hipcub16HIPCUB_304000_NS22TransformInputIteratorIb7NonZeroIiEPilEEPllNS8_6detail34convert_binary_result_type_wrapperINS8_3SumESD_lEEEE10hipError_tPvRmT1_T2_T3_mT4_P12ihipStream_tbEUlT_E0_NS1_11comp_targetILNS1_3genE3ELNS1_11target_archE908ELNS1_3gpuE7ELNS1_3repE0EEENS1_30default_config_static_selectorELNS0_4arch9wavefront6targetE1EEEvSM_.num_named_barrier, 0
	.set _ZN7rocprim17ROCPRIM_400000_NS6detail17trampoline_kernelINS0_14default_configENS1_22reduce_config_selectorIbEEZNS1_11reduce_implILb1ES3_N6hipcub16HIPCUB_304000_NS22TransformInputIteratorIb7NonZeroIiEPilEEPllNS8_6detail34convert_binary_result_type_wrapperINS8_3SumESD_lEEEE10hipError_tPvRmT1_T2_T3_mT4_P12ihipStream_tbEUlT_E0_NS1_11comp_targetILNS1_3genE3ELNS1_11target_archE908ELNS1_3gpuE7ELNS1_3repE0EEENS1_30default_config_static_selectorELNS0_4arch9wavefront6targetE1EEEvSM_.private_seg_size, 0
	.set _ZN7rocprim17ROCPRIM_400000_NS6detail17trampoline_kernelINS0_14default_configENS1_22reduce_config_selectorIbEEZNS1_11reduce_implILb1ES3_N6hipcub16HIPCUB_304000_NS22TransformInputIteratorIb7NonZeroIiEPilEEPllNS8_6detail34convert_binary_result_type_wrapperINS8_3SumESD_lEEEE10hipError_tPvRmT1_T2_T3_mT4_P12ihipStream_tbEUlT_E0_NS1_11comp_targetILNS1_3genE3ELNS1_11target_archE908ELNS1_3gpuE7ELNS1_3repE0EEENS1_30default_config_static_selectorELNS0_4arch9wavefront6targetE1EEEvSM_.uses_vcc, 0
	.set _ZN7rocprim17ROCPRIM_400000_NS6detail17trampoline_kernelINS0_14default_configENS1_22reduce_config_selectorIbEEZNS1_11reduce_implILb1ES3_N6hipcub16HIPCUB_304000_NS22TransformInputIteratorIb7NonZeroIiEPilEEPllNS8_6detail34convert_binary_result_type_wrapperINS8_3SumESD_lEEEE10hipError_tPvRmT1_T2_T3_mT4_P12ihipStream_tbEUlT_E0_NS1_11comp_targetILNS1_3genE3ELNS1_11target_archE908ELNS1_3gpuE7ELNS1_3repE0EEENS1_30default_config_static_selectorELNS0_4arch9wavefront6targetE1EEEvSM_.uses_flat_scratch, 0
	.set _ZN7rocprim17ROCPRIM_400000_NS6detail17trampoline_kernelINS0_14default_configENS1_22reduce_config_selectorIbEEZNS1_11reduce_implILb1ES3_N6hipcub16HIPCUB_304000_NS22TransformInputIteratorIb7NonZeroIiEPilEEPllNS8_6detail34convert_binary_result_type_wrapperINS8_3SumESD_lEEEE10hipError_tPvRmT1_T2_T3_mT4_P12ihipStream_tbEUlT_E0_NS1_11comp_targetILNS1_3genE3ELNS1_11target_archE908ELNS1_3gpuE7ELNS1_3repE0EEENS1_30default_config_static_selectorELNS0_4arch9wavefront6targetE1EEEvSM_.has_dyn_sized_stack, 0
	.set _ZN7rocprim17ROCPRIM_400000_NS6detail17trampoline_kernelINS0_14default_configENS1_22reduce_config_selectorIbEEZNS1_11reduce_implILb1ES3_N6hipcub16HIPCUB_304000_NS22TransformInputIteratorIb7NonZeroIiEPilEEPllNS8_6detail34convert_binary_result_type_wrapperINS8_3SumESD_lEEEE10hipError_tPvRmT1_T2_T3_mT4_P12ihipStream_tbEUlT_E0_NS1_11comp_targetILNS1_3genE3ELNS1_11target_archE908ELNS1_3gpuE7ELNS1_3repE0EEENS1_30default_config_static_selectorELNS0_4arch9wavefront6targetE1EEEvSM_.has_recursion, 0
	.set _ZN7rocprim17ROCPRIM_400000_NS6detail17trampoline_kernelINS0_14default_configENS1_22reduce_config_selectorIbEEZNS1_11reduce_implILb1ES3_N6hipcub16HIPCUB_304000_NS22TransformInputIteratorIb7NonZeroIiEPilEEPllNS8_6detail34convert_binary_result_type_wrapperINS8_3SumESD_lEEEE10hipError_tPvRmT1_T2_T3_mT4_P12ihipStream_tbEUlT_E0_NS1_11comp_targetILNS1_3genE3ELNS1_11target_archE908ELNS1_3gpuE7ELNS1_3repE0EEENS1_30default_config_static_selectorELNS0_4arch9wavefront6targetE1EEEvSM_.has_indirect_call, 0
	.section	.AMDGPU.csdata,"",@progbits
; Kernel info:
; codeLenInByte = 0
; TotalNumSgprs: 4
; NumVgprs: 0
; ScratchSize: 0
; MemoryBound: 0
; FloatMode: 240
; IeeeMode: 1
; LDSByteSize: 0 bytes/workgroup (compile time only)
; SGPRBlocks: 0
; VGPRBlocks: 0
; NumSGPRsForWavesPerEU: 4
; NumVGPRsForWavesPerEU: 1
; Occupancy: 10
; WaveLimiterHint : 0
; COMPUTE_PGM_RSRC2:SCRATCH_EN: 0
; COMPUTE_PGM_RSRC2:USER_SGPR: 6
; COMPUTE_PGM_RSRC2:TRAP_HANDLER: 0
; COMPUTE_PGM_RSRC2:TGID_X_EN: 1
; COMPUTE_PGM_RSRC2:TGID_Y_EN: 0
; COMPUTE_PGM_RSRC2:TGID_Z_EN: 0
; COMPUTE_PGM_RSRC2:TIDIG_COMP_CNT: 0
	.section	.text._ZN7rocprim17ROCPRIM_400000_NS6detail17trampoline_kernelINS0_14default_configENS1_22reduce_config_selectorIbEEZNS1_11reduce_implILb1ES3_N6hipcub16HIPCUB_304000_NS22TransformInputIteratorIb7NonZeroIiEPilEEPllNS8_6detail34convert_binary_result_type_wrapperINS8_3SumESD_lEEEE10hipError_tPvRmT1_T2_T3_mT4_P12ihipStream_tbEUlT_E0_NS1_11comp_targetILNS1_3genE2ELNS1_11target_archE906ELNS1_3gpuE6ELNS1_3repE0EEENS1_30default_config_static_selectorELNS0_4arch9wavefront6targetE1EEEvSM_,"axG",@progbits,_ZN7rocprim17ROCPRIM_400000_NS6detail17trampoline_kernelINS0_14default_configENS1_22reduce_config_selectorIbEEZNS1_11reduce_implILb1ES3_N6hipcub16HIPCUB_304000_NS22TransformInputIteratorIb7NonZeroIiEPilEEPllNS8_6detail34convert_binary_result_type_wrapperINS8_3SumESD_lEEEE10hipError_tPvRmT1_T2_T3_mT4_P12ihipStream_tbEUlT_E0_NS1_11comp_targetILNS1_3genE2ELNS1_11target_archE906ELNS1_3gpuE6ELNS1_3repE0EEENS1_30default_config_static_selectorELNS0_4arch9wavefront6targetE1EEEvSM_,comdat
	.protected	_ZN7rocprim17ROCPRIM_400000_NS6detail17trampoline_kernelINS0_14default_configENS1_22reduce_config_selectorIbEEZNS1_11reduce_implILb1ES3_N6hipcub16HIPCUB_304000_NS22TransformInputIteratorIb7NonZeroIiEPilEEPllNS8_6detail34convert_binary_result_type_wrapperINS8_3SumESD_lEEEE10hipError_tPvRmT1_T2_T3_mT4_P12ihipStream_tbEUlT_E0_NS1_11comp_targetILNS1_3genE2ELNS1_11target_archE906ELNS1_3gpuE6ELNS1_3repE0EEENS1_30default_config_static_selectorELNS0_4arch9wavefront6targetE1EEEvSM_ ; -- Begin function _ZN7rocprim17ROCPRIM_400000_NS6detail17trampoline_kernelINS0_14default_configENS1_22reduce_config_selectorIbEEZNS1_11reduce_implILb1ES3_N6hipcub16HIPCUB_304000_NS22TransformInputIteratorIb7NonZeroIiEPilEEPllNS8_6detail34convert_binary_result_type_wrapperINS8_3SumESD_lEEEE10hipError_tPvRmT1_T2_T3_mT4_P12ihipStream_tbEUlT_E0_NS1_11comp_targetILNS1_3genE2ELNS1_11target_archE906ELNS1_3gpuE6ELNS1_3repE0EEENS1_30default_config_static_selectorELNS0_4arch9wavefront6targetE1EEEvSM_
	.globl	_ZN7rocprim17ROCPRIM_400000_NS6detail17trampoline_kernelINS0_14default_configENS1_22reduce_config_selectorIbEEZNS1_11reduce_implILb1ES3_N6hipcub16HIPCUB_304000_NS22TransformInputIteratorIb7NonZeroIiEPilEEPllNS8_6detail34convert_binary_result_type_wrapperINS8_3SumESD_lEEEE10hipError_tPvRmT1_T2_T3_mT4_P12ihipStream_tbEUlT_E0_NS1_11comp_targetILNS1_3genE2ELNS1_11target_archE906ELNS1_3gpuE6ELNS1_3repE0EEENS1_30default_config_static_selectorELNS0_4arch9wavefront6targetE1EEEvSM_
	.p2align	8
	.type	_ZN7rocprim17ROCPRIM_400000_NS6detail17trampoline_kernelINS0_14default_configENS1_22reduce_config_selectorIbEEZNS1_11reduce_implILb1ES3_N6hipcub16HIPCUB_304000_NS22TransformInputIteratorIb7NonZeroIiEPilEEPllNS8_6detail34convert_binary_result_type_wrapperINS8_3SumESD_lEEEE10hipError_tPvRmT1_T2_T3_mT4_P12ihipStream_tbEUlT_E0_NS1_11comp_targetILNS1_3genE2ELNS1_11target_archE906ELNS1_3gpuE6ELNS1_3repE0EEENS1_30default_config_static_selectorELNS0_4arch9wavefront6targetE1EEEvSM_,@function
_ZN7rocprim17ROCPRIM_400000_NS6detail17trampoline_kernelINS0_14default_configENS1_22reduce_config_selectorIbEEZNS1_11reduce_implILb1ES3_N6hipcub16HIPCUB_304000_NS22TransformInputIteratorIb7NonZeroIiEPilEEPllNS8_6detail34convert_binary_result_type_wrapperINS8_3SumESD_lEEEE10hipError_tPvRmT1_T2_T3_mT4_P12ihipStream_tbEUlT_E0_NS1_11comp_targetILNS1_3genE2ELNS1_11target_archE906ELNS1_3gpuE6ELNS1_3repE0EEENS1_30default_config_static_selectorELNS0_4arch9wavefront6targetE1EEEvSM_: ; @_ZN7rocprim17ROCPRIM_400000_NS6detail17trampoline_kernelINS0_14default_configENS1_22reduce_config_selectorIbEEZNS1_11reduce_implILb1ES3_N6hipcub16HIPCUB_304000_NS22TransformInputIteratorIb7NonZeroIiEPilEEPllNS8_6detail34convert_binary_result_type_wrapperINS8_3SumESD_lEEEE10hipError_tPvRmT1_T2_T3_mT4_P12ihipStream_tbEUlT_E0_NS1_11comp_targetILNS1_3genE2ELNS1_11target_archE906ELNS1_3gpuE6ELNS1_3repE0EEENS1_30default_config_static_selectorELNS0_4arch9wavefront6targetE1EEEvSM_
; %bb.0:
	s_load_dwordx8 s[8:15], s[4:5], 0x10
	s_load_dwordx2 s[16:17], s[4:5], 0x0
	s_load_dwordx4 s[0:3], s[4:5], 0x30
	v_lshlrev_b32_e32 v19, 2, v0
	v_mbcnt_lo_u32_b32 v33, -1, 0
	s_waitcnt lgkmcnt(0)
	s_lshl_b64 s[4:5], s[8:9], 2
	s_add_u32 s18, s16, s4
	s_addc_u32 s19, s17, s5
	s_lshl_b32 s8, s6, 11
	s_mov_b32 s9, 0
	s_lshr_b64 s[16:17], s[10:11], 11
	s_lshl_b64 s[4:5], s[8:9], 2
	s_add_u32 s4, s18, s4
	s_mov_b32 s7, s9
	s_addc_u32 s5, s19, s5
	s_cmp_lg_u64 s[16:17], s[6:7]
	s_cbranch_scc0 .LBB171_6
; %bb.1:
	global_load_dword v3, v19, s[4:5] offset:1536
	global_load_dword v4, v19, s[4:5] offset:2048
	;; [unrolled: 1-line block ×4, first 2 shown]
	global_load_dword v7, v19, s[4:5]
	global_load_dword v8, v19, s[4:5] offset:3584
	global_load_dword v9, v19, s[4:5] offset:512
	;; [unrolled: 1-line block ×3, first 2 shown]
	v_mov_b32_e32 v1, s5
	v_add_co_u32_e32 v2, vcc, s4, v19
	s_movk_i32 s9, 0x1000
	v_addc_co_u32_e32 v11, vcc, 0, v1, vcc
	v_add_co_u32_e32 v1, vcc, s9, v2
	v_addc_co_u32_e32 v2, vcc, 0, v11, vcc
	global_load_dword v11, v[1:2], off
	global_load_dword v12, v[1:2], off offset:512
	global_load_dword v13, v[1:2], off offset:1024
	;; [unrolled: 1-line block ×7, first 2 shown]
	v_mov_b32_e32 v1, 0
	s_waitcnt vmcnt(15)
	v_cmp_ne_u32_e32 vcc, 0, v3
	v_cndmask_b32_e64 v2, 0, 1, vcc
	s_waitcnt vmcnt(14)
	v_cmp_ne_u32_e32 vcc, 0, v4
	v_cndmask_b32_e64 v3, 0, 1, vcc
	;; [unrolled: 3-line block ×6, first 2 shown]
	v_cmp_ne_u32_e32 vcc, 0, v7
	v_cndmask_b32_e64 v7, 0, 1, vcc
	s_waitcnt vmcnt(8)
	v_cmp_ne_u32_e32 vcc, 0, v10
	v_addc_co_u32_e32 v7, vcc, v8, v7, vcc
	v_add_co_u32_e32 v2, vcc, v7, v2
	v_addc_co_u32_e64 v7, s[16:17], 0, 0, vcc
	s_waitcnt vmcnt(7)
	v_cmp_ne_u32_e32 vcc, 0, v11
	v_cndmask_b32_e64 v8, 0, 1, vcc
	s_waitcnt vmcnt(6)
	v_cmp_ne_u32_e32 vcc, 0, v12
	v_cndmask_b32_e64 v9, 0, 1, vcc
	;; [unrolled: 3-line block ×8, first 2 shown]
	v_add_co_u32_e32 v2, vcc, v2, v3
	v_addc_co_u32_e32 v3, vcc, 0, v7, vcc
	v_add_co_u32_e32 v2, vcc, v2, v4
	v_addc_co_u32_e32 v3, vcc, 0, v3, vcc
	;; [unrolled: 2-line block ×12, first 2 shown]
	s_nop 0
	v_mov_b32_dpp v5, v2 quad_perm:[1,0,3,2] row_mask:0xf bank_mask:0xf bound_ctrl:1
	v_add_co_u32_e32 v2, vcc, v2, v5
	v_addc_co_u32_e32 v4, vcc, 0, v4, vcc
	v_mov_b32_dpp v1, v1 quad_perm:[1,0,3,2] row_mask:0xf bank_mask:0xf bound_ctrl:1
	v_add_co_u32_e32 v5, vcc, 0, v2
	v_addc_co_u32_e32 v1, vcc, v1, v4, vcc
	v_mov_b32_dpp v2, v2 quad_perm:[2,3,0,1] row_mask:0xf bank_mask:0xf bound_ctrl:1
	v_add_co_u32_e32 v2, vcc, v5, v2
	v_mov_b32_dpp v4, v1 quad_perm:[2,3,0,1] row_mask:0xf bank_mask:0xf bound_ctrl:1
	v_addc_co_u32_e32 v1, vcc, 0, v1, vcc
	v_add_co_u32_e32 v5, vcc, 0, v2
	v_addc_co_u32_e32 v1, vcc, v1, v4, vcc
	v_mov_b32_dpp v2, v2 row_ror:4 row_mask:0xf bank_mask:0xf bound_ctrl:1
	v_add_co_u32_e32 v2, vcc, v5, v2
	v_mov_b32_dpp v4, v1 row_ror:4 row_mask:0xf bank_mask:0xf bound_ctrl:1
	v_addc_co_u32_e32 v1, vcc, 0, v1, vcc
	v_add_co_u32_e32 v5, vcc, 0, v2
	v_addc_co_u32_e32 v1, vcc, v1, v4, vcc
	v_mov_b32_dpp v2, v2 row_ror:8 row_mask:0xf bank_mask:0xf bound_ctrl:1
	v_add_co_u32_e32 v2, vcc, v5, v2
	v_mov_b32_dpp v4, v1 row_ror:8 row_mask:0xf bank_mask:0xf bound_ctrl:1
	v_addc_co_u32_e32 v1, vcc, 0, v1, vcc
	v_add_co_u32_e32 v5, vcc, 0, v2
	v_addc_co_u32_e32 v1, vcc, v1, v4, vcc
	v_mov_b32_dpp v2, v2 row_bcast:15 row_mask:0xf bank_mask:0xf bound_ctrl:1
	v_add_co_u32_e32 v2, vcc, v5, v2
	v_mov_b32_dpp v4, v1 row_bcast:15 row_mask:0xf bank_mask:0xf bound_ctrl:1
	v_addc_co_u32_e32 v1, vcc, 0, v1, vcc
	v_add_co_u32_e32 v5, vcc, 0, v2
	v_addc_co_u32_e32 v1, vcc, v1, v4, vcc
	v_mov_b32_dpp v2, v2 row_bcast:31 row_mask:0xf bank_mask:0xf bound_ctrl:1
	v_add_co_u32_e32 v2, vcc, v5, v2
	v_mbcnt_hi_u32_b32 v3, -1, v33
	v_addc_co_u32_e32 v4, vcc, 0, v1, vcc
	v_cmp_eq_u32_e32 vcc, 0, v3
	s_nop 0
	v_add_u32_dpp v5, v1, v4 row_bcast:31 row_mask:0xf bank_mask:0xf bound_ctrl:1
	v_lshlrev_b32_e32 v4, 2, v3
	v_or_b32_e32 v6, 0xfc, v4
	ds_bpermute_b32 v1, v6, v2
	ds_bpermute_b32 v2, v6, v5
	s_and_saveexec_b64 s[16:17], vcc
	s_cbranch_execz .LBB171_3
; %bb.2:
	v_lshrrev_b32_e32 v5, 3, v0
	v_and_b32_e32 v5, 8, v5
	s_waitcnt lgkmcnt(0)
	ds_write_b64 v5, v[1:2]
.LBB171_3:
	s_or_b64 exec, exec, s[16:17]
	v_cmp_gt_u32_e32 vcc, 64, v0
	s_waitcnt lgkmcnt(0)
	s_barrier
	s_and_saveexec_b64 s[16:17], vcc
	s_cbranch_execz .LBB171_5
; %bb.4:
	v_and_b32_e32 v1, 1, v3
	v_lshlrev_b32_e32 v1, 3, v1
	ds_read_b64 v[1:2], v1
	v_or_b32_e32 v3, 4, v4
	s_waitcnt lgkmcnt(0)
	ds_bpermute_b32 v4, v3, v1
	ds_bpermute_b32 v3, v3, v2
	s_waitcnt lgkmcnt(1)
	v_add_co_u32_e32 v1, vcc, v1, v4
	v_addc_co_u32_e32 v2, vcc, 0, v2, vcc
	v_add_co_u32_e32 v1, vcc, 0, v1
	s_waitcnt lgkmcnt(0)
	v_addc_co_u32_e32 v2, vcc, v2, v3, vcc
.LBB171_5:
	s_or_b64 exec, exec, s[16:17]
	s_branch .LBB171_54
.LBB171_6:
                                        ; implicit-def: $vgpr1_vgpr2
	s_cbranch_execz .LBB171_54
; %bb.7:
	s_sub_i32 s16, s10, s8
	v_cmp_gt_u32_e32 vcc, s16, v0
                                        ; implicit-def: $vgpr1_vgpr2
	s_and_saveexec_b64 s[8:9], vcc
	s_cbranch_execz .LBB171_9
; %bb.8:
	global_load_dword v1, v19, s[4:5]
	s_mov_b32 s17, 0
	v_mov_b32_e32 v2, s17
	s_waitcnt vmcnt(0)
	v_cmp_ne_u32_e32 vcc, 0, v1
	v_cndmask_b32_e64 v1, 0, 1, vcc
.LBB171_9:
	s_or_b64 exec, exec, s[8:9]
	v_or_b32_e32 v7, 0x80, v0
	v_mov_b32_e32 v3, 0
	v_mov_b32_e32 v5, 0
	v_mov_b32_e32 v4, 0
	v_mov_b32_e32 v6, 0
	v_cmp_gt_u32_e32 vcc, s16, v7
	s_and_saveexec_b64 s[8:9], vcc
	s_cbranch_execz .LBB171_11
; %bb.10:
	global_load_dword v5, v19, s[4:5] offset:512
	s_mov_b32 s17, 0
	v_mov_b32_e32 v6, s17
	s_waitcnt vmcnt(0)
	v_cmp_ne_u32_e32 vcc, 0, v5
	v_cndmask_b32_e64 v5, 0, 1, vcc
.LBB171_11:
	s_or_b64 exec, exec, s[8:9]
	v_or_b32_e32 v7, 0x100, v0
	v_cmp_gt_u32_e32 vcc, s16, v7
	s_and_saveexec_b64 s[8:9], vcc
	s_cbranch_execz .LBB171_13
; %bb.12:
	global_load_dword v3, v19, s[4:5] offset:1024
	s_mov_b32 s17, 0
	v_mov_b32_e32 v4, s17
	s_waitcnt vmcnt(0)
	v_cmp_ne_u32_e32 vcc, 0, v3
	v_cndmask_b32_e64 v3, 0, 1, vcc
.LBB171_13:
	s_or_b64 exec, exec, s[8:9]
	v_or_b32_e32 v11, 0x180, v0
	v_mov_b32_e32 v7, 0
	v_mov_b32_e32 v9, 0
	v_mov_b32_e32 v8, 0
	v_mov_b32_e32 v10, 0
	v_cmp_gt_u32_e32 vcc, s16, v11
	s_and_saveexec_b64 s[8:9], vcc
	s_cbranch_execz .LBB171_15
; %bb.14:
	global_load_dword v9, v19, s[4:5] offset:1536
	s_mov_b32 s17, 0
	v_mov_b32_e32 v10, s17
	s_waitcnt vmcnt(0)
	v_cmp_ne_u32_e32 vcc, 0, v9
	v_cndmask_b32_e64 v9, 0, 1, vcc
.LBB171_15:
	s_or_b64 exec, exec, s[8:9]
	v_or_b32_e32 v11, 0x200, v0
	v_cmp_gt_u32_e32 vcc, s16, v11
	s_and_saveexec_b64 s[8:9], vcc
	s_cbranch_execz .LBB171_17
; %bb.16:
	global_load_dword v7, v19, s[4:5] offset:2048
	s_mov_b32 s17, 0
	v_mov_b32_e32 v8, s17
	s_waitcnt vmcnt(0)
	v_cmp_ne_u32_e32 vcc, 0, v7
	v_cndmask_b32_e64 v7, 0, 1, vcc
.LBB171_17:
	;; [unrolled: 30-line block ×3, first 2 shown]
	s_or_b64 exec, exec, s[8:9]
	v_or_b32_e32 v20, 0x380, v0
	v_mov_b32_e32 v15, 0
	v_mov_b32_e32 v17, 0
	;; [unrolled: 1-line block ×4, first 2 shown]
	v_cmp_gt_u32_e32 vcc, s16, v20
	s_and_saveexec_b64 s[8:9], vcc
	s_cbranch_execz .LBB171_23
; %bb.22:
	global_load_dword v17, v19, s[4:5] offset:3584
	s_mov_b32 s17, 0
	v_mov_b32_e32 v18, s17
	s_waitcnt vmcnt(0)
	v_cmp_ne_u32_e32 vcc, 0, v17
	v_cndmask_b32_e64 v17, 0, 1, vcc
.LBB171_23:
	s_or_b64 exec, exec, s[8:9]
	v_or_b32_e32 v19, 0x400, v0
	v_cmp_gt_u32_e32 vcc, s16, v19
	s_and_saveexec_b64 s[8:9], vcc
	s_cbranch_execz .LBB171_25
; %bb.24:
	v_lshlrev_b32_e32 v15, 2, v19
	global_load_dword v15, v15, s[4:5]
	s_mov_b32 s17, 0
	v_mov_b32_e32 v16, s17
	s_waitcnt vmcnt(0)
	v_cmp_ne_u32_e32 vcc, 0, v15
	v_cndmask_b32_e64 v15, 0, 1, vcc
.LBB171_25:
	s_or_b64 exec, exec, s[8:9]
	v_or_b32_e32 v23, 0x480, v0
	v_mov_b32_e32 v19, 0
	v_mov_b32_e32 v21, 0
	v_mov_b32_e32 v20, 0
	v_mov_b32_e32 v22, 0
	v_cmp_gt_u32_e32 vcc, s16, v23
	s_and_saveexec_b64 s[8:9], vcc
	s_cbranch_execz .LBB171_27
; %bb.26:
	v_lshlrev_b32_e32 v21, 2, v23
	global_load_dword v21, v21, s[4:5]
	s_mov_b32 s17, 0
	v_mov_b32_e32 v22, s17
	s_waitcnt vmcnt(0)
	v_cmp_ne_u32_e32 vcc, 0, v21
	v_cndmask_b32_e64 v21, 0, 1, vcc
.LBB171_27:
	s_or_b64 exec, exec, s[8:9]
	v_or_b32_e32 v23, 0x500, v0
	v_cmp_gt_u32_e32 vcc, s16, v23
	s_and_saveexec_b64 s[8:9], vcc
	s_cbranch_execz .LBB171_29
; %bb.28:
	v_lshlrev_b32_e32 v19, 2, v23
	global_load_dword v19, v19, s[4:5]
	s_mov_b32 s17, 0
	v_mov_b32_e32 v20, s17
	s_waitcnt vmcnt(0)
	v_cmp_ne_u32_e32 vcc, 0, v19
	v_cndmask_b32_e64 v19, 0, 1, vcc
.LBB171_29:
	s_or_b64 exec, exec, s[8:9]
	v_or_b32_e32 v27, 0x580, v0
	v_mov_b32_e32 v23, 0
	v_mov_b32_e32 v25, 0
	v_mov_b32_e32 v24, 0
	v_mov_b32_e32 v26, 0
	v_cmp_gt_u32_e32 vcc, s16, v27
	s_and_saveexec_b64 s[8:9], vcc
	s_cbranch_execz .LBB171_31
; %bb.30:
	v_lshlrev_b32_e32 v25, 2, v27
	global_load_dword v25, v25, s[4:5]
	s_mov_b32 s17, 0
	v_mov_b32_e32 v26, s17
	s_waitcnt vmcnt(0)
	v_cmp_ne_u32_e32 vcc, 0, v25
	v_cndmask_b32_e64 v25, 0, 1, vcc
.LBB171_31:
	s_or_b64 exec, exec, s[8:9]
	v_or_b32_e32 v27, 0x600, v0
	v_cmp_gt_u32_e32 vcc, s16, v27
	s_and_saveexec_b64 s[8:9], vcc
	s_cbranch_execz .LBB171_33
; %bb.32:
	v_lshlrev_b32_e32 v23, 2, v27
	global_load_dword v23, v23, s[4:5]
	s_mov_b32 s17, 0
	v_mov_b32_e32 v24, s17
	s_waitcnt vmcnt(0)
	v_cmp_ne_u32_e32 vcc, 0, v23
	v_cndmask_b32_e64 v23, 0, 1, vcc
.LBB171_33:
	s_or_b64 exec, exec, s[8:9]
	v_or_b32_e32 v31, 0x680, v0
	v_mov_b32_e32 v27, 0
	v_mov_b32_e32 v29, 0
	v_mov_b32_e32 v28, 0
	v_mov_b32_e32 v30, 0
	v_cmp_gt_u32_e32 vcc, s16, v31
	s_and_saveexec_b64 s[8:9], vcc
	s_cbranch_execz .LBB171_35
; %bb.34:
	v_lshlrev_b32_e32 v29, 2, v31
	global_load_dword v29, v29, s[4:5]
	s_mov_b32 s17, 0
	v_mov_b32_e32 v30, s17
	s_waitcnt vmcnt(0)
	v_cmp_ne_u32_e32 vcc, 0, v29
	v_cndmask_b32_e64 v29, 0, 1, vcc
.LBB171_35:
	s_or_b64 exec, exec, s[8:9]
	v_or_b32_e32 v31, 0x700, v0
	v_cmp_gt_u32_e32 vcc, s16, v31
	s_and_saveexec_b64 s[8:9], vcc
	s_cbranch_execz .LBB171_37
; %bb.36:
	v_lshlrev_b32_e32 v27, 2, v31
	global_load_dword v27, v27, s[4:5]
	s_mov_b32 s17, 0
	v_mov_b32_e32 v28, s17
	s_waitcnt vmcnt(0)
	v_cmp_ne_u32_e32 vcc, 0, v27
	v_cndmask_b32_e64 v27, 0, 1, vcc
.LBB171_37:
	s_or_b64 exec, exec, s[8:9]
	v_or_b32_e32 v34, 0x780, v0
	v_mov_b32_e32 v31, 0
	v_mov_b32_e32 v32, 0
	v_cmp_gt_u32_e32 vcc, s16, v34
	s_and_saveexec_b64 s[8:9], vcc
	s_cbranch_execz .LBB171_39
; %bb.38:
	v_lshlrev_b32_e32 v31, 2, v34
	global_load_dword v31, v31, s[4:5]
	s_mov_b32 s4, 0
	v_mov_b32_e32 v32, s4
	s_waitcnt vmcnt(0)
	v_cmp_ne_u32_e32 vcc, 0, v31
	v_cndmask_b32_e64 v31, 0, 1, vcc
.LBB171_39:
	s_or_b64 exec, exec, s[8:9]
	v_add_co_u32_e32 v1, vcc, v5, v1
	v_addc_co_u32_e32 v2, vcc, v6, v2, vcc
	v_add_co_u32_e32 v1, vcc, v1, v3
	v_addc_co_u32_e32 v2, vcc, v2, v4, vcc
	;; [unrolled: 2-line block ×14, first 2 shown]
	v_add_co_u32_e32 v1, vcc, v1, v31
	v_mbcnt_hi_u32_b32 v3, -1, v33
	v_addc_co_u32_e32 v2, vcc, v2, v32, vcc
	v_and_b32_e32 v4, 63, v3
	v_cmp_ne_u32_e32 vcc, 63, v4
	v_addc_co_u32_e32 v6, vcc, 0, v3, vcc
	v_lshlrev_b32_e32 v6, 2, v6
	ds_bpermute_b32 v8, v6, v1
	ds_bpermute_b32 v7, v6, v2
	s_min_u32 s8, s16, 0x80
	v_and_b32_e32 v5, 64, v0
	v_sub_u32_e64 v5, s8, v5 clamp
	v_add_u32_e32 v6, 1, v4
	v_cmp_lt_u32_e32 vcc, v6, v5
	v_mov_b32_e32 v6, v1
	s_and_saveexec_b64 s[4:5], vcc
	s_cbranch_execz .LBB171_41
; %bb.40:
	s_waitcnt lgkmcnt(1)
	v_add_co_u32_e32 v6, vcc, v1, v8
	v_addc_co_u32_e32 v2, vcc, 0, v2, vcc
	v_add_co_u32_e32 v1, vcc, 0, v6
	s_waitcnt lgkmcnt(0)
	v_addc_co_u32_e32 v2, vcc, v7, v2, vcc
.LBB171_41:
	s_or_b64 exec, exec, s[4:5]
	v_cmp_gt_u32_e32 vcc, 62, v4
	s_waitcnt lgkmcnt(0)
	v_cndmask_b32_e64 v7, 0, 2, vcc
	v_add_lshl_u32 v7, v7, v3, 2
	ds_bpermute_b32 v8, v7, v6
	ds_bpermute_b32 v7, v7, v2
	v_add_u32_e32 v9, 2, v4
	v_cmp_lt_u32_e32 vcc, v9, v5
	s_and_saveexec_b64 s[4:5], vcc
	s_cbranch_execz .LBB171_43
; %bb.42:
	s_waitcnt lgkmcnt(1)
	v_add_co_u32_e32 v6, vcc, v1, v8
	v_addc_co_u32_e32 v2, vcc, 0, v2, vcc
	v_add_co_u32_e32 v1, vcc, 0, v6
	s_waitcnt lgkmcnt(0)
	v_addc_co_u32_e32 v2, vcc, v7, v2, vcc
.LBB171_43:
	s_or_b64 exec, exec, s[4:5]
	v_cmp_gt_u32_e32 vcc, 60, v4
	s_waitcnt lgkmcnt(0)
	v_cndmask_b32_e64 v7, 0, 4, vcc
	v_add_lshl_u32 v7, v7, v3, 2
	ds_bpermute_b32 v8, v7, v6
	ds_bpermute_b32 v7, v7, v2
	v_add_u32_e32 v9, 4, v4
	v_cmp_lt_u32_e32 vcc, v9, v5
	;; [unrolled: 19-line block ×4, first 2 shown]
	s_and_saveexec_b64 s[4:5], vcc
	s_cbranch_execz .LBB171_49
; %bb.48:
	s_waitcnt lgkmcnt(1)
	v_add_co_u32_e32 v6, vcc, v1, v8
	v_addc_co_u32_e32 v2, vcc, 0, v2, vcc
	v_add_co_u32_e32 v1, vcc, 0, v6
	s_waitcnt lgkmcnt(0)
	v_addc_co_u32_e32 v2, vcc, v7, v2, vcc
.LBB171_49:
	s_or_b64 exec, exec, s[4:5]
	s_waitcnt lgkmcnt(0)
	v_lshlrev_b32_e32 v7, 2, v3
	v_or_b32_e32 v8, 0x80, v7
	ds_bpermute_b32 v6, v8, v6
	ds_bpermute_b32 v8, v8, v2
	v_add_u32_e32 v4, 32, v4
	s_waitcnt lgkmcnt(1)
	v_add_co_u32_e32 v6, vcc, v1, v6
	v_addc_co_u32_e32 v9, vcc, 0, v2, vcc
	v_add_co_u32_e32 v6, vcc, 0, v6
	s_waitcnt lgkmcnt(0)
	v_addc_co_u32_e32 v8, vcc, v9, v8, vcc
	v_cmp_lt_u32_e32 vcc, v4, v5
	v_cndmask_b32_e32 v2, v2, v8, vcc
	v_cndmask_b32_e32 v1, v1, v6, vcc
	v_cmp_eq_u32_e32 vcc, 0, v3
	s_and_saveexec_b64 s[4:5], vcc
; %bb.50:
	v_lshrrev_b32_e32 v4, 3, v0
	v_and_b32_e32 v4, 8, v4
	ds_write_b64 v4, v[1:2] offset:16
; %bb.51:
	s_or_b64 exec, exec, s[4:5]
	v_cmp_gt_u32_e32 vcc, 2, v0
	s_waitcnt lgkmcnt(0)
	s_barrier
	s_and_saveexec_b64 s[4:5], vcc
	s_cbranch_execz .LBB171_53
; %bb.52:
	v_lshlrev_b32_e32 v1, 3, v3
	ds_read_b64 v[1:2], v1 offset:16
	v_or_b32_e32 v4, 4, v7
	s_add_i32 s8, s8, 63
	v_and_b32_e32 v3, 1, v3
	s_lshr_b32 s8, s8, 6
	s_waitcnt lgkmcnt(0)
	ds_bpermute_b32 v5, v4, v2
	ds_bpermute_b32 v4, v4, v1
	v_add_u32_e32 v3, 1, v3
	v_cmp_gt_u32_e32 vcc, s8, v3
	s_waitcnt lgkmcnt(1)
	v_cndmask_b32_e32 v3, 0, v5, vcc
	s_waitcnt lgkmcnt(0)
	v_cndmask_b32_e32 v4, 0, v4, vcc
	v_add_co_u32_e32 v1, vcc, v4, v1
	v_addc_co_u32_e32 v2, vcc, v3, v2, vcc
.LBB171_53:
	s_or_b64 exec, exec, s[4:5]
.LBB171_54:
	v_cmp_eq_u32_e32 vcc, 0, v0
	s_and_saveexec_b64 s[4:5], vcc
	s_cbranch_execnz .LBB171_56
; %bb.55:
	s_endpgm
.LBB171_56:
	s_mul_i32 s4, s0, s15
	s_mul_hi_u32 s5, s0, s14
	s_add_i32 s4, s5, s4
	s_mul_i32 s1, s1, s14
	s_add_i32 s1, s4, s1
	s_mul_i32 s0, s0, s14
	s_lshl_b64 s[0:1], s[0:1], 3
	s_add_u32 s4, s12, s0
	s_addc_u32 s5, s13, s1
	s_cmp_eq_u64 s[10:11], 0
	v_mov_b32_e32 v0, s3
	s_cselect_b64 vcc, -1, 0
	s_lshl_b64 s[0:1], s[6:7], 3
	v_cndmask_b32_e32 v2, v2, v0, vcc
	v_mov_b32_e32 v0, s2
	s_add_u32 s0, s4, s0
	v_cndmask_b32_e32 v1, v1, v0, vcc
	s_addc_u32 s1, s5, s1
	v_mov_b32_e32 v0, 0
	global_store_dwordx2 v0, v[1:2], s[0:1]
	s_endpgm
	.section	.rodata,"a",@progbits
	.p2align	6, 0x0
	.amdhsa_kernel _ZN7rocprim17ROCPRIM_400000_NS6detail17trampoline_kernelINS0_14default_configENS1_22reduce_config_selectorIbEEZNS1_11reduce_implILb1ES3_N6hipcub16HIPCUB_304000_NS22TransformInputIteratorIb7NonZeroIiEPilEEPllNS8_6detail34convert_binary_result_type_wrapperINS8_3SumESD_lEEEE10hipError_tPvRmT1_T2_T3_mT4_P12ihipStream_tbEUlT_E0_NS1_11comp_targetILNS1_3genE2ELNS1_11target_archE906ELNS1_3gpuE6ELNS1_3repE0EEENS1_30default_config_static_selectorELNS0_4arch9wavefront6targetE1EEEvSM_
		.amdhsa_group_segment_fixed_size 32
		.amdhsa_private_segment_fixed_size 0
		.amdhsa_kernarg_size 72
		.amdhsa_user_sgpr_count 6
		.amdhsa_user_sgpr_private_segment_buffer 1
		.amdhsa_user_sgpr_dispatch_ptr 0
		.amdhsa_user_sgpr_queue_ptr 0
		.amdhsa_user_sgpr_kernarg_segment_ptr 1
		.amdhsa_user_sgpr_dispatch_id 0
		.amdhsa_user_sgpr_flat_scratch_init 0
		.amdhsa_user_sgpr_private_segment_size 0
		.amdhsa_uses_dynamic_stack 0
		.amdhsa_system_sgpr_private_segment_wavefront_offset 0
		.amdhsa_system_sgpr_workgroup_id_x 1
		.amdhsa_system_sgpr_workgroup_id_y 0
		.amdhsa_system_sgpr_workgroup_id_z 0
		.amdhsa_system_sgpr_workgroup_info 0
		.amdhsa_system_vgpr_workitem_id 0
		.amdhsa_next_free_vgpr 35
		.amdhsa_next_free_sgpr 20
		.amdhsa_reserve_vcc 1
		.amdhsa_reserve_flat_scratch 0
		.amdhsa_float_round_mode_32 0
		.amdhsa_float_round_mode_16_64 0
		.amdhsa_float_denorm_mode_32 3
		.amdhsa_float_denorm_mode_16_64 3
		.amdhsa_dx10_clamp 1
		.amdhsa_ieee_mode 1
		.amdhsa_fp16_overflow 0
		.amdhsa_exception_fp_ieee_invalid_op 0
		.amdhsa_exception_fp_denorm_src 0
		.amdhsa_exception_fp_ieee_div_zero 0
		.amdhsa_exception_fp_ieee_overflow 0
		.amdhsa_exception_fp_ieee_underflow 0
		.amdhsa_exception_fp_ieee_inexact 0
		.amdhsa_exception_int_div_zero 0
	.end_amdhsa_kernel
	.section	.text._ZN7rocprim17ROCPRIM_400000_NS6detail17trampoline_kernelINS0_14default_configENS1_22reduce_config_selectorIbEEZNS1_11reduce_implILb1ES3_N6hipcub16HIPCUB_304000_NS22TransformInputIteratorIb7NonZeroIiEPilEEPllNS8_6detail34convert_binary_result_type_wrapperINS8_3SumESD_lEEEE10hipError_tPvRmT1_T2_T3_mT4_P12ihipStream_tbEUlT_E0_NS1_11comp_targetILNS1_3genE2ELNS1_11target_archE906ELNS1_3gpuE6ELNS1_3repE0EEENS1_30default_config_static_selectorELNS0_4arch9wavefront6targetE1EEEvSM_,"axG",@progbits,_ZN7rocprim17ROCPRIM_400000_NS6detail17trampoline_kernelINS0_14default_configENS1_22reduce_config_selectorIbEEZNS1_11reduce_implILb1ES3_N6hipcub16HIPCUB_304000_NS22TransformInputIteratorIb7NonZeroIiEPilEEPllNS8_6detail34convert_binary_result_type_wrapperINS8_3SumESD_lEEEE10hipError_tPvRmT1_T2_T3_mT4_P12ihipStream_tbEUlT_E0_NS1_11comp_targetILNS1_3genE2ELNS1_11target_archE906ELNS1_3gpuE6ELNS1_3repE0EEENS1_30default_config_static_selectorELNS0_4arch9wavefront6targetE1EEEvSM_,comdat
.Lfunc_end171:
	.size	_ZN7rocprim17ROCPRIM_400000_NS6detail17trampoline_kernelINS0_14default_configENS1_22reduce_config_selectorIbEEZNS1_11reduce_implILb1ES3_N6hipcub16HIPCUB_304000_NS22TransformInputIteratorIb7NonZeroIiEPilEEPllNS8_6detail34convert_binary_result_type_wrapperINS8_3SumESD_lEEEE10hipError_tPvRmT1_T2_T3_mT4_P12ihipStream_tbEUlT_E0_NS1_11comp_targetILNS1_3genE2ELNS1_11target_archE906ELNS1_3gpuE6ELNS1_3repE0EEENS1_30default_config_static_selectorELNS0_4arch9wavefront6targetE1EEEvSM_, .Lfunc_end171-_ZN7rocprim17ROCPRIM_400000_NS6detail17trampoline_kernelINS0_14default_configENS1_22reduce_config_selectorIbEEZNS1_11reduce_implILb1ES3_N6hipcub16HIPCUB_304000_NS22TransformInputIteratorIb7NonZeroIiEPilEEPllNS8_6detail34convert_binary_result_type_wrapperINS8_3SumESD_lEEEE10hipError_tPvRmT1_T2_T3_mT4_P12ihipStream_tbEUlT_E0_NS1_11comp_targetILNS1_3genE2ELNS1_11target_archE906ELNS1_3gpuE6ELNS1_3repE0EEENS1_30default_config_static_selectorELNS0_4arch9wavefront6targetE1EEEvSM_
                                        ; -- End function
	.set _ZN7rocprim17ROCPRIM_400000_NS6detail17trampoline_kernelINS0_14default_configENS1_22reduce_config_selectorIbEEZNS1_11reduce_implILb1ES3_N6hipcub16HIPCUB_304000_NS22TransformInputIteratorIb7NonZeroIiEPilEEPllNS8_6detail34convert_binary_result_type_wrapperINS8_3SumESD_lEEEE10hipError_tPvRmT1_T2_T3_mT4_P12ihipStream_tbEUlT_E0_NS1_11comp_targetILNS1_3genE2ELNS1_11target_archE906ELNS1_3gpuE6ELNS1_3repE0EEENS1_30default_config_static_selectorELNS0_4arch9wavefront6targetE1EEEvSM_.num_vgpr, 35
	.set _ZN7rocprim17ROCPRIM_400000_NS6detail17trampoline_kernelINS0_14default_configENS1_22reduce_config_selectorIbEEZNS1_11reduce_implILb1ES3_N6hipcub16HIPCUB_304000_NS22TransformInputIteratorIb7NonZeroIiEPilEEPllNS8_6detail34convert_binary_result_type_wrapperINS8_3SumESD_lEEEE10hipError_tPvRmT1_T2_T3_mT4_P12ihipStream_tbEUlT_E0_NS1_11comp_targetILNS1_3genE2ELNS1_11target_archE906ELNS1_3gpuE6ELNS1_3repE0EEENS1_30default_config_static_selectorELNS0_4arch9wavefront6targetE1EEEvSM_.num_agpr, 0
	.set _ZN7rocprim17ROCPRIM_400000_NS6detail17trampoline_kernelINS0_14default_configENS1_22reduce_config_selectorIbEEZNS1_11reduce_implILb1ES3_N6hipcub16HIPCUB_304000_NS22TransformInputIteratorIb7NonZeroIiEPilEEPllNS8_6detail34convert_binary_result_type_wrapperINS8_3SumESD_lEEEE10hipError_tPvRmT1_T2_T3_mT4_P12ihipStream_tbEUlT_E0_NS1_11comp_targetILNS1_3genE2ELNS1_11target_archE906ELNS1_3gpuE6ELNS1_3repE0EEENS1_30default_config_static_selectorELNS0_4arch9wavefront6targetE1EEEvSM_.numbered_sgpr, 20
	.set _ZN7rocprim17ROCPRIM_400000_NS6detail17trampoline_kernelINS0_14default_configENS1_22reduce_config_selectorIbEEZNS1_11reduce_implILb1ES3_N6hipcub16HIPCUB_304000_NS22TransformInputIteratorIb7NonZeroIiEPilEEPllNS8_6detail34convert_binary_result_type_wrapperINS8_3SumESD_lEEEE10hipError_tPvRmT1_T2_T3_mT4_P12ihipStream_tbEUlT_E0_NS1_11comp_targetILNS1_3genE2ELNS1_11target_archE906ELNS1_3gpuE6ELNS1_3repE0EEENS1_30default_config_static_selectorELNS0_4arch9wavefront6targetE1EEEvSM_.num_named_barrier, 0
	.set _ZN7rocprim17ROCPRIM_400000_NS6detail17trampoline_kernelINS0_14default_configENS1_22reduce_config_selectorIbEEZNS1_11reduce_implILb1ES3_N6hipcub16HIPCUB_304000_NS22TransformInputIteratorIb7NonZeroIiEPilEEPllNS8_6detail34convert_binary_result_type_wrapperINS8_3SumESD_lEEEE10hipError_tPvRmT1_T2_T3_mT4_P12ihipStream_tbEUlT_E0_NS1_11comp_targetILNS1_3genE2ELNS1_11target_archE906ELNS1_3gpuE6ELNS1_3repE0EEENS1_30default_config_static_selectorELNS0_4arch9wavefront6targetE1EEEvSM_.private_seg_size, 0
	.set _ZN7rocprim17ROCPRIM_400000_NS6detail17trampoline_kernelINS0_14default_configENS1_22reduce_config_selectorIbEEZNS1_11reduce_implILb1ES3_N6hipcub16HIPCUB_304000_NS22TransformInputIteratorIb7NonZeroIiEPilEEPllNS8_6detail34convert_binary_result_type_wrapperINS8_3SumESD_lEEEE10hipError_tPvRmT1_T2_T3_mT4_P12ihipStream_tbEUlT_E0_NS1_11comp_targetILNS1_3genE2ELNS1_11target_archE906ELNS1_3gpuE6ELNS1_3repE0EEENS1_30default_config_static_selectorELNS0_4arch9wavefront6targetE1EEEvSM_.uses_vcc, 1
	.set _ZN7rocprim17ROCPRIM_400000_NS6detail17trampoline_kernelINS0_14default_configENS1_22reduce_config_selectorIbEEZNS1_11reduce_implILb1ES3_N6hipcub16HIPCUB_304000_NS22TransformInputIteratorIb7NonZeroIiEPilEEPllNS8_6detail34convert_binary_result_type_wrapperINS8_3SumESD_lEEEE10hipError_tPvRmT1_T2_T3_mT4_P12ihipStream_tbEUlT_E0_NS1_11comp_targetILNS1_3genE2ELNS1_11target_archE906ELNS1_3gpuE6ELNS1_3repE0EEENS1_30default_config_static_selectorELNS0_4arch9wavefront6targetE1EEEvSM_.uses_flat_scratch, 0
	.set _ZN7rocprim17ROCPRIM_400000_NS6detail17trampoline_kernelINS0_14default_configENS1_22reduce_config_selectorIbEEZNS1_11reduce_implILb1ES3_N6hipcub16HIPCUB_304000_NS22TransformInputIteratorIb7NonZeroIiEPilEEPllNS8_6detail34convert_binary_result_type_wrapperINS8_3SumESD_lEEEE10hipError_tPvRmT1_T2_T3_mT4_P12ihipStream_tbEUlT_E0_NS1_11comp_targetILNS1_3genE2ELNS1_11target_archE906ELNS1_3gpuE6ELNS1_3repE0EEENS1_30default_config_static_selectorELNS0_4arch9wavefront6targetE1EEEvSM_.has_dyn_sized_stack, 0
	.set _ZN7rocprim17ROCPRIM_400000_NS6detail17trampoline_kernelINS0_14default_configENS1_22reduce_config_selectorIbEEZNS1_11reduce_implILb1ES3_N6hipcub16HIPCUB_304000_NS22TransformInputIteratorIb7NonZeroIiEPilEEPllNS8_6detail34convert_binary_result_type_wrapperINS8_3SumESD_lEEEE10hipError_tPvRmT1_T2_T3_mT4_P12ihipStream_tbEUlT_E0_NS1_11comp_targetILNS1_3genE2ELNS1_11target_archE906ELNS1_3gpuE6ELNS1_3repE0EEENS1_30default_config_static_selectorELNS0_4arch9wavefront6targetE1EEEvSM_.has_recursion, 0
	.set _ZN7rocprim17ROCPRIM_400000_NS6detail17trampoline_kernelINS0_14default_configENS1_22reduce_config_selectorIbEEZNS1_11reduce_implILb1ES3_N6hipcub16HIPCUB_304000_NS22TransformInputIteratorIb7NonZeroIiEPilEEPllNS8_6detail34convert_binary_result_type_wrapperINS8_3SumESD_lEEEE10hipError_tPvRmT1_T2_T3_mT4_P12ihipStream_tbEUlT_E0_NS1_11comp_targetILNS1_3genE2ELNS1_11target_archE906ELNS1_3gpuE6ELNS1_3repE0EEENS1_30default_config_static_selectorELNS0_4arch9wavefront6targetE1EEEvSM_.has_indirect_call, 0
	.section	.AMDGPU.csdata,"",@progbits
; Kernel info:
; codeLenInByte = 2876
; TotalNumSgprs: 24
; NumVgprs: 35
; ScratchSize: 0
; MemoryBound: 0
; FloatMode: 240
; IeeeMode: 1
; LDSByteSize: 32 bytes/workgroup (compile time only)
; SGPRBlocks: 2
; VGPRBlocks: 8
; NumSGPRsForWavesPerEU: 24
; NumVGPRsForWavesPerEU: 35
; Occupancy: 7
; WaveLimiterHint : 1
; COMPUTE_PGM_RSRC2:SCRATCH_EN: 0
; COMPUTE_PGM_RSRC2:USER_SGPR: 6
; COMPUTE_PGM_RSRC2:TRAP_HANDLER: 0
; COMPUTE_PGM_RSRC2:TGID_X_EN: 1
; COMPUTE_PGM_RSRC2:TGID_Y_EN: 0
; COMPUTE_PGM_RSRC2:TGID_Z_EN: 0
; COMPUTE_PGM_RSRC2:TIDIG_COMP_CNT: 0
	.section	.text._ZN7rocprim17ROCPRIM_400000_NS6detail17trampoline_kernelINS0_14default_configENS1_22reduce_config_selectorIbEEZNS1_11reduce_implILb1ES3_N6hipcub16HIPCUB_304000_NS22TransformInputIteratorIb7NonZeroIiEPilEEPllNS8_6detail34convert_binary_result_type_wrapperINS8_3SumESD_lEEEE10hipError_tPvRmT1_T2_T3_mT4_P12ihipStream_tbEUlT_E0_NS1_11comp_targetILNS1_3genE10ELNS1_11target_archE1201ELNS1_3gpuE5ELNS1_3repE0EEENS1_30default_config_static_selectorELNS0_4arch9wavefront6targetE1EEEvSM_,"axG",@progbits,_ZN7rocprim17ROCPRIM_400000_NS6detail17trampoline_kernelINS0_14default_configENS1_22reduce_config_selectorIbEEZNS1_11reduce_implILb1ES3_N6hipcub16HIPCUB_304000_NS22TransformInputIteratorIb7NonZeroIiEPilEEPllNS8_6detail34convert_binary_result_type_wrapperINS8_3SumESD_lEEEE10hipError_tPvRmT1_T2_T3_mT4_P12ihipStream_tbEUlT_E0_NS1_11comp_targetILNS1_3genE10ELNS1_11target_archE1201ELNS1_3gpuE5ELNS1_3repE0EEENS1_30default_config_static_selectorELNS0_4arch9wavefront6targetE1EEEvSM_,comdat
	.protected	_ZN7rocprim17ROCPRIM_400000_NS6detail17trampoline_kernelINS0_14default_configENS1_22reduce_config_selectorIbEEZNS1_11reduce_implILb1ES3_N6hipcub16HIPCUB_304000_NS22TransformInputIteratorIb7NonZeroIiEPilEEPllNS8_6detail34convert_binary_result_type_wrapperINS8_3SumESD_lEEEE10hipError_tPvRmT1_T2_T3_mT4_P12ihipStream_tbEUlT_E0_NS1_11comp_targetILNS1_3genE10ELNS1_11target_archE1201ELNS1_3gpuE5ELNS1_3repE0EEENS1_30default_config_static_selectorELNS0_4arch9wavefront6targetE1EEEvSM_ ; -- Begin function _ZN7rocprim17ROCPRIM_400000_NS6detail17trampoline_kernelINS0_14default_configENS1_22reduce_config_selectorIbEEZNS1_11reduce_implILb1ES3_N6hipcub16HIPCUB_304000_NS22TransformInputIteratorIb7NonZeroIiEPilEEPllNS8_6detail34convert_binary_result_type_wrapperINS8_3SumESD_lEEEE10hipError_tPvRmT1_T2_T3_mT4_P12ihipStream_tbEUlT_E0_NS1_11comp_targetILNS1_3genE10ELNS1_11target_archE1201ELNS1_3gpuE5ELNS1_3repE0EEENS1_30default_config_static_selectorELNS0_4arch9wavefront6targetE1EEEvSM_
	.globl	_ZN7rocprim17ROCPRIM_400000_NS6detail17trampoline_kernelINS0_14default_configENS1_22reduce_config_selectorIbEEZNS1_11reduce_implILb1ES3_N6hipcub16HIPCUB_304000_NS22TransformInputIteratorIb7NonZeroIiEPilEEPllNS8_6detail34convert_binary_result_type_wrapperINS8_3SumESD_lEEEE10hipError_tPvRmT1_T2_T3_mT4_P12ihipStream_tbEUlT_E0_NS1_11comp_targetILNS1_3genE10ELNS1_11target_archE1201ELNS1_3gpuE5ELNS1_3repE0EEENS1_30default_config_static_selectorELNS0_4arch9wavefront6targetE1EEEvSM_
	.p2align	8
	.type	_ZN7rocprim17ROCPRIM_400000_NS6detail17trampoline_kernelINS0_14default_configENS1_22reduce_config_selectorIbEEZNS1_11reduce_implILb1ES3_N6hipcub16HIPCUB_304000_NS22TransformInputIteratorIb7NonZeroIiEPilEEPllNS8_6detail34convert_binary_result_type_wrapperINS8_3SumESD_lEEEE10hipError_tPvRmT1_T2_T3_mT4_P12ihipStream_tbEUlT_E0_NS1_11comp_targetILNS1_3genE10ELNS1_11target_archE1201ELNS1_3gpuE5ELNS1_3repE0EEENS1_30default_config_static_selectorELNS0_4arch9wavefront6targetE1EEEvSM_,@function
_ZN7rocprim17ROCPRIM_400000_NS6detail17trampoline_kernelINS0_14default_configENS1_22reduce_config_selectorIbEEZNS1_11reduce_implILb1ES3_N6hipcub16HIPCUB_304000_NS22TransformInputIteratorIb7NonZeroIiEPilEEPllNS8_6detail34convert_binary_result_type_wrapperINS8_3SumESD_lEEEE10hipError_tPvRmT1_T2_T3_mT4_P12ihipStream_tbEUlT_E0_NS1_11comp_targetILNS1_3genE10ELNS1_11target_archE1201ELNS1_3gpuE5ELNS1_3repE0EEENS1_30default_config_static_selectorELNS0_4arch9wavefront6targetE1EEEvSM_: ; @_ZN7rocprim17ROCPRIM_400000_NS6detail17trampoline_kernelINS0_14default_configENS1_22reduce_config_selectorIbEEZNS1_11reduce_implILb1ES3_N6hipcub16HIPCUB_304000_NS22TransformInputIteratorIb7NonZeroIiEPilEEPllNS8_6detail34convert_binary_result_type_wrapperINS8_3SumESD_lEEEE10hipError_tPvRmT1_T2_T3_mT4_P12ihipStream_tbEUlT_E0_NS1_11comp_targetILNS1_3genE10ELNS1_11target_archE1201ELNS1_3gpuE5ELNS1_3repE0EEENS1_30default_config_static_selectorELNS0_4arch9wavefront6targetE1EEEvSM_
; %bb.0:
	.section	.rodata,"a",@progbits
	.p2align	6, 0x0
	.amdhsa_kernel _ZN7rocprim17ROCPRIM_400000_NS6detail17trampoline_kernelINS0_14default_configENS1_22reduce_config_selectorIbEEZNS1_11reduce_implILb1ES3_N6hipcub16HIPCUB_304000_NS22TransformInputIteratorIb7NonZeroIiEPilEEPllNS8_6detail34convert_binary_result_type_wrapperINS8_3SumESD_lEEEE10hipError_tPvRmT1_T2_T3_mT4_P12ihipStream_tbEUlT_E0_NS1_11comp_targetILNS1_3genE10ELNS1_11target_archE1201ELNS1_3gpuE5ELNS1_3repE0EEENS1_30default_config_static_selectorELNS0_4arch9wavefront6targetE1EEEvSM_
		.amdhsa_group_segment_fixed_size 0
		.amdhsa_private_segment_fixed_size 0
		.amdhsa_kernarg_size 72
		.amdhsa_user_sgpr_count 6
		.amdhsa_user_sgpr_private_segment_buffer 1
		.amdhsa_user_sgpr_dispatch_ptr 0
		.amdhsa_user_sgpr_queue_ptr 0
		.amdhsa_user_sgpr_kernarg_segment_ptr 1
		.amdhsa_user_sgpr_dispatch_id 0
		.amdhsa_user_sgpr_flat_scratch_init 0
		.amdhsa_user_sgpr_private_segment_size 0
		.amdhsa_uses_dynamic_stack 0
		.amdhsa_system_sgpr_private_segment_wavefront_offset 0
		.amdhsa_system_sgpr_workgroup_id_x 1
		.amdhsa_system_sgpr_workgroup_id_y 0
		.amdhsa_system_sgpr_workgroup_id_z 0
		.amdhsa_system_sgpr_workgroup_info 0
		.amdhsa_system_vgpr_workitem_id 0
		.amdhsa_next_free_vgpr 1
		.amdhsa_next_free_sgpr 0
		.amdhsa_reserve_vcc 0
		.amdhsa_reserve_flat_scratch 0
		.amdhsa_float_round_mode_32 0
		.amdhsa_float_round_mode_16_64 0
		.amdhsa_float_denorm_mode_32 3
		.amdhsa_float_denorm_mode_16_64 3
		.amdhsa_dx10_clamp 1
		.amdhsa_ieee_mode 1
		.amdhsa_fp16_overflow 0
		.amdhsa_exception_fp_ieee_invalid_op 0
		.amdhsa_exception_fp_denorm_src 0
		.amdhsa_exception_fp_ieee_div_zero 0
		.amdhsa_exception_fp_ieee_overflow 0
		.amdhsa_exception_fp_ieee_underflow 0
		.amdhsa_exception_fp_ieee_inexact 0
		.amdhsa_exception_int_div_zero 0
	.end_amdhsa_kernel
	.section	.text._ZN7rocprim17ROCPRIM_400000_NS6detail17trampoline_kernelINS0_14default_configENS1_22reduce_config_selectorIbEEZNS1_11reduce_implILb1ES3_N6hipcub16HIPCUB_304000_NS22TransformInputIteratorIb7NonZeroIiEPilEEPllNS8_6detail34convert_binary_result_type_wrapperINS8_3SumESD_lEEEE10hipError_tPvRmT1_T2_T3_mT4_P12ihipStream_tbEUlT_E0_NS1_11comp_targetILNS1_3genE10ELNS1_11target_archE1201ELNS1_3gpuE5ELNS1_3repE0EEENS1_30default_config_static_selectorELNS0_4arch9wavefront6targetE1EEEvSM_,"axG",@progbits,_ZN7rocprim17ROCPRIM_400000_NS6detail17trampoline_kernelINS0_14default_configENS1_22reduce_config_selectorIbEEZNS1_11reduce_implILb1ES3_N6hipcub16HIPCUB_304000_NS22TransformInputIteratorIb7NonZeroIiEPilEEPllNS8_6detail34convert_binary_result_type_wrapperINS8_3SumESD_lEEEE10hipError_tPvRmT1_T2_T3_mT4_P12ihipStream_tbEUlT_E0_NS1_11comp_targetILNS1_3genE10ELNS1_11target_archE1201ELNS1_3gpuE5ELNS1_3repE0EEENS1_30default_config_static_selectorELNS0_4arch9wavefront6targetE1EEEvSM_,comdat
.Lfunc_end172:
	.size	_ZN7rocprim17ROCPRIM_400000_NS6detail17trampoline_kernelINS0_14default_configENS1_22reduce_config_selectorIbEEZNS1_11reduce_implILb1ES3_N6hipcub16HIPCUB_304000_NS22TransformInputIteratorIb7NonZeroIiEPilEEPllNS8_6detail34convert_binary_result_type_wrapperINS8_3SumESD_lEEEE10hipError_tPvRmT1_T2_T3_mT4_P12ihipStream_tbEUlT_E0_NS1_11comp_targetILNS1_3genE10ELNS1_11target_archE1201ELNS1_3gpuE5ELNS1_3repE0EEENS1_30default_config_static_selectorELNS0_4arch9wavefront6targetE1EEEvSM_, .Lfunc_end172-_ZN7rocprim17ROCPRIM_400000_NS6detail17trampoline_kernelINS0_14default_configENS1_22reduce_config_selectorIbEEZNS1_11reduce_implILb1ES3_N6hipcub16HIPCUB_304000_NS22TransformInputIteratorIb7NonZeroIiEPilEEPllNS8_6detail34convert_binary_result_type_wrapperINS8_3SumESD_lEEEE10hipError_tPvRmT1_T2_T3_mT4_P12ihipStream_tbEUlT_E0_NS1_11comp_targetILNS1_3genE10ELNS1_11target_archE1201ELNS1_3gpuE5ELNS1_3repE0EEENS1_30default_config_static_selectorELNS0_4arch9wavefront6targetE1EEEvSM_
                                        ; -- End function
	.set _ZN7rocprim17ROCPRIM_400000_NS6detail17trampoline_kernelINS0_14default_configENS1_22reduce_config_selectorIbEEZNS1_11reduce_implILb1ES3_N6hipcub16HIPCUB_304000_NS22TransformInputIteratorIb7NonZeroIiEPilEEPllNS8_6detail34convert_binary_result_type_wrapperINS8_3SumESD_lEEEE10hipError_tPvRmT1_T2_T3_mT4_P12ihipStream_tbEUlT_E0_NS1_11comp_targetILNS1_3genE10ELNS1_11target_archE1201ELNS1_3gpuE5ELNS1_3repE0EEENS1_30default_config_static_selectorELNS0_4arch9wavefront6targetE1EEEvSM_.num_vgpr, 0
	.set _ZN7rocprim17ROCPRIM_400000_NS6detail17trampoline_kernelINS0_14default_configENS1_22reduce_config_selectorIbEEZNS1_11reduce_implILb1ES3_N6hipcub16HIPCUB_304000_NS22TransformInputIteratorIb7NonZeroIiEPilEEPllNS8_6detail34convert_binary_result_type_wrapperINS8_3SumESD_lEEEE10hipError_tPvRmT1_T2_T3_mT4_P12ihipStream_tbEUlT_E0_NS1_11comp_targetILNS1_3genE10ELNS1_11target_archE1201ELNS1_3gpuE5ELNS1_3repE0EEENS1_30default_config_static_selectorELNS0_4arch9wavefront6targetE1EEEvSM_.num_agpr, 0
	.set _ZN7rocprim17ROCPRIM_400000_NS6detail17trampoline_kernelINS0_14default_configENS1_22reduce_config_selectorIbEEZNS1_11reduce_implILb1ES3_N6hipcub16HIPCUB_304000_NS22TransformInputIteratorIb7NonZeroIiEPilEEPllNS8_6detail34convert_binary_result_type_wrapperINS8_3SumESD_lEEEE10hipError_tPvRmT1_T2_T3_mT4_P12ihipStream_tbEUlT_E0_NS1_11comp_targetILNS1_3genE10ELNS1_11target_archE1201ELNS1_3gpuE5ELNS1_3repE0EEENS1_30default_config_static_selectorELNS0_4arch9wavefront6targetE1EEEvSM_.numbered_sgpr, 0
	.set _ZN7rocprim17ROCPRIM_400000_NS6detail17trampoline_kernelINS0_14default_configENS1_22reduce_config_selectorIbEEZNS1_11reduce_implILb1ES3_N6hipcub16HIPCUB_304000_NS22TransformInputIteratorIb7NonZeroIiEPilEEPllNS8_6detail34convert_binary_result_type_wrapperINS8_3SumESD_lEEEE10hipError_tPvRmT1_T2_T3_mT4_P12ihipStream_tbEUlT_E0_NS1_11comp_targetILNS1_3genE10ELNS1_11target_archE1201ELNS1_3gpuE5ELNS1_3repE0EEENS1_30default_config_static_selectorELNS0_4arch9wavefront6targetE1EEEvSM_.num_named_barrier, 0
	.set _ZN7rocprim17ROCPRIM_400000_NS6detail17trampoline_kernelINS0_14default_configENS1_22reduce_config_selectorIbEEZNS1_11reduce_implILb1ES3_N6hipcub16HIPCUB_304000_NS22TransformInputIteratorIb7NonZeroIiEPilEEPllNS8_6detail34convert_binary_result_type_wrapperINS8_3SumESD_lEEEE10hipError_tPvRmT1_T2_T3_mT4_P12ihipStream_tbEUlT_E0_NS1_11comp_targetILNS1_3genE10ELNS1_11target_archE1201ELNS1_3gpuE5ELNS1_3repE0EEENS1_30default_config_static_selectorELNS0_4arch9wavefront6targetE1EEEvSM_.private_seg_size, 0
	.set _ZN7rocprim17ROCPRIM_400000_NS6detail17trampoline_kernelINS0_14default_configENS1_22reduce_config_selectorIbEEZNS1_11reduce_implILb1ES3_N6hipcub16HIPCUB_304000_NS22TransformInputIteratorIb7NonZeroIiEPilEEPllNS8_6detail34convert_binary_result_type_wrapperINS8_3SumESD_lEEEE10hipError_tPvRmT1_T2_T3_mT4_P12ihipStream_tbEUlT_E0_NS1_11comp_targetILNS1_3genE10ELNS1_11target_archE1201ELNS1_3gpuE5ELNS1_3repE0EEENS1_30default_config_static_selectorELNS0_4arch9wavefront6targetE1EEEvSM_.uses_vcc, 0
	.set _ZN7rocprim17ROCPRIM_400000_NS6detail17trampoline_kernelINS0_14default_configENS1_22reduce_config_selectorIbEEZNS1_11reduce_implILb1ES3_N6hipcub16HIPCUB_304000_NS22TransformInputIteratorIb7NonZeroIiEPilEEPllNS8_6detail34convert_binary_result_type_wrapperINS8_3SumESD_lEEEE10hipError_tPvRmT1_T2_T3_mT4_P12ihipStream_tbEUlT_E0_NS1_11comp_targetILNS1_3genE10ELNS1_11target_archE1201ELNS1_3gpuE5ELNS1_3repE0EEENS1_30default_config_static_selectorELNS0_4arch9wavefront6targetE1EEEvSM_.uses_flat_scratch, 0
	.set _ZN7rocprim17ROCPRIM_400000_NS6detail17trampoline_kernelINS0_14default_configENS1_22reduce_config_selectorIbEEZNS1_11reduce_implILb1ES3_N6hipcub16HIPCUB_304000_NS22TransformInputIteratorIb7NonZeroIiEPilEEPllNS8_6detail34convert_binary_result_type_wrapperINS8_3SumESD_lEEEE10hipError_tPvRmT1_T2_T3_mT4_P12ihipStream_tbEUlT_E0_NS1_11comp_targetILNS1_3genE10ELNS1_11target_archE1201ELNS1_3gpuE5ELNS1_3repE0EEENS1_30default_config_static_selectorELNS0_4arch9wavefront6targetE1EEEvSM_.has_dyn_sized_stack, 0
	.set _ZN7rocprim17ROCPRIM_400000_NS6detail17trampoline_kernelINS0_14default_configENS1_22reduce_config_selectorIbEEZNS1_11reduce_implILb1ES3_N6hipcub16HIPCUB_304000_NS22TransformInputIteratorIb7NonZeroIiEPilEEPllNS8_6detail34convert_binary_result_type_wrapperINS8_3SumESD_lEEEE10hipError_tPvRmT1_T2_T3_mT4_P12ihipStream_tbEUlT_E0_NS1_11comp_targetILNS1_3genE10ELNS1_11target_archE1201ELNS1_3gpuE5ELNS1_3repE0EEENS1_30default_config_static_selectorELNS0_4arch9wavefront6targetE1EEEvSM_.has_recursion, 0
	.set _ZN7rocprim17ROCPRIM_400000_NS6detail17trampoline_kernelINS0_14default_configENS1_22reduce_config_selectorIbEEZNS1_11reduce_implILb1ES3_N6hipcub16HIPCUB_304000_NS22TransformInputIteratorIb7NonZeroIiEPilEEPllNS8_6detail34convert_binary_result_type_wrapperINS8_3SumESD_lEEEE10hipError_tPvRmT1_T2_T3_mT4_P12ihipStream_tbEUlT_E0_NS1_11comp_targetILNS1_3genE10ELNS1_11target_archE1201ELNS1_3gpuE5ELNS1_3repE0EEENS1_30default_config_static_selectorELNS0_4arch9wavefront6targetE1EEEvSM_.has_indirect_call, 0
	.section	.AMDGPU.csdata,"",@progbits
; Kernel info:
; codeLenInByte = 0
; TotalNumSgprs: 4
; NumVgprs: 0
; ScratchSize: 0
; MemoryBound: 0
; FloatMode: 240
; IeeeMode: 1
; LDSByteSize: 0 bytes/workgroup (compile time only)
; SGPRBlocks: 0
; VGPRBlocks: 0
; NumSGPRsForWavesPerEU: 4
; NumVGPRsForWavesPerEU: 1
; Occupancy: 10
; WaveLimiterHint : 0
; COMPUTE_PGM_RSRC2:SCRATCH_EN: 0
; COMPUTE_PGM_RSRC2:USER_SGPR: 6
; COMPUTE_PGM_RSRC2:TRAP_HANDLER: 0
; COMPUTE_PGM_RSRC2:TGID_X_EN: 1
; COMPUTE_PGM_RSRC2:TGID_Y_EN: 0
; COMPUTE_PGM_RSRC2:TGID_Z_EN: 0
; COMPUTE_PGM_RSRC2:TIDIG_COMP_CNT: 0
	.section	.text._ZN7rocprim17ROCPRIM_400000_NS6detail17trampoline_kernelINS0_14default_configENS1_22reduce_config_selectorIbEEZNS1_11reduce_implILb1ES3_N6hipcub16HIPCUB_304000_NS22TransformInputIteratorIb7NonZeroIiEPilEEPllNS8_6detail34convert_binary_result_type_wrapperINS8_3SumESD_lEEEE10hipError_tPvRmT1_T2_T3_mT4_P12ihipStream_tbEUlT_E0_NS1_11comp_targetILNS1_3genE10ELNS1_11target_archE1200ELNS1_3gpuE4ELNS1_3repE0EEENS1_30default_config_static_selectorELNS0_4arch9wavefront6targetE1EEEvSM_,"axG",@progbits,_ZN7rocprim17ROCPRIM_400000_NS6detail17trampoline_kernelINS0_14default_configENS1_22reduce_config_selectorIbEEZNS1_11reduce_implILb1ES3_N6hipcub16HIPCUB_304000_NS22TransformInputIteratorIb7NonZeroIiEPilEEPllNS8_6detail34convert_binary_result_type_wrapperINS8_3SumESD_lEEEE10hipError_tPvRmT1_T2_T3_mT4_P12ihipStream_tbEUlT_E0_NS1_11comp_targetILNS1_3genE10ELNS1_11target_archE1200ELNS1_3gpuE4ELNS1_3repE0EEENS1_30default_config_static_selectorELNS0_4arch9wavefront6targetE1EEEvSM_,comdat
	.protected	_ZN7rocprim17ROCPRIM_400000_NS6detail17trampoline_kernelINS0_14default_configENS1_22reduce_config_selectorIbEEZNS1_11reduce_implILb1ES3_N6hipcub16HIPCUB_304000_NS22TransformInputIteratorIb7NonZeroIiEPilEEPllNS8_6detail34convert_binary_result_type_wrapperINS8_3SumESD_lEEEE10hipError_tPvRmT1_T2_T3_mT4_P12ihipStream_tbEUlT_E0_NS1_11comp_targetILNS1_3genE10ELNS1_11target_archE1200ELNS1_3gpuE4ELNS1_3repE0EEENS1_30default_config_static_selectorELNS0_4arch9wavefront6targetE1EEEvSM_ ; -- Begin function _ZN7rocprim17ROCPRIM_400000_NS6detail17trampoline_kernelINS0_14default_configENS1_22reduce_config_selectorIbEEZNS1_11reduce_implILb1ES3_N6hipcub16HIPCUB_304000_NS22TransformInputIteratorIb7NonZeroIiEPilEEPllNS8_6detail34convert_binary_result_type_wrapperINS8_3SumESD_lEEEE10hipError_tPvRmT1_T2_T3_mT4_P12ihipStream_tbEUlT_E0_NS1_11comp_targetILNS1_3genE10ELNS1_11target_archE1200ELNS1_3gpuE4ELNS1_3repE0EEENS1_30default_config_static_selectorELNS0_4arch9wavefront6targetE1EEEvSM_
	.globl	_ZN7rocprim17ROCPRIM_400000_NS6detail17trampoline_kernelINS0_14default_configENS1_22reduce_config_selectorIbEEZNS1_11reduce_implILb1ES3_N6hipcub16HIPCUB_304000_NS22TransformInputIteratorIb7NonZeroIiEPilEEPllNS8_6detail34convert_binary_result_type_wrapperINS8_3SumESD_lEEEE10hipError_tPvRmT1_T2_T3_mT4_P12ihipStream_tbEUlT_E0_NS1_11comp_targetILNS1_3genE10ELNS1_11target_archE1200ELNS1_3gpuE4ELNS1_3repE0EEENS1_30default_config_static_selectorELNS0_4arch9wavefront6targetE1EEEvSM_
	.p2align	8
	.type	_ZN7rocprim17ROCPRIM_400000_NS6detail17trampoline_kernelINS0_14default_configENS1_22reduce_config_selectorIbEEZNS1_11reduce_implILb1ES3_N6hipcub16HIPCUB_304000_NS22TransformInputIteratorIb7NonZeroIiEPilEEPllNS8_6detail34convert_binary_result_type_wrapperINS8_3SumESD_lEEEE10hipError_tPvRmT1_T2_T3_mT4_P12ihipStream_tbEUlT_E0_NS1_11comp_targetILNS1_3genE10ELNS1_11target_archE1200ELNS1_3gpuE4ELNS1_3repE0EEENS1_30default_config_static_selectorELNS0_4arch9wavefront6targetE1EEEvSM_,@function
_ZN7rocprim17ROCPRIM_400000_NS6detail17trampoline_kernelINS0_14default_configENS1_22reduce_config_selectorIbEEZNS1_11reduce_implILb1ES3_N6hipcub16HIPCUB_304000_NS22TransformInputIteratorIb7NonZeroIiEPilEEPllNS8_6detail34convert_binary_result_type_wrapperINS8_3SumESD_lEEEE10hipError_tPvRmT1_T2_T3_mT4_P12ihipStream_tbEUlT_E0_NS1_11comp_targetILNS1_3genE10ELNS1_11target_archE1200ELNS1_3gpuE4ELNS1_3repE0EEENS1_30default_config_static_selectorELNS0_4arch9wavefront6targetE1EEEvSM_: ; @_ZN7rocprim17ROCPRIM_400000_NS6detail17trampoline_kernelINS0_14default_configENS1_22reduce_config_selectorIbEEZNS1_11reduce_implILb1ES3_N6hipcub16HIPCUB_304000_NS22TransformInputIteratorIb7NonZeroIiEPilEEPllNS8_6detail34convert_binary_result_type_wrapperINS8_3SumESD_lEEEE10hipError_tPvRmT1_T2_T3_mT4_P12ihipStream_tbEUlT_E0_NS1_11comp_targetILNS1_3genE10ELNS1_11target_archE1200ELNS1_3gpuE4ELNS1_3repE0EEENS1_30default_config_static_selectorELNS0_4arch9wavefront6targetE1EEEvSM_
; %bb.0:
	.section	.rodata,"a",@progbits
	.p2align	6, 0x0
	.amdhsa_kernel _ZN7rocprim17ROCPRIM_400000_NS6detail17trampoline_kernelINS0_14default_configENS1_22reduce_config_selectorIbEEZNS1_11reduce_implILb1ES3_N6hipcub16HIPCUB_304000_NS22TransformInputIteratorIb7NonZeroIiEPilEEPllNS8_6detail34convert_binary_result_type_wrapperINS8_3SumESD_lEEEE10hipError_tPvRmT1_T2_T3_mT4_P12ihipStream_tbEUlT_E0_NS1_11comp_targetILNS1_3genE10ELNS1_11target_archE1200ELNS1_3gpuE4ELNS1_3repE0EEENS1_30default_config_static_selectorELNS0_4arch9wavefront6targetE1EEEvSM_
		.amdhsa_group_segment_fixed_size 0
		.amdhsa_private_segment_fixed_size 0
		.amdhsa_kernarg_size 72
		.amdhsa_user_sgpr_count 6
		.amdhsa_user_sgpr_private_segment_buffer 1
		.amdhsa_user_sgpr_dispatch_ptr 0
		.amdhsa_user_sgpr_queue_ptr 0
		.amdhsa_user_sgpr_kernarg_segment_ptr 1
		.amdhsa_user_sgpr_dispatch_id 0
		.amdhsa_user_sgpr_flat_scratch_init 0
		.amdhsa_user_sgpr_private_segment_size 0
		.amdhsa_uses_dynamic_stack 0
		.amdhsa_system_sgpr_private_segment_wavefront_offset 0
		.amdhsa_system_sgpr_workgroup_id_x 1
		.amdhsa_system_sgpr_workgroup_id_y 0
		.amdhsa_system_sgpr_workgroup_id_z 0
		.amdhsa_system_sgpr_workgroup_info 0
		.amdhsa_system_vgpr_workitem_id 0
		.amdhsa_next_free_vgpr 1
		.amdhsa_next_free_sgpr 0
		.amdhsa_reserve_vcc 0
		.amdhsa_reserve_flat_scratch 0
		.amdhsa_float_round_mode_32 0
		.amdhsa_float_round_mode_16_64 0
		.amdhsa_float_denorm_mode_32 3
		.amdhsa_float_denorm_mode_16_64 3
		.amdhsa_dx10_clamp 1
		.amdhsa_ieee_mode 1
		.amdhsa_fp16_overflow 0
		.amdhsa_exception_fp_ieee_invalid_op 0
		.amdhsa_exception_fp_denorm_src 0
		.amdhsa_exception_fp_ieee_div_zero 0
		.amdhsa_exception_fp_ieee_overflow 0
		.amdhsa_exception_fp_ieee_underflow 0
		.amdhsa_exception_fp_ieee_inexact 0
		.amdhsa_exception_int_div_zero 0
	.end_amdhsa_kernel
	.section	.text._ZN7rocprim17ROCPRIM_400000_NS6detail17trampoline_kernelINS0_14default_configENS1_22reduce_config_selectorIbEEZNS1_11reduce_implILb1ES3_N6hipcub16HIPCUB_304000_NS22TransformInputIteratorIb7NonZeroIiEPilEEPllNS8_6detail34convert_binary_result_type_wrapperINS8_3SumESD_lEEEE10hipError_tPvRmT1_T2_T3_mT4_P12ihipStream_tbEUlT_E0_NS1_11comp_targetILNS1_3genE10ELNS1_11target_archE1200ELNS1_3gpuE4ELNS1_3repE0EEENS1_30default_config_static_selectorELNS0_4arch9wavefront6targetE1EEEvSM_,"axG",@progbits,_ZN7rocprim17ROCPRIM_400000_NS6detail17trampoline_kernelINS0_14default_configENS1_22reduce_config_selectorIbEEZNS1_11reduce_implILb1ES3_N6hipcub16HIPCUB_304000_NS22TransformInputIteratorIb7NonZeroIiEPilEEPllNS8_6detail34convert_binary_result_type_wrapperINS8_3SumESD_lEEEE10hipError_tPvRmT1_T2_T3_mT4_P12ihipStream_tbEUlT_E0_NS1_11comp_targetILNS1_3genE10ELNS1_11target_archE1200ELNS1_3gpuE4ELNS1_3repE0EEENS1_30default_config_static_selectorELNS0_4arch9wavefront6targetE1EEEvSM_,comdat
.Lfunc_end173:
	.size	_ZN7rocprim17ROCPRIM_400000_NS6detail17trampoline_kernelINS0_14default_configENS1_22reduce_config_selectorIbEEZNS1_11reduce_implILb1ES3_N6hipcub16HIPCUB_304000_NS22TransformInputIteratorIb7NonZeroIiEPilEEPllNS8_6detail34convert_binary_result_type_wrapperINS8_3SumESD_lEEEE10hipError_tPvRmT1_T2_T3_mT4_P12ihipStream_tbEUlT_E0_NS1_11comp_targetILNS1_3genE10ELNS1_11target_archE1200ELNS1_3gpuE4ELNS1_3repE0EEENS1_30default_config_static_selectorELNS0_4arch9wavefront6targetE1EEEvSM_, .Lfunc_end173-_ZN7rocprim17ROCPRIM_400000_NS6detail17trampoline_kernelINS0_14default_configENS1_22reduce_config_selectorIbEEZNS1_11reduce_implILb1ES3_N6hipcub16HIPCUB_304000_NS22TransformInputIteratorIb7NonZeroIiEPilEEPllNS8_6detail34convert_binary_result_type_wrapperINS8_3SumESD_lEEEE10hipError_tPvRmT1_T2_T3_mT4_P12ihipStream_tbEUlT_E0_NS1_11comp_targetILNS1_3genE10ELNS1_11target_archE1200ELNS1_3gpuE4ELNS1_3repE0EEENS1_30default_config_static_selectorELNS0_4arch9wavefront6targetE1EEEvSM_
                                        ; -- End function
	.set _ZN7rocprim17ROCPRIM_400000_NS6detail17trampoline_kernelINS0_14default_configENS1_22reduce_config_selectorIbEEZNS1_11reduce_implILb1ES3_N6hipcub16HIPCUB_304000_NS22TransformInputIteratorIb7NonZeroIiEPilEEPllNS8_6detail34convert_binary_result_type_wrapperINS8_3SumESD_lEEEE10hipError_tPvRmT1_T2_T3_mT4_P12ihipStream_tbEUlT_E0_NS1_11comp_targetILNS1_3genE10ELNS1_11target_archE1200ELNS1_3gpuE4ELNS1_3repE0EEENS1_30default_config_static_selectorELNS0_4arch9wavefront6targetE1EEEvSM_.num_vgpr, 0
	.set _ZN7rocprim17ROCPRIM_400000_NS6detail17trampoline_kernelINS0_14default_configENS1_22reduce_config_selectorIbEEZNS1_11reduce_implILb1ES3_N6hipcub16HIPCUB_304000_NS22TransformInputIteratorIb7NonZeroIiEPilEEPllNS8_6detail34convert_binary_result_type_wrapperINS8_3SumESD_lEEEE10hipError_tPvRmT1_T2_T3_mT4_P12ihipStream_tbEUlT_E0_NS1_11comp_targetILNS1_3genE10ELNS1_11target_archE1200ELNS1_3gpuE4ELNS1_3repE0EEENS1_30default_config_static_selectorELNS0_4arch9wavefront6targetE1EEEvSM_.num_agpr, 0
	.set _ZN7rocprim17ROCPRIM_400000_NS6detail17trampoline_kernelINS0_14default_configENS1_22reduce_config_selectorIbEEZNS1_11reduce_implILb1ES3_N6hipcub16HIPCUB_304000_NS22TransformInputIteratorIb7NonZeroIiEPilEEPllNS8_6detail34convert_binary_result_type_wrapperINS8_3SumESD_lEEEE10hipError_tPvRmT1_T2_T3_mT4_P12ihipStream_tbEUlT_E0_NS1_11comp_targetILNS1_3genE10ELNS1_11target_archE1200ELNS1_3gpuE4ELNS1_3repE0EEENS1_30default_config_static_selectorELNS0_4arch9wavefront6targetE1EEEvSM_.numbered_sgpr, 0
	.set _ZN7rocprim17ROCPRIM_400000_NS6detail17trampoline_kernelINS0_14default_configENS1_22reduce_config_selectorIbEEZNS1_11reduce_implILb1ES3_N6hipcub16HIPCUB_304000_NS22TransformInputIteratorIb7NonZeroIiEPilEEPllNS8_6detail34convert_binary_result_type_wrapperINS8_3SumESD_lEEEE10hipError_tPvRmT1_T2_T3_mT4_P12ihipStream_tbEUlT_E0_NS1_11comp_targetILNS1_3genE10ELNS1_11target_archE1200ELNS1_3gpuE4ELNS1_3repE0EEENS1_30default_config_static_selectorELNS0_4arch9wavefront6targetE1EEEvSM_.num_named_barrier, 0
	.set _ZN7rocprim17ROCPRIM_400000_NS6detail17trampoline_kernelINS0_14default_configENS1_22reduce_config_selectorIbEEZNS1_11reduce_implILb1ES3_N6hipcub16HIPCUB_304000_NS22TransformInputIteratorIb7NonZeroIiEPilEEPllNS8_6detail34convert_binary_result_type_wrapperINS8_3SumESD_lEEEE10hipError_tPvRmT1_T2_T3_mT4_P12ihipStream_tbEUlT_E0_NS1_11comp_targetILNS1_3genE10ELNS1_11target_archE1200ELNS1_3gpuE4ELNS1_3repE0EEENS1_30default_config_static_selectorELNS0_4arch9wavefront6targetE1EEEvSM_.private_seg_size, 0
	.set _ZN7rocprim17ROCPRIM_400000_NS6detail17trampoline_kernelINS0_14default_configENS1_22reduce_config_selectorIbEEZNS1_11reduce_implILb1ES3_N6hipcub16HIPCUB_304000_NS22TransformInputIteratorIb7NonZeroIiEPilEEPllNS8_6detail34convert_binary_result_type_wrapperINS8_3SumESD_lEEEE10hipError_tPvRmT1_T2_T3_mT4_P12ihipStream_tbEUlT_E0_NS1_11comp_targetILNS1_3genE10ELNS1_11target_archE1200ELNS1_3gpuE4ELNS1_3repE0EEENS1_30default_config_static_selectorELNS0_4arch9wavefront6targetE1EEEvSM_.uses_vcc, 0
	.set _ZN7rocprim17ROCPRIM_400000_NS6detail17trampoline_kernelINS0_14default_configENS1_22reduce_config_selectorIbEEZNS1_11reduce_implILb1ES3_N6hipcub16HIPCUB_304000_NS22TransformInputIteratorIb7NonZeroIiEPilEEPllNS8_6detail34convert_binary_result_type_wrapperINS8_3SumESD_lEEEE10hipError_tPvRmT1_T2_T3_mT4_P12ihipStream_tbEUlT_E0_NS1_11comp_targetILNS1_3genE10ELNS1_11target_archE1200ELNS1_3gpuE4ELNS1_3repE0EEENS1_30default_config_static_selectorELNS0_4arch9wavefront6targetE1EEEvSM_.uses_flat_scratch, 0
	.set _ZN7rocprim17ROCPRIM_400000_NS6detail17trampoline_kernelINS0_14default_configENS1_22reduce_config_selectorIbEEZNS1_11reduce_implILb1ES3_N6hipcub16HIPCUB_304000_NS22TransformInputIteratorIb7NonZeroIiEPilEEPllNS8_6detail34convert_binary_result_type_wrapperINS8_3SumESD_lEEEE10hipError_tPvRmT1_T2_T3_mT4_P12ihipStream_tbEUlT_E0_NS1_11comp_targetILNS1_3genE10ELNS1_11target_archE1200ELNS1_3gpuE4ELNS1_3repE0EEENS1_30default_config_static_selectorELNS0_4arch9wavefront6targetE1EEEvSM_.has_dyn_sized_stack, 0
	.set _ZN7rocprim17ROCPRIM_400000_NS6detail17trampoline_kernelINS0_14default_configENS1_22reduce_config_selectorIbEEZNS1_11reduce_implILb1ES3_N6hipcub16HIPCUB_304000_NS22TransformInputIteratorIb7NonZeroIiEPilEEPllNS8_6detail34convert_binary_result_type_wrapperINS8_3SumESD_lEEEE10hipError_tPvRmT1_T2_T3_mT4_P12ihipStream_tbEUlT_E0_NS1_11comp_targetILNS1_3genE10ELNS1_11target_archE1200ELNS1_3gpuE4ELNS1_3repE0EEENS1_30default_config_static_selectorELNS0_4arch9wavefront6targetE1EEEvSM_.has_recursion, 0
	.set _ZN7rocprim17ROCPRIM_400000_NS6detail17trampoline_kernelINS0_14default_configENS1_22reduce_config_selectorIbEEZNS1_11reduce_implILb1ES3_N6hipcub16HIPCUB_304000_NS22TransformInputIteratorIb7NonZeroIiEPilEEPllNS8_6detail34convert_binary_result_type_wrapperINS8_3SumESD_lEEEE10hipError_tPvRmT1_T2_T3_mT4_P12ihipStream_tbEUlT_E0_NS1_11comp_targetILNS1_3genE10ELNS1_11target_archE1200ELNS1_3gpuE4ELNS1_3repE0EEENS1_30default_config_static_selectorELNS0_4arch9wavefront6targetE1EEEvSM_.has_indirect_call, 0
	.section	.AMDGPU.csdata,"",@progbits
; Kernel info:
; codeLenInByte = 0
; TotalNumSgprs: 4
; NumVgprs: 0
; ScratchSize: 0
; MemoryBound: 0
; FloatMode: 240
; IeeeMode: 1
; LDSByteSize: 0 bytes/workgroup (compile time only)
; SGPRBlocks: 0
; VGPRBlocks: 0
; NumSGPRsForWavesPerEU: 4
; NumVGPRsForWavesPerEU: 1
; Occupancy: 10
; WaveLimiterHint : 0
; COMPUTE_PGM_RSRC2:SCRATCH_EN: 0
; COMPUTE_PGM_RSRC2:USER_SGPR: 6
; COMPUTE_PGM_RSRC2:TRAP_HANDLER: 0
; COMPUTE_PGM_RSRC2:TGID_X_EN: 1
; COMPUTE_PGM_RSRC2:TGID_Y_EN: 0
; COMPUTE_PGM_RSRC2:TGID_Z_EN: 0
; COMPUTE_PGM_RSRC2:TIDIG_COMP_CNT: 0
	.section	.text._ZN7rocprim17ROCPRIM_400000_NS6detail17trampoline_kernelINS0_14default_configENS1_22reduce_config_selectorIbEEZNS1_11reduce_implILb1ES3_N6hipcub16HIPCUB_304000_NS22TransformInputIteratorIb7NonZeroIiEPilEEPllNS8_6detail34convert_binary_result_type_wrapperINS8_3SumESD_lEEEE10hipError_tPvRmT1_T2_T3_mT4_P12ihipStream_tbEUlT_E0_NS1_11comp_targetILNS1_3genE9ELNS1_11target_archE1100ELNS1_3gpuE3ELNS1_3repE0EEENS1_30default_config_static_selectorELNS0_4arch9wavefront6targetE1EEEvSM_,"axG",@progbits,_ZN7rocprim17ROCPRIM_400000_NS6detail17trampoline_kernelINS0_14default_configENS1_22reduce_config_selectorIbEEZNS1_11reduce_implILb1ES3_N6hipcub16HIPCUB_304000_NS22TransformInputIteratorIb7NonZeroIiEPilEEPllNS8_6detail34convert_binary_result_type_wrapperINS8_3SumESD_lEEEE10hipError_tPvRmT1_T2_T3_mT4_P12ihipStream_tbEUlT_E0_NS1_11comp_targetILNS1_3genE9ELNS1_11target_archE1100ELNS1_3gpuE3ELNS1_3repE0EEENS1_30default_config_static_selectorELNS0_4arch9wavefront6targetE1EEEvSM_,comdat
	.protected	_ZN7rocprim17ROCPRIM_400000_NS6detail17trampoline_kernelINS0_14default_configENS1_22reduce_config_selectorIbEEZNS1_11reduce_implILb1ES3_N6hipcub16HIPCUB_304000_NS22TransformInputIteratorIb7NonZeroIiEPilEEPllNS8_6detail34convert_binary_result_type_wrapperINS8_3SumESD_lEEEE10hipError_tPvRmT1_T2_T3_mT4_P12ihipStream_tbEUlT_E0_NS1_11comp_targetILNS1_3genE9ELNS1_11target_archE1100ELNS1_3gpuE3ELNS1_3repE0EEENS1_30default_config_static_selectorELNS0_4arch9wavefront6targetE1EEEvSM_ ; -- Begin function _ZN7rocprim17ROCPRIM_400000_NS6detail17trampoline_kernelINS0_14default_configENS1_22reduce_config_selectorIbEEZNS1_11reduce_implILb1ES3_N6hipcub16HIPCUB_304000_NS22TransformInputIteratorIb7NonZeroIiEPilEEPllNS8_6detail34convert_binary_result_type_wrapperINS8_3SumESD_lEEEE10hipError_tPvRmT1_T2_T3_mT4_P12ihipStream_tbEUlT_E0_NS1_11comp_targetILNS1_3genE9ELNS1_11target_archE1100ELNS1_3gpuE3ELNS1_3repE0EEENS1_30default_config_static_selectorELNS0_4arch9wavefront6targetE1EEEvSM_
	.globl	_ZN7rocprim17ROCPRIM_400000_NS6detail17trampoline_kernelINS0_14default_configENS1_22reduce_config_selectorIbEEZNS1_11reduce_implILb1ES3_N6hipcub16HIPCUB_304000_NS22TransformInputIteratorIb7NonZeroIiEPilEEPllNS8_6detail34convert_binary_result_type_wrapperINS8_3SumESD_lEEEE10hipError_tPvRmT1_T2_T3_mT4_P12ihipStream_tbEUlT_E0_NS1_11comp_targetILNS1_3genE9ELNS1_11target_archE1100ELNS1_3gpuE3ELNS1_3repE0EEENS1_30default_config_static_selectorELNS0_4arch9wavefront6targetE1EEEvSM_
	.p2align	8
	.type	_ZN7rocprim17ROCPRIM_400000_NS6detail17trampoline_kernelINS0_14default_configENS1_22reduce_config_selectorIbEEZNS1_11reduce_implILb1ES3_N6hipcub16HIPCUB_304000_NS22TransformInputIteratorIb7NonZeroIiEPilEEPllNS8_6detail34convert_binary_result_type_wrapperINS8_3SumESD_lEEEE10hipError_tPvRmT1_T2_T3_mT4_P12ihipStream_tbEUlT_E0_NS1_11comp_targetILNS1_3genE9ELNS1_11target_archE1100ELNS1_3gpuE3ELNS1_3repE0EEENS1_30default_config_static_selectorELNS0_4arch9wavefront6targetE1EEEvSM_,@function
_ZN7rocprim17ROCPRIM_400000_NS6detail17trampoline_kernelINS0_14default_configENS1_22reduce_config_selectorIbEEZNS1_11reduce_implILb1ES3_N6hipcub16HIPCUB_304000_NS22TransformInputIteratorIb7NonZeroIiEPilEEPllNS8_6detail34convert_binary_result_type_wrapperINS8_3SumESD_lEEEE10hipError_tPvRmT1_T2_T3_mT4_P12ihipStream_tbEUlT_E0_NS1_11comp_targetILNS1_3genE9ELNS1_11target_archE1100ELNS1_3gpuE3ELNS1_3repE0EEENS1_30default_config_static_selectorELNS0_4arch9wavefront6targetE1EEEvSM_: ; @_ZN7rocprim17ROCPRIM_400000_NS6detail17trampoline_kernelINS0_14default_configENS1_22reduce_config_selectorIbEEZNS1_11reduce_implILb1ES3_N6hipcub16HIPCUB_304000_NS22TransformInputIteratorIb7NonZeroIiEPilEEPllNS8_6detail34convert_binary_result_type_wrapperINS8_3SumESD_lEEEE10hipError_tPvRmT1_T2_T3_mT4_P12ihipStream_tbEUlT_E0_NS1_11comp_targetILNS1_3genE9ELNS1_11target_archE1100ELNS1_3gpuE3ELNS1_3repE0EEENS1_30default_config_static_selectorELNS0_4arch9wavefront6targetE1EEEvSM_
; %bb.0:
	.section	.rodata,"a",@progbits
	.p2align	6, 0x0
	.amdhsa_kernel _ZN7rocprim17ROCPRIM_400000_NS6detail17trampoline_kernelINS0_14default_configENS1_22reduce_config_selectorIbEEZNS1_11reduce_implILb1ES3_N6hipcub16HIPCUB_304000_NS22TransformInputIteratorIb7NonZeroIiEPilEEPllNS8_6detail34convert_binary_result_type_wrapperINS8_3SumESD_lEEEE10hipError_tPvRmT1_T2_T3_mT4_P12ihipStream_tbEUlT_E0_NS1_11comp_targetILNS1_3genE9ELNS1_11target_archE1100ELNS1_3gpuE3ELNS1_3repE0EEENS1_30default_config_static_selectorELNS0_4arch9wavefront6targetE1EEEvSM_
		.amdhsa_group_segment_fixed_size 0
		.amdhsa_private_segment_fixed_size 0
		.amdhsa_kernarg_size 72
		.amdhsa_user_sgpr_count 6
		.amdhsa_user_sgpr_private_segment_buffer 1
		.amdhsa_user_sgpr_dispatch_ptr 0
		.amdhsa_user_sgpr_queue_ptr 0
		.amdhsa_user_sgpr_kernarg_segment_ptr 1
		.amdhsa_user_sgpr_dispatch_id 0
		.amdhsa_user_sgpr_flat_scratch_init 0
		.amdhsa_user_sgpr_private_segment_size 0
		.amdhsa_uses_dynamic_stack 0
		.amdhsa_system_sgpr_private_segment_wavefront_offset 0
		.amdhsa_system_sgpr_workgroup_id_x 1
		.amdhsa_system_sgpr_workgroup_id_y 0
		.amdhsa_system_sgpr_workgroup_id_z 0
		.amdhsa_system_sgpr_workgroup_info 0
		.amdhsa_system_vgpr_workitem_id 0
		.amdhsa_next_free_vgpr 1
		.amdhsa_next_free_sgpr 0
		.amdhsa_reserve_vcc 0
		.amdhsa_reserve_flat_scratch 0
		.amdhsa_float_round_mode_32 0
		.amdhsa_float_round_mode_16_64 0
		.amdhsa_float_denorm_mode_32 3
		.amdhsa_float_denorm_mode_16_64 3
		.amdhsa_dx10_clamp 1
		.amdhsa_ieee_mode 1
		.amdhsa_fp16_overflow 0
		.amdhsa_exception_fp_ieee_invalid_op 0
		.amdhsa_exception_fp_denorm_src 0
		.amdhsa_exception_fp_ieee_div_zero 0
		.amdhsa_exception_fp_ieee_overflow 0
		.amdhsa_exception_fp_ieee_underflow 0
		.amdhsa_exception_fp_ieee_inexact 0
		.amdhsa_exception_int_div_zero 0
	.end_amdhsa_kernel
	.section	.text._ZN7rocprim17ROCPRIM_400000_NS6detail17trampoline_kernelINS0_14default_configENS1_22reduce_config_selectorIbEEZNS1_11reduce_implILb1ES3_N6hipcub16HIPCUB_304000_NS22TransformInputIteratorIb7NonZeroIiEPilEEPllNS8_6detail34convert_binary_result_type_wrapperINS8_3SumESD_lEEEE10hipError_tPvRmT1_T2_T3_mT4_P12ihipStream_tbEUlT_E0_NS1_11comp_targetILNS1_3genE9ELNS1_11target_archE1100ELNS1_3gpuE3ELNS1_3repE0EEENS1_30default_config_static_selectorELNS0_4arch9wavefront6targetE1EEEvSM_,"axG",@progbits,_ZN7rocprim17ROCPRIM_400000_NS6detail17trampoline_kernelINS0_14default_configENS1_22reduce_config_selectorIbEEZNS1_11reduce_implILb1ES3_N6hipcub16HIPCUB_304000_NS22TransformInputIteratorIb7NonZeroIiEPilEEPllNS8_6detail34convert_binary_result_type_wrapperINS8_3SumESD_lEEEE10hipError_tPvRmT1_T2_T3_mT4_P12ihipStream_tbEUlT_E0_NS1_11comp_targetILNS1_3genE9ELNS1_11target_archE1100ELNS1_3gpuE3ELNS1_3repE0EEENS1_30default_config_static_selectorELNS0_4arch9wavefront6targetE1EEEvSM_,comdat
.Lfunc_end174:
	.size	_ZN7rocprim17ROCPRIM_400000_NS6detail17trampoline_kernelINS0_14default_configENS1_22reduce_config_selectorIbEEZNS1_11reduce_implILb1ES3_N6hipcub16HIPCUB_304000_NS22TransformInputIteratorIb7NonZeroIiEPilEEPllNS8_6detail34convert_binary_result_type_wrapperINS8_3SumESD_lEEEE10hipError_tPvRmT1_T2_T3_mT4_P12ihipStream_tbEUlT_E0_NS1_11comp_targetILNS1_3genE9ELNS1_11target_archE1100ELNS1_3gpuE3ELNS1_3repE0EEENS1_30default_config_static_selectorELNS0_4arch9wavefront6targetE1EEEvSM_, .Lfunc_end174-_ZN7rocprim17ROCPRIM_400000_NS6detail17trampoline_kernelINS0_14default_configENS1_22reduce_config_selectorIbEEZNS1_11reduce_implILb1ES3_N6hipcub16HIPCUB_304000_NS22TransformInputIteratorIb7NonZeroIiEPilEEPllNS8_6detail34convert_binary_result_type_wrapperINS8_3SumESD_lEEEE10hipError_tPvRmT1_T2_T3_mT4_P12ihipStream_tbEUlT_E0_NS1_11comp_targetILNS1_3genE9ELNS1_11target_archE1100ELNS1_3gpuE3ELNS1_3repE0EEENS1_30default_config_static_selectorELNS0_4arch9wavefront6targetE1EEEvSM_
                                        ; -- End function
	.set _ZN7rocprim17ROCPRIM_400000_NS6detail17trampoline_kernelINS0_14default_configENS1_22reduce_config_selectorIbEEZNS1_11reduce_implILb1ES3_N6hipcub16HIPCUB_304000_NS22TransformInputIteratorIb7NonZeroIiEPilEEPllNS8_6detail34convert_binary_result_type_wrapperINS8_3SumESD_lEEEE10hipError_tPvRmT1_T2_T3_mT4_P12ihipStream_tbEUlT_E0_NS1_11comp_targetILNS1_3genE9ELNS1_11target_archE1100ELNS1_3gpuE3ELNS1_3repE0EEENS1_30default_config_static_selectorELNS0_4arch9wavefront6targetE1EEEvSM_.num_vgpr, 0
	.set _ZN7rocprim17ROCPRIM_400000_NS6detail17trampoline_kernelINS0_14default_configENS1_22reduce_config_selectorIbEEZNS1_11reduce_implILb1ES3_N6hipcub16HIPCUB_304000_NS22TransformInputIteratorIb7NonZeroIiEPilEEPllNS8_6detail34convert_binary_result_type_wrapperINS8_3SumESD_lEEEE10hipError_tPvRmT1_T2_T3_mT4_P12ihipStream_tbEUlT_E0_NS1_11comp_targetILNS1_3genE9ELNS1_11target_archE1100ELNS1_3gpuE3ELNS1_3repE0EEENS1_30default_config_static_selectorELNS0_4arch9wavefront6targetE1EEEvSM_.num_agpr, 0
	.set _ZN7rocprim17ROCPRIM_400000_NS6detail17trampoline_kernelINS0_14default_configENS1_22reduce_config_selectorIbEEZNS1_11reduce_implILb1ES3_N6hipcub16HIPCUB_304000_NS22TransformInputIteratorIb7NonZeroIiEPilEEPllNS8_6detail34convert_binary_result_type_wrapperINS8_3SumESD_lEEEE10hipError_tPvRmT1_T2_T3_mT4_P12ihipStream_tbEUlT_E0_NS1_11comp_targetILNS1_3genE9ELNS1_11target_archE1100ELNS1_3gpuE3ELNS1_3repE0EEENS1_30default_config_static_selectorELNS0_4arch9wavefront6targetE1EEEvSM_.numbered_sgpr, 0
	.set _ZN7rocprim17ROCPRIM_400000_NS6detail17trampoline_kernelINS0_14default_configENS1_22reduce_config_selectorIbEEZNS1_11reduce_implILb1ES3_N6hipcub16HIPCUB_304000_NS22TransformInputIteratorIb7NonZeroIiEPilEEPllNS8_6detail34convert_binary_result_type_wrapperINS8_3SumESD_lEEEE10hipError_tPvRmT1_T2_T3_mT4_P12ihipStream_tbEUlT_E0_NS1_11comp_targetILNS1_3genE9ELNS1_11target_archE1100ELNS1_3gpuE3ELNS1_3repE0EEENS1_30default_config_static_selectorELNS0_4arch9wavefront6targetE1EEEvSM_.num_named_barrier, 0
	.set _ZN7rocprim17ROCPRIM_400000_NS6detail17trampoline_kernelINS0_14default_configENS1_22reduce_config_selectorIbEEZNS1_11reduce_implILb1ES3_N6hipcub16HIPCUB_304000_NS22TransformInputIteratorIb7NonZeroIiEPilEEPllNS8_6detail34convert_binary_result_type_wrapperINS8_3SumESD_lEEEE10hipError_tPvRmT1_T2_T3_mT4_P12ihipStream_tbEUlT_E0_NS1_11comp_targetILNS1_3genE9ELNS1_11target_archE1100ELNS1_3gpuE3ELNS1_3repE0EEENS1_30default_config_static_selectorELNS0_4arch9wavefront6targetE1EEEvSM_.private_seg_size, 0
	.set _ZN7rocprim17ROCPRIM_400000_NS6detail17trampoline_kernelINS0_14default_configENS1_22reduce_config_selectorIbEEZNS1_11reduce_implILb1ES3_N6hipcub16HIPCUB_304000_NS22TransformInputIteratorIb7NonZeroIiEPilEEPllNS8_6detail34convert_binary_result_type_wrapperINS8_3SumESD_lEEEE10hipError_tPvRmT1_T2_T3_mT4_P12ihipStream_tbEUlT_E0_NS1_11comp_targetILNS1_3genE9ELNS1_11target_archE1100ELNS1_3gpuE3ELNS1_3repE0EEENS1_30default_config_static_selectorELNS0_4arch9wavefront6targetE1EEEvSM_.uses_vcc, 0
	.set _ZN7rocprim17ROCPRIM_400000_NS6detail17trampoline_kernelINS0_14default_configENS1_22reduce_config_selectorIbEEZNS1_11reduce_implILb1ES3_N6hipcub16HIPCUB_304000_NS22TransformInputIteratorIb7NonZeroIiEPilEEPllNS8_6detail34convert_binary_result_type_wrapperINS8_3SumESD_lEEEE10hipError_tPvRmT1_T2_T3_mT4_P12ihipStream_tbEUlT_E0_NS1_11comp_targetILNS1_3genE9ELNS1_11target_archE1100ELNS1_3gpuE3ELNS1_3repE0EEENS1_30default_config_static_selectorELNS0_4arch9wavefront6targetE1EEEvSM_.uses_flat_scratch, 0
	.set _ZN7rocprim17ROCPRIM_400000_NS6detail17trampoline_kernelINS0_14default_configENS1_22reduce_config_selectorIbEEZNS1_11reduce_implILb1ES3_N6hipcub16HIPCUB_304000_NS22TransformInputIteratorIb7NonZeroIiEPilEEPllNS8_6detail34convert_binary_result_type_wrapperINS8_3SumESD_lEEEE10hipError_tPvRmT1_T2_T3_mT4_P12ihipStream_tbEUlT_E0_NS1_11comp_targetILNS1_3genE9ELNS1_11target_archE1100ELNS1_3gpuE3ELNS1_3repE0EEENS1_30default_config_static_selectorELNS0_4arch9wavefront6targetE1EEEvSM_.has_dyn_sized_stack, 0
	.set _ZN7rocprim17ROCPRIM_400000_NS6detail17trampoline_kernelINS0_14default_configENS1_22reduce_config_selectorIbEEZNS1_11reduce_implILb1ES3_N6hipcub16HIPCUB_304000_NS22TransformInputIteratorIb7NonZeroIiEPilEEPllNS8_6detail34convert_binary_result_type_wrapperINS8_3SumESD_lEEEE10hipError_tPvRmT1_T2_T3_mT4_P12ihipStream_tbEUlT_E0_NS1_11comp_targetILNS1_3genE9ELNS1_11target_archE1100ELNS1_3gpuE3ELNS1_3repE0EEENS1_30default_config_static_selectorELNS0_4arch9wavefront6targetE1EEEvSM_.has_recursion, 0
	.set _ZN7rocprim17ROCPRIM_400000_NS6detail17trampoline_kernelINS0_14default_configENS1_22reduce_config_selectorIbEEZNS1_11reduce_implILb1ES3_N6hipcub16HIPCUB_304000_NS22TransformInputIteratorIb7NonZeroIiEPilEEPllNS8_6detail34convert_binary_result_type_wrapperINS8_3SumESD_lEEEE10hipError_tPvRmT1_T2_T3_mT4_P12ihipStream_tbEUlT_E0_NS1_11comp_targetILNS1_3genE9ELNS1_11target_archE1100ELNS1_3gpuE3ELNS1_3repE0EEENS1_30default_config_static_selectorELNS0_4arch9wavefront6targetE1EEEvSM_.has_indirect_call, 0
	.section	.AMDGPU.csdata,"",@progbits
; Kernel info:
; codeLenInByte = 0
; TotalNumSgprs: 4
; NumVgprs: 0
; ScratchSize: 0
; MemoryBound: 0
; FloatMode: 240
; IeeeMode: 1
; LDSByteSize: 0 bytes/workgroup (compile time only)
; SGPRBlocks: 0
; VGPRBlocks: 0
; NumSGPRsForWavesPerEU: 4
; NumVGPRsForWavesPerEU: 1
; Occupancy: 10
; WaveLimiterHint : 0
; COMPUTE_PGM_RSRC2:SCRATCH_EN: 0
; COMPUTE_PGM_RSRC2:USER_SGPR: 6
; COMPUTE_PGM_RSRC2:TRAP_HANDLER: 0
; COMPUTE_PGM_RSRC2:TGID_X_EN: 1
; COMPUTE_PGM_RSRC2:TGID_Y_EN: 0
; COMPUTE_PGM_RSRC2:TGID_Z_EN: 0
; COMPUTE_PGM_RSRC2:TIDIG_COMP_CNT: 0
	.section	.text._ZN7rocprim17ROCPRIM_400000_NS6detail17trampoline_kernelINS0_14default_configENS1_22reduce_config_selectorIbEEZNS1_11reduce_implILb1ES3_N6hipcub16HIPCUB_304000_NS22TransformInputIteratorIb7NonZeroIiEPilEEPllNS8_6detail34convert_binary_result_type_wrapperINS8_3SumESD_lEEEE10hipError_tPvRmT1_T2_T3_mT4_P12ihipStream_tbEUlT_E0_NS1_11comp_targetILNS1_3genE8ELNS1_11target_archE1030ELNS1_3gpuE2ELNS1_3repE0EEENS1_30default_config_static_selectorELNS0_4arch9wavefront6targetE1EEEvSM_,"axG",@progbits,_ZN7rocprim17ROCPRIM_400000_NS6detail17trampoline_kernelINS0_14default_configENS1_22reduce_config_selectorIbEEZNS1_11reduce_implILb1ES3_N6hipcub16HIPCUB_304000_NS22TransformInputIteratorIb7NonZeroIiEPilEEPllNS8_6detail34convert_binary_result_type_wrapperINS8_3SumESD_lEEEE10hipError_tPvRmT1_T2_T3_mT4_P12ihipStream_tbEUlT_E0_NS1_11comp_targetILNS1_3genE8ELNS1_11target_archE1030ELNS1_3gpuE2ELNS1_3repE0EEENS1_30default_config_static_selectorELNS0_4arch9wavefront6targetE1EEEvSM_,comdat
	.protected	_ZN7rocprim17ROCPRIM_400000_NS6detail17trampoline_kernelINS0_14default_configENS1_22reduce_config_selectorIbEEZNS1_11reduce_implILb1ES3_N6hipcub16HIPCUB_304000_NS22TransformInputIteratorIb7NonZeroIiEPilEEPllNS8_6detail34convert_binary_result_type_wrapperINS8_3SumESD_lEEEE10hipError_tPvRmT1_T2_T3_mT4_P12ihipStream_tbEUlT_E0_NS1_11comp_targetILNS1_3genE8ELNS1_11target_archE1030ELNS1_3gpuE2ELNS1_3repE0EEENS1_30default_config_static_selectorELNS0_4arch9wavefront6targetE1EEEvSM_ ; -- Begin function _ZN7rocprim17ROCPRIM_400000_NS6detail17trampoline_kernelINS0_14default_configENS1_22reduce_config_selectorIbEEZNS1_11reduce_implILb1ES3_N6hipcub16HIPCUB_304000_NS22TransformInputIteratorIb7NonZeroIiEPilEEPllNS8_6detail34convert_binary_result_type_wrapperINS8_3SumESD_lEEEE10hipError_tPvRmT1_T2_T3_mT4_P12ihipStream_tbEUlT_E0_NS1_11comp_targetILNS1_3genE8ELNS1_11target_archE1030ELNS1_3gpuE2ELNS1_3repE0EEENS1_30default_config_static_selectorELNS0_4arch9wavefront6targetE1EEEvSM_
	.globl	_ZN7rocprim17ROCPRIM_400000_NS6detail17trampoline_kernelINS0_14default_configENS1_22reduce_config_selectorIbEEZNS1_11reduce_implILb1ES3_N6hipcub16HIPCUB_304000_NS22TransformInputIteratorIb7NonZeroIiEPilEEPllNS8_6detail34convert_binary_result_type_wrapperINS8_3SumESD_lEEEE10hipError_tPvRmT1_T2_T3_mT4_P12ihipStream_tbEUlT_E0_NS1_11comp_targetILNS1_3genE8ELNS1_11target_archE1030ELNS1_3gpuE2ELNS1_3repE0EEENS1_30default_config_static_selectorELNS0_4arch9wavefront6targetE1EEEvSM_
	.p2align	8
	.type	_ZN7rocprim17ROCPRIM_400000_NS6detail17trampoline_kernelINS0_14default_configENS1_22reduce_config_selectorIbEEZNS1_11reduce_implILb1ES3_N6hipcub16HIPCUB_304000_NS22TransformInputIteratorIb7NonZeroIiEPilEEPllNS8_6detail34convert_binary_result_type_wrapperINS8_3SumESD_lEEEE10hipError_tPvRmT1_T2_T3_mT4_P12ihipStream_tbEUlT_E0_NS1_11comp_targetILNS1_3genE8ELNS1_11target_archE1030ELNS1_3gpuE2ELNS1_3repE0EEENS1_30default_config_static_selectorELNS0_4arch9wavefront6targetE1EEEvSM_,@function
_ZN7rocprim17ROCPRIM_400000_NS6detail17trampoline_kernelINS0_14default_configENS1_22reduce_config_selectorIbEEZNS1_11reduce_implILb1ES3_N6hipcub16HIPCUB_304000_NS22TransformInputIteratorIb7NonZeroIiEPilEEPllNS8_6detail34convert_binary_result_type_wrapperINS8_3SumESD_lEEEE10hipError_tPvRmT1_T2_T3_mT4_P12ihipStream_tbEUlT_E0_NS1_11comp_targetILNS1_3genE8ELNS1_11target_archE1030ELNS1_3gpuE2ELNS1_3repE0EEENS1_30default_config_static_selectorELNS0_4arch9wavefront6targetE1EEEvSM_: ; @_ZN7rocprim17ROCPRIM_400000_NS6detail17trampoline_kernelINS0_14default_configENS1_22reduce_config_selectorIbEEZNS1_11reduce_implILb1ES3_N6hipcub16HIPCUB_304000_NS22TransformInputIteratorIb7NonZeroIiEPilEEPllNS8_6detail34convert_binary_result_type_wrapperINS8_3SumESD_lEEEE10hipError_tPvRmT1_T2_T3_mT4_P12ihipStream_tbEUlT_E0_NS1_11comp_targetILNS1_3genE8ELNS1_11target_archE1030ELNS1_3gpuE2ELNS1_3repE0EEENS1_30default_config_static_selectorELNS0_4arch9wavefront6targetE1EEEvSM_
; %bb.0:
	.section	.rodata,"a",@progbits
	.p2align	6, 0x0
	.amdhsa_kernel _ZN7rocprim17ROCPRIM_400000_NS6detail17trampoline_kernelINS0_14default_configENS1_22reduce_config_selectorIbEEZNS1_11reduce_implILb1ES3_N6hipcub16HIPCUB_304000_NS22TransformInputIteratorIb7NonZeroIiEPilEEPllNS8_6detail34convert_binary_result_type_wrapperINS8_3SumESD_lEEEE10hipError_tPvRmT1_T2_T3_mT4_P12ihipStream_tbEUlT_E0_NS1_11comp_targetILNS1_3genE8ELNS1_11target_archE1030ELNS1_3gpuE2ELNS1_3repE0EEENS1_30default_config_static_selectorELNS0_4arch9wavefront6targetE1EEEvSM_
		.amdhsa_group_segment_fixed_size 0
		.amdhsa_private_segment_fixed_size 0
		.amdhsa_kernarg_size 72
		.amdhsa_user_sgpr_count 6
		.amdhsa_user_sgpr_private_segment_buffer 1
		.amdhsa_user_sgpr_dispatch_ptr 0
		.amdhsa_user_sgpr_queue_ptr 0
		.amdhsa_user_sgpr_kernarg_segment_ptr 1
		.amdhsa_user_sgpr_dispatch_id 0
		.amdhsa_user_sgpr_flat_scratch_init 0
		.amdhsa_user_sgpr_private_segment_size 0
		.amdhsa_uses_dynamic_stack 0
		.amdhsa_system_sgpr_private_segment_wavefront_offset 0
		.amdhsa_system_sgpr_workgroup_id_x 1
		.amdhsa_system_sgpr_workgroup_id_y 0
		.amdhsa_system_sgpr_workgroup_id_z 0
		.amdhsa_system_sgpr_workgroup_info 0
		.amdhsa_system_vgpr_workitem_id 0
		.amdhsa_next_free_vgpr 1
		.amdhsa_next_free_sgpr 0
		.amdhsa_reserve_vcc 0
		.amdhsa_reserve_flat_scratch 0
		.amdhsa_float_round_mode_32 0
		.amdhsa_float_round_mode_16_64 0
		.amdhsa_float_denorm_mode_32 3
		.amdhsa_float_denorm_mode_16_64 3
		.amdhsa_dx10_clamp 1
		.amdhsa_ieee_mode 1
		.amdhsa_fp16_overflow 0
		.amdhsa_exception_fp_ieee_invalid_op 0
		.amdhsa_exception_fp_denorm_src 0
		.amdhsa_exception_fp_ieee_div_zero 0
		.amdhsa_exception_fp_ieee_overflow 0
		.amdhsa_exception_fp_ieee_underflow 0
		.amdhsa_exception_fp_ieee_inexact 0
		.amdhsa_exception_int_div_zero 0
	.end_amdhsa_kernel
	.section	.text._ZN7rocprim17ROCPRIM_400000_NS6detail17trampoline_kernelINS0_14default_configENS1_22reduce_config_selectorIbEEZNS1_11reduce_implILb1ES3_N6hipcub16HIPCUB_304000_NS22TransformInputIteratorIb7NonZeroIiEPilEEPllNS8_6detail34convert_binary_result_type_wrapperINS8_3SumESD_lEEEE10hipError_tPvRmT1_T2_T3_mT4_P12ihipStream_tbEUlT_E0_NS1_11comp_targetILNS1_3genE8ELNS1_11target_archE1030ELNS1_3gpuE2ELNS1_3repE0EEENS1_30default_config_static_selectorELNS0_4arch9wavefront6targetE1EEEvSM_,"axG",@progbits,_ZN7rocprim17ROCPRIM_400000_NS6detail17trampoline_kernelINS0_14default_configENS1_22reduce_config_selectorIbEEZNS1_11reduce_implILb1ES3_N6hipcub16HIPCUB_304000_NS22TransformInputIteratorIb7NonZeroIiEPilEEPllNS8_6detail34convert_binary_result_type_wrapperINS8_3SumESD_lEEEE10hipError_tPvRmT1_T2_T3_mT4_P12ihipStream_tbEUlT_E0_NS1_11comp_targetILNS1_3genE8ELNS1_11target_archE1030ELNS1_3gpuE2ELNS1_3repE0EEENS1_30default_config_static_selectorELNS0_4arch9wavefront6targetE1EEEvSM_,comdat
.Lfunc_end175:
	.size	_ZN7rocprim17ROCPRIM_400000_NS6detail17trampoline_kernelINS0_14default_configENS1_22reduce_config_selectorIbEEZNS1_11reduce_implILb1ES3_N6hipcub16HIPCUB_304000_NS22TransformInputIteratorIb7NonZeroIiEPilEEPllNS8_6detail34convert_binary_result_type_wrapperINS8_3SumESD_lEEEE10hipError_tPvRmT1_T2_T3_mT4_P12ihipStream_tbEUlT_E0_NS1_11comp_targetILNS1_3genE8ELNS1_11target_archE1030ELNS1_3gpuE2ELNS1_3repE0EEENS1_30default_config_static_selectorELNS0_4arch9wavefront6targetE1EEEvSM_, .Lfunc_end175-_ZN7rocprim17ROCPRIM_400000_NS6detail17trampoline_kernelINS0_14default_configENS1_22reduce_config_selectorIbEEZNS1_11reduce_implILb1ES3_N6hipcub16HIPCUB_304000_NS22TransformInputIteratorIb7NonZeroIiEPilEEPllNS8_6detail34convert_binary_result_type_wrapperINS8_3SumESD_lEEEE10hipError_tPvRmT1_T2_T3_mT4_P12ihipStream_tbEUlT_E0_NS1_11comp_targetILNS1_3genE8ELNS1_11target_archE1030ELNS1_3gpuE2ELNS1_3repE0EEENS1_30default_config_static_selectorELNS0_4arch9wavefront6targetE1EEEvSM_
                                        ; -- End function
	.set _ZN7rocprim17ROCPRIM_400000_NS6detail17trampoline_kernelINS0_14default_configENS1_22reduce_config_selectorIbEEZNS1_11reduce_implILb1ES3_N6hipcub16HIPCUB_304000_NS22TransformInputIteratorIb7NonZeroIiEPilEEPllNS8_6detail34convert_binary_result_type_wrapperINS8_3SumESD_lEEEE10hipError_tPvRmT1_T2_T3_mT4_P12ihipStream_tbEUlT_E0_NS1_11comp_targetILNS1_3genE8ELNS1_11target_archE1030ELNS1_3gpuE2ELNS1_3repE0EEENS1_30default_config_static_selectorELNS0_4arch9wavefront6targetE1EEEvSM_.num_vgpr, 0
	.set _ZN7rocprim17ROCPRIM_400000_NS6detail17trampoline_kernelINS0_14default_configENS1_22reduce_config_selectorIbEEZNS1_11reduce_implILb1ES3_N6hipcub16HIPCUB_304000_NS22TransformInputIteratorIb7NonZeroIiEPilEEPllNS8_6detail34convert_binary_result_type_wrapperINS8_3SumESD_lEEEE10hipError_tPvRmT1_T2_T3_mT4_P12ihipStream_tbEUlT_E0_NS1_11comp_targetILNS1_3genE8ELNS1_11target_archE1030ELNS1_3gpuE2ELNS1_3repE0EEENS1_30default_config_static_selectorELNS0_4arch9wavefront6targetE1EEEvSM_.num_agpr, 0
	.set _ZN7rocprim17ROCPRIM_400000_NS6detail17trampoline_kernelINS0_14default_configENS1_22reduce_config_selectorIbEEZNS1_11reduce_implILb1ES3_N6hipcub16HIPCUB_304000_NS22TransformInputIteratorIb7NonZeroIiEPilEEPllNS8_6detail34convert_binary_result_type_wrapperINS8_3SumESD_lEEEE10hipError_tPvRmT1_T2_T3_mT4_P12ihipStream_tbEUlT_E0_NS1_11comp_targetILNS1_3genE8ELNS1_11target_archE1030ELNS1_3gpuE2ELNS1_3repE0EEENS1_30default_config_static_selectorELNS0_4arch9wavefront6targetE1EEEvSM_.numbered_sgpr, 0
	.set _ZN7rocprim17ROCPRIM_400000_NS6detail17trampoline_kernelINS0_14default_configENS1_22reduce_config_selectorIbEEZNS1_11reduce_implILb1ES3_N6hipcub16HIPCUB_304000_NS22TransformInputIteratorIb7NonZeroIiEPilEEPllNS8_6detail34convert_binary_result_type_wrapperINS8_3SumESD_lEEEE10hipError_tPvRmT1_T2_T3_mT4_P12ihipStream_tbEUlT_E0_NS1_11comp_targetILNS1_3genE8ELNS1_11target_archE1030ELNS1_3gpuE2ELNS1_3repE0EEENS1_30default_config_static_selectorELNS0_4arch9wavefront6targetE1EEEvSM_.num_named_barrier, 0
	.set _ZN7rocprim17ROCPRIM_400000_NS6detail17trampoline_kernelINS0_14default_configENS1_22reduce_config_selectorIbEEZNS1_11reduce_implILb1ES3_N6hipcub16HIPCUB_304000_NS22TransformInputIteratorIb7NonZeroIiEPilEEPllNS8_6detail34convert_binary_result_type_wrapperINS8_3SumESD_lEEEE10hipError_tPvRmT1_T2_T3_mT4_P12ihipStream_tbEUlT_E0_NS1_11comp_targetILNS1_3genE8ELNS1_11target_archE1030ELNS1_3gpuE2ELNS1_3repE0EEENS1_30default_config_static_selectorELNS0_4arch9wavefront6targetE1EEEvSM_.private_seg_size, 0
	.set _ZN7rocprim17ROCPRIM_400000_NS6detail17trampoline_kernelINS0_14default_configENS1_22reduce_config_selectorIbEEZNS1_11reduce_implILb1ES3_N6hipcub16HIPCUB_304000_NS22TransformInputIteratorIb7NonZeroIiEPilEEPllNS8_6detail34convert_binary_result_type_wrapperINS8_3SumESD_lEEEE10hipError_tPvRmT1_T2_T3_mT4_P12ihipStream_tbEUlT_E0_NS1_11comp_targetILNS1_3genE8ELNS1_11target_archE1030ELNS1_3gpuE2ELNS1_3repE0EEENS1_30default_config_static_selectorELNS0_4arch9wavefront6targetE1EEEvSM_.uses_vcc, 0
	.set _ZN7rocprim17ROCPRIM_400000_NS6detail17trampoline_kernelINS0_14default_configENS1_22reduce_config_selectorIbEEZNS1_11reduce_implILb1ES3_N6hipcub16HIPCUB_304000_NS22TransformInputIteratorIb7NonZeroIiEPilEEPllNS8_6detail34convert_binary_result_type_wrapperINS8_3SumESD_lEEEE10hipError_tPvRmT1_T2_T3_mT4_P12ihipStream_tbEUlT_E0_NS1_11comp_targetILNS1_3genE8ELNS1_11target_archE1030ELNS1_3gpuE2ELNS1_3repE0EEENS1_30default_config_static_selectorELNS0_4arch9wavefront6targetE1EEEvSM_.uses_flat_scratch, 0
	.set _ZN7rocprim17ROCPRIM_400000_NS6detail17trampoline_kernelINS0_14default_configENS1_22reduce_config_selectorIbEEZNS1_11reduce_implILb1ES3_N6hipcub16HIPCUB_304000_NS22TransformInputIteratorIb7NonZeroIiEPilEEPllNS8_6detail34convert_binary_result_type_wrapperINS8_3SumESD_lEEEE10hipError_tPvRmT1_T2_T3_mT4_P12ihipStream_tbEUlT_E0_NS1_11comp_targetILNS1_3genE8ELNS1_11target_archE1030ELNS1_3gpuE2ELNS1_3repE0EEENS1_30default_config_static_selectorELNS0_4arch9wavefront6targetE1EEEvSM_.has_dyn_sized_stack, 0
	.set _ZN7rocprim17ROCPRIM_400000_NS6detail17trampoline_kernelINS0_14default_configENS1_22reduce_config_selectorIbEEZNS1_11reduce_implILb1ES3_N6hipcub16HIPCUB_304000_NS22TransformInputIteratorIb7NonZeroIiEPilEEPllNS8_6detail34convert_binary_result_type_wrapperINS8_3SumESD_lEEEE10hipError_tPvRmT1_T2_T3_mT4_P12ihipStream_tbEUlT_E0_NS1_11comp_targetILNS1_3genE8ELNS1_11target_archE1030ELNS1_3gpuE2ELNS1_3repE0EEENS1_30default_config_static_selectorELNS0_4arch9wavefront6targetE1EEEvSM_.has_recursion, 0
	.set _ZN7rocprim17ROCPRIM_400000_NS6detail17trampoline_kernelINS0_14default_configENS1_22reduce_config_selectorIbEEZNS1_11reduce_implILb1ES3_N6hipcub16HIPCUB_304000_NS22TransformInputIteratorIb7NonZeroIiEPilEEPllNS8_6detail34convert_binary_result_type_wrapperINS8_3SumESD_lEEEE10hipError_tPvRmT1_T2_T3_mT4_P12ihipStream_tbEUlT_E0_NS1_11comp_targetILNS1_3genE8ELNS1_11target_archE1030ELNS1_3gpuE2ELNS1_3repE0EEENS1_30default_config_static_selectorELNS0_4arch9wavefront6targetE1EEEvSM_.has_indirect_call, 0
	.section	.AMDGPU.csdata,"",@progbits
; Kernel info:
; codeLenInByte = 0
; TotalNumSgprs: 4
; NumVgprs: 0
; ScratchSize: 0
; MemoryBound: 0
; FloatMode: 240
; IeeeMode: 1
; LDSByteSize: 0 bytes/workgroup (compile time only)
; SGPRBlocks: 0
; VGPRBlocks: 0
; NumSGPRsForWavesPerEU: 4
; NumVGPRsForWavesPerEU: 1
; Occupancy: 10
; WaveLimiterHint : 0
; COMPUTE_PGM_RSRC2:SCRATCH_EN: 0
; COMPUTE_PGM_RSRC2:USER_SGPR: 6
; COMPUTE_PGM_RSRC2:TRAP_HANDLER: 0
; COMPUTE_PGM_RSRC2:TGID_X_EN: 1
; COMPUTE_PGM_RSRC2:TGID_Y_EN: 0
; COMPUTE_PGM_RSRC2:TGID_Z_EN: 0
; COMPUTE_PGM_RSRC2:TIDIG_COMP_CNT: 0
	.section	.text._ZN7rocprim17ROCPRIM_400000_NS6detail17trampoline_kernelINS0_14default_configENS1_22reduce_config_selectorIbEEZNS1_11reduce_implILb1ES3_N6hipcub16HIPCUB_304000_NS22TransformInputIteratorIb7NonZeroIiEPilEEPllNS8_6detail34convert_binary_result_type_wrapperINS8_3SumESD_lEEEE10hipError_tPvRmT1_T2_T3_mT4_P12ihipStream_tbEUlT_E1_NS1_11comp_targetILNS1_3genE0ELNS1_11target_archE4294967295ELNS1_3gpuE0ELNS1_3repE0EEENS1_30default_config_static_selectorELNS0_4arch9wavefront6targetE1EEEvSM_,"axG",@progbits,_ZN7rocprim17ROCPRIM_400000_NS6detail17trampoline_kernelINS0_14default_configENS1_22reduce_config_selectorIbEEZNS1_11reduce_implILb1ES3_N6hipcub16HIPCUB_304000_NS22TransformInputIteratorIb7NonZeroIiEPilEEPllNS8_6detail34convert_binary_result_type_wrapperINS8_3SumESD_lEEEE10hipError_tPvRmT1_T2_T3_mT4_P12ihipStream_tbEUlT_E1_NS1_11comp_targetILNS1_3genE0ELNS1_11target_archE4294967295ELNS1_3gpuE0ELNS1_3repE0EEENS1_30default_config_static_selectorELNS0_4arch9wavefront6targetE1EEEvSM_,comdat
	.protected	_ZN7rocprim17ROCPRIM_400000_NS6detail17trampoline_kernelINS0_14default_configENS1_22reduce_config_selectorIbEEZNS1_11reduce_implILb1ES3_N6hipcub16HIPCUB_304000_NS22TransformInputIteratorIb7NonZeroIiEPilEEPllNS8_6detail34convert_binary_result_type_wrapperINS8_3SumESD_lEEEE10hipError_tPvRmT1_T2_T3_mT4_P12ihipStream_tbEUlT_E1_NS1_11comp_targetILNS1_3genE0ELNS1_11target_archE4294967295ELNS1_3gpuE0ELNS1_3repE0EEENS1_30default_config_static_selectorELNS0_4arch9wavefront6targetE1EEEvSM_ ; -- Begin function _ZN7rocprim17ROCPRIM_400000_NS6detail17trampoline_kernelINS0_14default_configENS1_22reduce_config_selectorIbEEZNS1_11reduce_implILb1ES3_N6hipcub16HIPCUB_304000_NS22TransformInputIteratorIb7NonZeroIiEPilEEPllNS8_6detail34convert_binary_result_type_wrapperINS8_3SumESD_lEEEE10hipError_tPvRmT1_T2_T3_mT4_P12ihipStream_tbEUlT_E1_NS1_11comp_targetILNS1_3genE0ELNS1_11target_archE4294967295ELNS1_3gpuE0ELNS1_3repE0EEENS1_30default_config_static_selectorELNS0_4arch9wavefront6targetE1EEEvSM_
	.globl	_ZN7rocprim17ROCPRIM_400000_NS6detail17trampoline_kernelINS0_14default_configENS1_22reduce_config_selectorIbEEZNS1_11reduce_implILb1ES3_N6hipcub16HIPCUB_304000_NS22TransformInputIteratorIb7NonZeroIiEPilEEPllNS8_6detail34convert_binary_result_type_wrapperINS8_3SumESD_lEEEE10hipError_tPvRmT1_T2_T3_mT4_P12ihipStream_tbEUlT_E1_NS1_11comp_targetILNS1_3genE0ELNS1_11target_archE4294967295ELNS1_3gpuE0ELNS1_3repE0EEENS1_30default_config_static_selectorELNS0_4arch9wavefront6targetE1EEEvSM_
	.p2align	8
	.type	_ZN7rocprim17ROCPRIM_400000_NS6detail17trampoline_kernelINS0_14default_configENS1_22reduce_config_selectorIbEEZNS1_11reduce_implILb1ES3_N6hipcub16HIPCUB_304000_NS22TransformInputIteratorIb7NonZeroIiEPilEEPllNS8_6detail34convert_binary_result_type_wrapperINS8_3SumESD_lEEEE10hipError_tPvRmT1_T2_T3_mT4_P12ihipStream_tbEUlT_E1_NS1_11comp_targetILNS1_3genE0ELNS1_11target_archE4294967295ELNS1_3gpuE0ELNS1_3repE0EEENS1_30default_config_static_selectorELNS0_4arch9wavefront6targetE1EEEvSM_,@function
_ZN7rocprim17ROCPRIM_400000_NS6detail17trampoline_kernelINS0_14default_configENS1_22reduce_config_selectorIbEEZNS1_11reduce_implILb1ES3_N6hipcub16HIPCUB_304000_NS22TransformInputIteratorIb7NonZeroIiEPilEEPllNS8_6detail34convert_binary_result_type_wrapperINS8_3SumESD_lEEEE10hipError_tPvRmT1_T2_T3_mT4_P12ihipStream_tbEUlT_E1_NS1_11comp_targetILNS1_3genE0ELNS1_11target_archE4294967295ELNS1_3gpuE0ELNS1_3repE0EEENS1_30default_config_static_selectorELNS0_4arch9wavefront6targetE1EEEvSM_: ; @_ZN7rocprim17ROCPRIM_400000_NS6detail17trampoline_kernelINS0_14default_configENS1_22reduce_config_selectorIbEEZNS1_11reduce_implILb1ES3_N6hipcub16HIPCUB_304000_NS22TransformInputIteratorIb7NonZeroIiEPilEEPllNS8_6detail34convert_binary_result_type_wrapperINS8_3SumESD_lEEEE10hipError_tPvRmT1_T2_T3_mT4_P12ihipStream_tbEUlT_E1_NS1_11comp_targetILNS1_3genE0ELNS1_11target_archE4294967295ELNS1_3gpuE0ELNS1_3repE0EEENS1_30default_config_static_selectorELNS0_4arch9wavefront6targetE1EEEvSM_
; %bb.0:
	.section	.rodata,"a",@progbits
	.p2align	6, 0x0
	.amdhsa_kernel _ZN7rocprim17ROCPRIM_400000_NS6detail17trampoline_kernelINS0_14default_configENS1_22reduce_config_selectorIbEEZNS1_11reduce_implILb1ES3_N6hipcub16HIPCUB_304000_NS22TransformInputIteratorIb7NonZeroIiEPilEEPllNS8_6detail34convert_binary_result_type_wrapperINS8_3SumESD_lEEEE10hipError_tPvRmT1_T2_T3_mT4_P12ihipStream_tbEUlT_E1_NS1_11comp_targetILNS1_3genE0ELNS1_11target_archE4294967295ELNS1_3gpuE0ELNS1_3repE0EEENS1_30default_config_static_selectorELNS0_4arch9wavefront6targetE1EEEvSM_
		.amdhsa_group_segment_fixed_size 0
		.amdhsa_private_segment_fixed_size 0
		.amdhsa_kernarg_size 56
		.amdhsa_user_sgpr_count 6
		.amdhsa_user_sgpr_private_segment_buffer 1
		.amdhsa_user_sgpr_dispatch_ptr 0
		.amdhsa_user_sgpr_queue_ptr 0
		.amdhsa_user_sgpr_kernarg_segment_ptr 1
		.amdhsa_user_sgpr_dispatch_id 0
		.amdhsa_user_sgpr_flat_scratch_init 0
		.amdhsa_user_sgpr_private_segment_size 0
		.amdhsa_uses_dynamic_stack 0
		.amdhsa_system_sgpr_private_segment_wavefront_offset 0
		.amdhsa_system_sgpr_workgroup_id_x 1
		.amdhsa_system_sgpr_workgroup_id_y 0
		.amdhsa_system_sgpr_workgroup_id_z 0
		.amdhsa_system_sgpr_workgroup_info 0
		.amdhsa_system_vgpr_workitem_id 0
		.amdhsa_next_free_vgpr 1
		.amdhsa_next_free_sgpr 0
		.amdhsa_reserve_vcc 0
		.amdhsa_reserve_flat_scratch 0
		.amdhsa_float_round_mode_32 0
		.amdhsa_float_round_mode_16_64 0
		.amdhsa_float_denorm_mode_32 3
		.amdhsa_float_denorm_mode_16_64 3
		.amdhsa_dx10_clamp 1
		.amdhsa_ieee_mode 1
		.amdhsa_fp16_overflow 0
		.amdhsa_exception_fp_ieee_invalid_op 0
		.amdhsa_exception_fp_denorm_src 0
		.amdhsa_exception_fp_ieee_div_zero 0
		.amdhsa_exception_fp_ieee_overflow 0
		.amdhsa_exception_fp_ieee_underflow 0
		.amdhsa_exception_fp_ieee_inexact 0
		.amdhsa_exception_int_div_zero 0
	.end_amdhsa_kernel
	.section	.text._ZN7rocprim17ROCPRIM_400000_NS6detail17trampoline_kernelINS0_14default_configENS1_22reduce_config_selectorIbEEZNS1_11reduce_implILb1ES3_N6hipcub16HIPCUB_304000_NS22TransformInputIteratorIb7NonZeroIiEPilEEPllNS8_6detail34convert_binary_result_type_wrapperINS8_3SumESD_lEEEE10hipError_tPvRmT1_T2_T3_mT4_P12ihipStream_tbEUlT_E1_NS1_11comp_targetILNS1_3genE0ELNS1_11target_archE4294967295ELNS1_3gpuE0ELNS1_3repE0EEENS1_30default_config_static_selectorELNS0_4arch9wavefront6targetE1EEEvSM_,"axG",@progbits,_ZN7rocprim17ROCPRIM_400000_NS6detail17trampoline_kernelINS0_14default_configENS1_22reduce_config_selectorIbEEZNS1_11reduce_implILb1ES3_N6hipcub16HIPCUB_304000_NS22TransformInputIteratorIb7NonZeroIiEPilEEPllNS8_6detail34convert_binary_result_type_wrapperINS8_3SumESD_lEEEE10hipError_tPvRmT1_T2_T3_mT4_P12ihipStream_tbEUlT_E1_NS1_11comp_targetILNS1_3genE0ELNS1_11target_archE4294967295ELNS1_3gpuE0ELNS1_3repE0EEENS1_30default_config_static_selectorELNS0_4arch9wavefront6targetE1EEEvSM_,comdat
.Lfunc_end176:
	.size	_ZN7rocprim17ROCPRIM_400000_NS6detail17trampoline_kernelINS0_14default_configENS1_22reduce_config_selectorIbEEZNS1_11reduce_implILb1ES3_N6hipcub16HIPCUB_304000_NS22TransformInputIteratorIb7NonZeroIiEPilEEPllNS8_6detail34convert_binary_result_type_wrapperINS8_3SumESD_lEEEE10hipError_tPvRmT1_T2_T3_mT4_P12ihipStream_tbEUlT_E1_NS1_11comp_targetILNS1_3genE0ELNS1_11target_archE4294967295ELNS1_3gpuE0ELNS1_3repE0EEENS1_30default_config_static_selectorELNS0_4arch9wavefront6targetE1EEEvSM_, .Lfunc_end176-_ZN7rocprim17ROCPRIM_400000_NS6detail17trampoline_kernelINS0_14default_configENS1_22reduce_config_selectorIbEEZNS1_11reduce_implILb1ES3_N6hipcub16HIPCUB_304000_NS22TransformInputIteratorIb7NonZeroIiEPilEEPllNS8_6detail34convert_binary_result_type_wrapperINS8_3SumESD_lEEEE10hipError_tPvRmT1_T2_T3_mT4_P12ihipStream_tbEUlT_E1_NS1_11comp_targetILNS1_3genE0ELNS1_11target_archE4294967295ELNS1_3gpuE0ELNS1_3repE0EEENS1_30default_config_static_selectorELNS0_4arch9wavefront6targetE1EEEvSM_
                                        ; -- End function
	.set _ZN7rocprim17ROCPRIM_400000_NS6detail17trampoline_kernelINS0_14default_configENS1_22reduce_config_selectorIbEEZNS1_11reduce_implILb1ES3_N6hipcub16HIPCUB_304000_NS22TransformInputIteratorIb7NonZeroIiEPilEEPllNS8_6detail34convert_binary_result_type_wrapperINS8_3SumESD_lEEEE10hipError_tPvRmT1_T2_T3_mT4_P12ihipStream_tbEUlT_E1_NS1_11comp_targetILNS1_3genE0ELNS1_11target_archE4294967295ELNS1_3gpuE0ELNS1_3repE0EEENS1_30default_config_static_selectorELNS0_4arch9wavefront6targetE1EEEvSM_.num_vgpr, 0
	.set _ZN7rocprim17ROCPRIM_400000_NS6detail17trampoline_kernelINS0_14default_configENS1_22reduce_config_selectorIbEEZNS1_11reduce_implILb1ES3_N6hipcub16HIPCUB_304000_NS22TransformInputIteratorIb7NonZeroIiEPilEEPllNS8_6detail34convert_binary_result_type_wrapperINS8_3SumESD_lEEEE10hipError_tPvRmT1_T2_T3_mT4_P12ihipStream_tbEUlT_E1_NS1_11comp_targetILNS1_3genE0ELNS1_11target_archE4294967295ELNS1_3gpuE0ELNS1_3repE0EEENS1_30default_config_static_selectorELNS0_4arch9wavefront6targetE1EEEvSM_.num_agpr, 0
	.set _ZN7rocprim17ROCPRIM_400000_NS6detail17trampoline_kernelINS0_14default_configENS1_22reduce_config_selectorIbEEZNS1_11reduce_implILb1ES3_N6hipcub16HIPCUB_304000_NS22TransformInputIteratorIb7NonZeroIiEPilEEPllNS8_6detail34convert_binary_result_type_wrapperINS8_3SumESD_lEEEE10hipError_tPvRmT1_T2_T3_mT4_P12ihipStream_tbEUlT_E1_NS1_11comp_targetILNS1_3genE0ELNS1_11target_archE4294967295ELNS1_3gpuE0ELNS1_3repE0EEENS1_30default_config_static_selectorELNS0_4arch9wavefront6targetE1EEEvSM_.numbered_sgpr, 0
	.set _ZN7rocprim17ROCPRIM_400000_NS6detail17trampoline_kernelINS0_14default_configENS1_22reduce_config_selectorIbEEZNS1_11reduce_implILb1ES3_N6hipcub16HIPCUB_304000_NS22TransformInputIteratorIb7NonZeroIiEPilEEPllNS8_6detail34convert_binary_result_type_wrapperINS8_3SumESD_lEEEE10hipError_tPvRmT1_T2_T3_mT4_P12ihipStream_tbEUlT_E1_NS1_11comp_targetILNS1_3genE0ELNS1_11target_archE4294967295ELNS1_3gpuE0ELNS1_3repE0EEENS1_30default_config_static_selectorELNS0_4arch9wavefront6targetE1EEEvSM_.num_named_barrier, 0
	.set _ZN7rocprim17ROCPRIM_400000_NS6detail17trampoline_kernelINS0_14default_configENS1_22reduce_config_selectorIbEEZNS1_11reduce_implILb1ES3_N6hipcub16HIPCUB_304000_NS22TransformInputIteratorIb7NonZeroIiEPilEEPllNS8_6detail34convert_binary_result_type_wrapperINS8_3SumESD_lEEEE10hipError_tPvRmT1_T2_T3_mT4_P12ihipStream_tbEUlT_E1_NS1_11comp_targetILNS1_3genE0ELNS1_11target_archE4294967295ELNS1_3gpuE0ELNS1_3repE0EEENS1_30default_config_static_selectorELNS0_4arch9wavefront6targetE1EEEvSM_.private_seg_size, 0
	.set _ZN7rocprim17ROCPRIM_400000_NS6detail17trampoline_kernelINS0_14default_configENS1_22reduce_config_selectorIbEEZNS1_11reduce_implILb1ES3_N6hipcub16HIPCUB_304000_NS22TransformInputIteratorIb7NonZeroIiEPilEEPllNS8_6detail34convert_binary_result_type_wrapperINS8_3SumESD_lEEEE10hipError_tPvRmT1_T2_T3_mT4_P12ihipStream_tbEUlT_E1_NS1_11comp_targetILNS1_3genE0ELNS1_11target_archE4294967295ELNS1_3gpuE0ELNS1_3repE0EEENS1_30default_config_static_selectorELNS0_4arch9wavefront6targetE1EEEvSM_.uses_vcc, 0
	.set _ZN7rocprim17ROCPRIM_400000_NS6detail17trampoline_kernelINS0_14default_configENS1_22reduce_config_selectorIbEEZNS1_11reduce_implILb1ES3_N6hipcub16HIPCUB_304000_NS22TransformInputIteratorIb7NonZeroIiEPilEEPllNS8_6detail34convert_binary_result_type_wrapperINS8_3SumESD_lEEEE10hipError_tPvRmT1_T2_T3_mT4_P12ihipStream_tbEUlT_E1_NS1_11comp_targetILNS1_3genE0ELNS1_11target_archE4294967295ELNS1_3gpuE0ELNS1_3repE0EEENS1_30default_config_static_selectorELNS0_4arch9wavefront6targetE1EEEvSM_.uses_flat_scratch, 0
	.set _ZN7rocprim17ROCPRIM_400000_NS6detail17trampoline_kernelINS0_14default_configENS1_22reduce_config_selectorIbEEZNS1_11reduce_implILb1ES3_N6hipcub16HIPCUB_304000_NS22TransformInputIteratorIb7NonZeroIiEPilEEPllNS8_6detail34convert_binary_result_type_wrapperINS8_3SumESD_lEEEE10hipError_tPvRmT1_T2_T3_mT4_P12ihipStream_tbEUlT_E1_NS1_11comp_targetILNS1_3genE0ELNS1_11target_archE4294967295ELNS1_3gpuE0ELNS1_3repE0EEENS1_30default_config_static_selectorELNS0_4arch9wavefront6targetE1EEEvSM_.has_dyn_sized_stack, 0
	.set _ZN7rocprim17ROCPRIM_400000_NS6detail17trampoline_kernelINS0_14default_configENS1_22reduce_config_selectorIbEEZNS1_11reduce_implILb1ES3_N6hipcub16HIPCUB_304000_NS22TransformInputIteratorIb7NonZeroIiEPilEEPllNS8_6detail34convert_binary_result_type_wrapperINS8_3SumESD_lEEEE10hipError_tPvRmT1_T2_T3_mT4_P12ihipStream_tbEUlT_E1_NS1_11comp_targetILNS1_3genE0ELNS1_11target_archE4294967295ELNS1_3gpuE0ELNS1_3repE0EEENS1_30default_config_static_selectorELNS0_4arch9wavefront6targetE1EEEvSM_.has_recursion, 0
	.set _ZN7rocprim17ROCPRIM_400000_NS6detail17trampoline_kernelINS0_14default_configENS1_22reduce_config_selectorIbEEZNS1_11reduce_implILb1ES3_N6hipcub16HIPCUB_304000_NS22TransformInputIteratorIb7NonZeroIiEPilEEPllNS8_6detail34convert_binary_result_type_wrapperINS8_3SumESD_lEEEE10hipError_tPvRmT1_T2_T3_mT4_P12ihipStream_tbEUlT_E1_NS1_11comp_targetILNS1_3genE0ELNS1_11target_archE4294967295ELNS1_3gpuE0ELNS1_3repE0EEENS1_30default_config_static_selectorELNS0_4arch9wavefront6targetE1EEEvSM_.has_indirect_call, 0
	.section	.AMDGPU.csdata,"",@progbits
; Kernel info:
; codeLenInByte = 0
; TotalNumSgprs: 4
; NumVgprs: 0
; ScratchSize: 0
; MemoryBound: 0
; FloatMode: 240
; IeeeMode: 1
; LDSByteSize: 0 bytes/workgroup (compile time only)
; SGPRBlocks: 0
; VGPRBlocks: 0
; NumSGPRsForWavesPerEU: 4
; NumVGPRsForWavesPerEU: 1
; Occupancy: 10
; WaveLimiterHint : 0
; COMPUTE_PGM_RSRC2:SCRATCH_EN: 0
; COMPUTE_PGM_RSRC2:USER_SGPR: 6
; COMPUTE_PGM_RSRC2:TRAP_HANDLER: 0
; COMPUTE_PGM_RSRC2:TGID_X_EN: 1
; COMPUTE_PGM_RSRC2:TGID_Y_EN: 0
; COMPUTE_PGM_RSRC2:TGID_Z_EN: 0
; COMPUTE_PGM_RSRC2:TIDIG_COMP_CNT: 0
	.section	.text._ZN7rocprim17ROCPRIM_400000_NS6detail17trampoline_kernelINS0_14default_configENS1_22reduce_config_selectorIbEEZNS1_11reduce_implILb1ES3_N6hipcub16HIPCUB_304000_NS22TransformInputIteratorIb7NonZeroIiEPilEEPllNS8_6detail34convert_binary_result_type_wrapperINS8_3SumESD_lEEEE10hipError_tPvRmT1_T2_T3_mT4_P12ihipStream_tbEUlT_E1_NS1_11comp_targetILNS1_3genE5ELNS1_11target_archE942ELNS1_3gpuE9ELNS1_3repE0EEENS1_30default_config_static_selectorELNS0_4arch9wavefront6targetE1EEEvSM_,"axG",@progbits,_ZN7rocprim17ROCPRIM_400000_NS6detail17trampoline_kernelINS0_14default_configENS1_22reduce_config_selectorIbEEZNS1_11reduce_implILb1ES3_N6hipcub16HIPCUB_304000_NS22TransformInputIteratorIb7NonZeroIiEPilEEPllNS8_6detail34convert_binary_result_type_wrapperINS8_3SumESD_lEEEE10hipError_tPvRmT1_T2_T3_mT4_P12ihipStream_tbEUlT_E1_NS1_11comp_targetILNS1_3genE5ELNS1_11target_archE942ELNS1_3gpuE9ELNS1_3repE0EEENS1_30default_config_static_selectorELNS0_4arch9wavefront6targetE1EEEvSM_,comdat
	.protected	_ZN7rocprim17ROCPRIM_400000_NS6detail17trampoline_kernelINS0_14default_configENS1_22reduce_config_selectorIbEEZNS1_11reduce_implILb1ES3_N6hipcub16HIPCUB_304000_NS22TransformInputIteratorIb7NonZeroIiEPilEEPllNS8_6detail34convert_binary_result_type_wrapperINS8_3SumESD_lEEEE10hipError_tPvRmT1_T2_T3_mT4_P12ihipStream_tbEUlT_E1_NS1_11comp_targetILNS1_3genE5ELNS1_11target_archE942ELNS1_3gpuE9ELNS1_3repE0EEENS1_30default_config_static_selectorELNS0_4arch9wavefront6targetE1EEEvSM_ ; -- Begin function _ZN7rocprim17ROCPRIM_400000_NS6detail17trampoline_kernelINS0_14default_configENS1_22reduce_config_selectorIbEEZNS1_11reduce_implILb1ES3_N6hipcub16HIPCUB_304000_NS22TransformInputIteratorIb7NonZeroIiEPilEEPllNS8_6detail34convert_binary_result_type_wrapperINS8_3SumESD_lEEEE10hipError_tPvRmT1_T2_T3_mT4_P12ihipStream_tbEUlT_E1_NS1_11comp_targetILNS1_3genE5ELNS1_11target_archE942ELNS1_3gpuE9ELNS1_3repE0EEENS1_30default_config_static_selectorELNS0_4arch9wavefront6targetE1EEEvSM_
	.globl	_ZN7rocprim17ROCPRIM_400000_NS6detail17trampoline_kernelINS0_14default_configENS1_22reduce_config_selectorIbEEZNS1_11reduce_implILb1ES3_N6hipcub16HIPCUB_304000_NS22TransformInputIteratorIb7NonZeroIiEPilEEPllNS8_6detail34convert_binary_result_type_wrapperINS8_3SumESD_lEEEE10hipError_tPvRmT1_T2_T3_mT4_P12ihipStream_tbEUlT_E1_NS1_11comp_targetILNS1_3genE5ELNS1_11target_archE942ELNS1_3gpuE9ELNS1_3repE0EEENS1_30default_config_static_selectorELNS0_4arch9wavefront6targetE1EEEvSM_
	.p2align	8
	.type	_ZN7rocprim17ROCPRIM_400000_NS6detail17trampoline_kernelINS0_14default_configENS1_22reduce_config_selectorIbEEZNS1_11reduce_implILb1ES3_N6hipcub16HIPCUB_304000_NS22TransformInputIteratorIb7NonZeroIiEPilEEPllNS8_6detail34convert_binary_result_type_wrapperINS8_3SumESD_lEEEE10hipError_tPvRmT1_T2_T3_mT4_P12ihipStream_tbEUlT_E1_NS1_11comp_targetILNS1_3genE5ELNS1_11target_archE942ELNS1_3gpuE9ELNS1_3repE0EEENS1_30default_config_static_selectorELNS0_4arch9wavefront6targetE1EEEvSM_,@function
_ZN7rocprim17ROCPRIM_400000_NS6detail17trampoline_kernelINS0_14default_configENS1_22reduce_config_selectorIbEEZNS1_11reduce_implILb1ES3_N6hipcub16HIPCUB_304000_NS22TransformInputIteratorIb7NonZeroIiEPilEEPllNS8_6detail34convert_binary_result_type_wrapperINS8_3SumESD_lEEEE10hipError_tPvRmT1_T2_T3_mT4_P12ihipStream_tbEUlT_E1_NS1_11comp_targetILNS1_3genE5ELNS1_11target_archE942ELNS1_3gpuE9ELNS1_3repE0EEENS1_30default_config_static_selectorELNS0_4arch9wavefront6targetE1EEEvSM_: ; @_ZN7rocprim17ROCPRIM_400000_NS6detail17trampoline_kernelINS0_14default_configENS1_22reduce_config_selectorIbEEZNS1_11reduce_implILb1ES3_N6hipcub16HIPCUB_304000_NS22TransformInputIteratorIb7NonZeroIiEPilEEPllNS8_6detail34convert_binary_result_type_wrapperINS8_3SumESD_lEEEE10hipError_tPvRmT1_T2_T3_mT4_P12ihipStream_tbEUlT_E1_NS1_11comp_targetILNS1_3genE5ELNS1_11target_archE942ELNS1_3gpuE9ELNS1_3repE0EEENS1_30default_config_static_selectorELNS0_4arch9wavefront6targetE1EEEvSM_
; %bb.0:
	.section	.rodata,"a",@progbits
	.p2align	6, 0x0
	.amdhsa_kernel _ZN7rocprim17ROCPRIM_400000_NS6detail17trampoline_kernelINS0_14default_configENS1_22reduce_config_selectorIbEEZNS1_11reduce_implILb1ES3_N6hipcub16HIPCUB_304000_NS22TransformInputIteratorIb7NonZeroIiEPilEEPllNS8_6detail34convert_binary_result_type_wrapperINS8_3SumESD_lEEEE10hipError_tPvRmT1_T2_T3_mT4_P12ihipStream_tbEUlT_E1_NS1_11comp_targetILNS1_3genE5ELNS1_11target_archE942ELNS1_3gpuE9ELNS1_3repE0EEENS1_30default_config_static_selectorELNS0_4arch9wavefront6targetE1EEEvSM_
		.amdhsa_group_segment_fixed_size 0
		.amdhsa_private_segment_fixed_size 0
		.amdhsa_kernarg_size 56
		.amdhsa_user_sgpr_count 6
		.amdhsa_user_sgpr_private_segment_buffer 1
		.amdhsa_user_sgpr_dispatch_ptr 0
		.amdhsa_user_sgpr_queue_ptr 0
		.amdhsa_user_sgpr_kernarg_segment_ptr 1
		.amdhsa_user_sgpr_dispatch_id 0
		.amdhsa_user_sgpr_flat_scratch_init 0
		.amdhsa_user_sgpr_private_segment_size 0
		.amdhsa_uses_dynamic_stack 0
		.amdhsa_system_sgpr_private_segment_wavefront_offset 0
		.amdhsa_system_sgpr_workgroup_id_x 1
		.amdhsa_system_sgpr_workgroup_id_y 0
		.amdhsa_system_sgpr_workgroup_id_z 0
		.amdhsa_system_sgpr_workgroup_info 0
		.amdhsa_system_vgpr_workitem_id 0
		.amdhsa_next_free_vgpr 1
		.amdhsa_next_free_sgpr 0
		.amdhsa_reserve_vcc 0
		.amdhsa_reserve_flat_scratch 0
		.amdhsa_float_round_mode_32 0
		.amdhsa_float_round_mode_16_64 0
		.amdhsa_float_denorm_mode_32 3
		.amdhsa_float_denorm_mode_16_64 3
		.amdhsa_dx10_clamp 1
		.amdhsa_ieee_mode 1
		.amdhsa_fp16_overflow 0
		.amdhsa_exception_fp_ieee_invalid_op 0
		.amdhsa_exception_fp_denorm_src 0
		.amdhsa_exception_fp_ieee_div_zero 0
		.amdhsa_exception_fp_ieee_overflow 0
		.amdhsa_exception_fp_ieee_underflow 0
		.amdhsa_exception_fp_ieee_inexact 0
		.amdhsa_exception_int_div_zero 0
	.end_amdhsa_kernel
	.section	.text._ZN7rocprim17ROCPRIM_400000_NS6detail17trampoline_kernelINS0_14default_configENS1_22reduce_config_selectorIbEEZNS1_11reduce_implILb1ES3_N6hipcub16HIPCUB_304000_NS22TransformInputIteratorIb7NonZeroIiEPilEEPllNS8_6detail34convert_binary_result_type_wrapperINS8_3SumESD_lEEEE10hipError_tPvRmT1_T2_T3_mT4_P12ihipStream_tbEUlT_E1_NS1_11comp_targetILNS1_3genE5ELNS1_11target_archE942ELNS1_3gpuE9ELNS1_3repE0EEENS1_30default_config_static_selectorELNS0_4arch9wavefront6targetE1EEEvSM_,"axG",@progbits,_ZN7rocprim17ROCPRIM_400000_NS6detail17trampoline_kernelINS0_14default_configENS1_22reduce_config_selectorIbEEZNS1_11reduce_implILb1ES3_N6hipcub16HIPCUB_304000_NS22TransformInputIteratorIb7NonZeroIiEPilEEPllNS8_6detail34convert_binary_result_type_wrapperINS8_3SumESD_lEEEE10hipError_tPvRmT1_T2_T3_mT4_P12ihipStream_tbEUlT_E1_NS1_11comp_targetILNS1_3genE5ELNS1_11target_archE942ELNS1_3gpuE9ELNS1_3repE0EEENS1_30default_config_static_selectorELNS0_4arch9wavefront6targetE1EEEvSM_,comdat
.Lfunc_end177:
	.size	_ZN7rocprim17ROCPRIM_400000_NS6detail17trampoline_kernelINS0_14default_configENS1_22reduce_config_selectorIbEEZNS1_11reduce_implILb1ES3_N6hipcub16HIPCUB_304000_NS22TransformInputIteratorIb7NonZeroIiEPilEEPllNS8_6detail34convert_binary_result_type_wrapperINS8_3SumESD_lEEEE10hipError_tPvRmT1_T2_T3_mT4_P12ihipStream_tbEUlT_E1_NS1_11comp_targetILNS1_3genE5ELNS1_11target_archE942ELNS1_3gpuE9ELNS1_3repE0EEENS1_30default_config_static_selectorELNS0_4arch9wavefront6targetE1EEEvSM_, .Lfunc_end177-_ZN7rocprim17ROCPRIM_400000_NS6detail17trampoline_kernelINS0_14default_configENS1_22reduce_config_selectorIbEEZNS1_11reduce_implILb1ES3_N6hipcub16HIPCUB_304000_NS22TransformInputIteratorIb7NonZeroIiEPilEEPllNS8_6detail34convert_binary_result_type_wrapperINS8_3SumESD_lEEEE10hipError_tPvRmT1_T2_T3_mT4_P12ihipStream_tbEUlT_E1_NS1_11comp_targetILNS1_3genE5ELNS1_11target_archE942ELNS1_3gpuE9ELNS1_3repE0EEENS1_30default_config_static_selectorELNS0_4arch9wavefront6targetE1EEEvSM_
                                        ; -- End function
	.set _ZN7rocprim17ROCPRIM_400000_NS6detail17trampoline_kernelINS0_14default_configENS1_22reduce_config_selectorIbEEZNS1_11reduce_implILb1ES3_N6hipcub16HIPCUB_304000_NS22TransformInputIteratorIb7NonZeroIiEPilEEPllNS8_6detail34convert_binary_result_type_wrapperINS8_3SumESD_lEEEE10hipError_tPvRmT1_T2_T3_mT4_P12ihipStream_tbEUlT_E1_NS1_11comp_targetILNS1_3genE5ELNS1_11target_archE942ELNS1_3gpuE9ELNS1_3repE0EEENS1_30default_config_static_selectorELNS0_4arch9wavefront6targetE1EEEvSM_.num_vgpr, 0
	.set _ZN7rocprim17ROCPRIM_400000_NS6detail17trampoline_kernelINS0_14default_configENS1_22reduce_config_selectorIbEEZNS1_11reduce_implILb1ES3_N6hipcub16HIPCUB_304000_NS22TransformInputIteratorIb7NonZeroIiEPilEEPllNS8_6detail34convert_binary_result_type_wrapperINS8_3SumESD_lEEEE10hipError_tPvRmT1_T2_T3_mT4_P12ihipStream_tbEUlT_E1_NS1_11comp_targetILNS1_3genE5ELNS1_11target_archE942ELNS1_3gpuE9ELNS1_3repE0EEENS1_30default_config_static_selectorELNS0_4arch9wavefront6targetE1EEEvSM_.num_agpr, 0
	.set _ZN7rocprim17ROCPRIM_400000_NS6detail17trampoline_kernelINS0_14default_configENS1_22reduce_config_selectorIbEEZNS1_11reduce_implILb1ES3_N6hipcub16HIPCUB_304000_NS22TransformInputIteratorIb7NonZeroIiEPilEEPllNS8_6detail34convert_binary_result_type_wrapperINS8_3SumESD_lEEEE10hipError_tPvRmT1_T2_T3_mT4_P12ihipStream_tbEUlT_E1_NS1_11comp_targetILNS1_3genE5ELNS1_11target_archE942ELNS1_3gpuE9ELNS1_3repE0EEENS1_30default_config_static_selectorELNS0_4arch9wavefront6targetE1EEEvSM_.numbered_sgpr, 0
	.set _ZN7rocprim17ROCPRIM_400000_NS6detail17trampoline_kernelINS0_14default_configENS1_22reduce_config_selectorIbEEZNS1_11reduce_implILb1ES3_N6hipcub16HIPCUB_304000_NS22TransformInputIteratorIb7NonZeroIiEPilEEPllNS8_6detail34convert_binary_result_type_wrapperINS8_3SumESD_lEEEE10hipError_tPvRmT1_T2_T3_mT4_P12ihipStream_tbEUlT_E1_NS1_11comp_targetILNS1_3genE5ELNS1_11target_archE942ELNS1_3gpuE9ELNS1_3repE0EEENS1_30default_config_static_selectorELNS0_4arch9wavefront6targetE1EEEvSM_.num_named_barrier, 0
	.set _ZN7rocprim17ROCPRIM_400000_NS6detail17trampoline_kernelINS0_14default_configENS1_22reduce_config_selectorIbEEZNS1_11reduce_implILb1ES3_N6hipcub16HIPCUB_304000_NS22TransformInputIteratorIb7NonZeroIiEPilEEPllNS8_6detail34convert_binary_result_type_wrapperINS8_3SumESD_lEEEE10hipError_tPvRmT1_T2_T3_mT4_P12ihipStream_tbEUlT_E1_NS1_11comp_targetILNS1_3genE5ELNS1_11target_archE942ELNS1_3gpuE9ELNS1_3repE0EEENS1_30default_config_static_selectorELNS0_4arch9wavefront6targetE1EEEvSM_.private_seg_size, 0
	.set _ZN7rocprim17ROCPRIM_400000_NS6detail17trampoline_kernelINS0_14default_configENS1_22reduce_config_selectorIbEEZNS1_11reduce_implILb1ES3_N6hipcub16HIPCUB_304000_NS22TransformInputIteratorIb7NonZeroIiEPilEEPllNS8_6detail34convert_binary_result_type_wrapperINS8_3SumESD_lEEEE10hipError_tPvRmT1_T2_T3_mT4_P12ihipStream_tbEUlT_E1_NS1_11comp_targetILNS1_3genE5ELNS1_11target_archE942ELNS1_3gpuE9ELNS1_3repE0EEENS1_30default_config_static_selectorELNS0_4arch9wavefront6targetE1EEEvSM_.uses_vcc, 0
	.set _ZN7rocprim17ROCPRIM_400000_NS6detail17trampoline_kernelINS0_14default_configENS1_22reduce_config_selectorIbEEZNS1_11reduce_implILb1ES3_N6hipcub16HIPCUB_304000_NS22TransformInputIteratorIb7NonZeroIiEPilEEPllNS8_6detail34convert_binary_result_type_wrapperINS8_3SumESD_lEEEE10hipError_tPvRmT1_T2_T3_mT4_P12ihipStream_tbEUlT_E1_NS1_11comp_targetILNS1_3genE5ELNS1_11target_archE942ELNS1_3gpuE9ELNS1_3repE0EEENS1_30default_config_static_selectorELNS0_4arch9wavefront6targetE1EEEvSM_.uses_flat_scratch, 0
	.set _ZN7rocprim17ROCPRIM_400000_NS6detail17trampoline_kernelINS0_14default_configENS1_22reduce_config_selectorIbEEZNS1_11reduce_implILb1ES3_N6hipcub16HIPCUB_304000_NS22TransformInputIteratorIb7NonZeroIiEPilEEPllNS8_6detail34convert_binary_result_type_wrapperINS8_3SumESD_lEEEE10hipError_tPvRmT1_T2_T3_mT4_P12ihipStream_tbEUlT_E1_NS1_11comp_targetILNS1_3genE5ELNS1_11target_archE942ELNS1_3gpuE9ELNS1_3repE0EEENS1_30default_config_static_selectorELNS0_4arch9wavefront6targetE1EEEvSM_.has_dyn_sized_stack, 0
	.set _ZN7rocprim17ROCPRIM_400000_NS6detail17trampoline_kernelINS0_14default_configENS1_22reduce_config_selectorIbEEZNS1_11reduce_implILb1ES3_N6hipcub16HIPCUB_304000_NS22TransformInputIteratorIb7NonZeroIiEPilEEPllNS8_6detail34convert_binary_result_type_wrapperINS8_3SumESD_lEEEE10hipError_tPvRmT1_T2_T3_mT4_P12ihipStream_tbEUlT_E1_NS1_11comp_targetILNS1_3genE5ELNS1_11target_archE942ELNS1_3gpuE9ELNS1_3repE0EEENS1_30default_config_static_selectorELNS0_4arch9wavefront6targetE1EEEvSM_.has_recursion, 0
	.set _ZN7rocprim17ROCPRIM_400000_NS6detail17trampoline_kernelINS0_14default_configENS1_22reduce_config_selectorIbEEZNS1_11reduce_implILb1ES3_N6hipcub16HIPCUB_304000_NS22TransformInputIteratorIb7NonZeroIiEPilEEPllNS8_6detail34convert_binary_result_type_wrapperINS8_3SumESD_lEEEE10hipError_tPvRmT1_T2_T3_mT4_P12ihipStream_tbEUlT_E1_NS1_11comp_targetILNS1_3genE5ELNS1_11target_archE942ELNS1_3gpuE9ELNS1_3repE0EEENS1_30default_config_static_selectorELNS0_4arch9wavefront6targetE1EEEvSM_.has_indirect_call, 0
	.section	.AMDGPU.csdata,"",@progbits
; Kernel info:
; codeLenInByte = 0
; TotalNumSgprs: 4
; NumVgprs: 0
; ScratchSize: 0
; MemoryBound: 0
; FloatMode: 240
; IeeeMode: 1
; LDSByteSize: 0 bytes/workgroup (compile time only)
; SGPRBlocks: 0
; VGPRBlocks: 0
; NumSGPRsForWavesPerEU: 4
; NumVGPRsForWavesPerEU: 1
; Occupancy: 10
; WaveLimiterHint : 0
; COMPUTE_PGM_RSRC2:SCRATCH_EN: 0
; COMPUTE_PGM_RSRC2:USER_SGPR: 6
; COMPUTE_PGM_RSRC2:TRAP_HANDLER: 0
; COMPUTE_PGM_RSRC2:TGID_X_EN: 1
; COMPUTE_PGM_RSRC2:TGID_Y_EN: 0
; COMPUTE_PGM_RSRC2:TGID_Z_EN: 0
; COMPUTE_PGM_RSRC2:TIDIG_COMP_CNT: 0
	.section	.text._ZN7rocprim17ROCPRIM_400000_NS6detail17trampoline_kernelINS0_14default_configENS1_22reduce_config_selectorIbEEZNS1_11reduce_implILb1ES3_N6hipcub16HIPCUB_304000_NS22TransformInputIteratorIb7NonZeroIiEPilEEPllNS8_6detail34convert_binary_result_type_wrapperINS8_3SumESD_lEEEE10hipError_tPvRmT1_T2_T3_mT4_P12ihipStream_tbEUlT_E1_NS1_11comp_targetILNS1_3genE4ELNS1_11target_archE910ELNS1_3gpuE8ELNS1_3repE0EEENS1_30default_config_static_selectorELNS0_4arch9wavefront6targetE1EEEvSM_,"axG",@progbits,_ZN7rocprim17ROCPRIM_400000_NS6detail17trampoline_kernelINS0_14default_configENS1_22reduce_config_selectorIbEEZNS1_11reduce_implILb1ES3_N6hipcub16HIPCUB_304000_NS22TransformInputIteratorIb7NonZeroIiEPilEEPllNS8_6detail34convert_binary_result_type_wrapperINS8_3SumESD_lEEEE10hipError_tPvRmT1_T2_T3_mT4_P12ihipStream_tbEUlT_E1_NS1_11comp_targetILNS1_3genE4ELNS1_11target_archE910ELNS1_3gpuE8ELNS1_3repE0EEENS1_30default_config_static_selectorELNS0_4arch9wavefront6targetE1EEEvSM_,comdat
	.protected	_ZN7rocprim17ROCPRIM_400000_NS6detail17trampoline_kernelINS0_14default_configENS1_22reduce_config_selectorIbEEZNS1_11reduce_implILb1ES3_N6hipcub16HIPCUB_304000_NS22TransformInputIteratorIb7NonZeroIiEPilEEPllNS8_6detail34convert_binary_result_type_wrapperINS8_3SumESD_lEEEE10hipError_tPvRmT1_T2_T3_mT4_P12ihipStream_tbEUlT_E1_NS1_11comp_targetILNS1_3genE4ELNS1_11target_archE910ELNS1_3gpuE8ELNS1_3repE0EEENS1_30default_config_static_selectorELNS0_4arch9wavefront6targetE1EEEvSM_ ; -- Begin function _ZN7rocprim17ROCPRIM_400000_NS6detail17trampoline_kernelINS0_14default_configENS1_22reduce_config_selectorIbEEZNS1_11reduce_implILb1ES3_N6hipcub16HIPCUB_304000_NS22TransformInputIteratorIb7NonZeroIiEPilEEPllNS8_6detail34convert_binary_result_type_wrapperINS8_3SumESD_lEEEE10hipError_tPvRmT1_T2_T3_mT4_P12ihipStream_tbEUlT_E1_NS1_11comp_targetILNS1_3genE4ELNS1_11target_archE910ELNS1_3gpuE8ELNS1_3repE0EEENS1_30default_config_static_selectorELNS0_4arch9wavefront6targetE1EEEvSM_
	.globl	_ZN7rocprim17ROCPRIM_400000_NS6detail17trampoline_kernelINS0_14default_configENS1_22reduce_config_selectorIbEEZNS1_11reduce_implILb1ES3_N6hipcub16HIPCUB_304000_NS22TransformInputIteratorIb7NonZeroIiEPilEEPllNS8_6detail34convert_binary_result_type_wrapperINS8_3SumESD_lEEEE10hipError_tPvRmT1_T2_T3_mT4_P12ihipStream_tbEUlT_E1_NS1_11comp_targetILNS1_3genE4ELNS1_11target_archE910ELNS1_3gpuE8ELNS1_3repE0EEENS1_30default_config_static_selectorELNS0_4arch9wavefront6targetE1EEEvSM_
	.p2align	8
	.type	_ZN7rocprim17ROCPRIM_400000_NS6detail17trampoline_kernelINS0_14default_configENS1_22reduce_config_selectorIbEEZNS1_11reduce_implILb1ES3_N6hipcub16HIPCUB_304000_NS22TransformInputIteratorIb7NonZeroIiEPilEEPllNS8_6detail34convert_binary_result_type_wrapperINS8_3SumESD_lEEEE10hipError_tPvRmT1_T2_T3_mT4_P12ihipStream_tbEUlT_E1_NS1_11comp_targetILNS1_3genE4ELNS1_11target_archE910ELNS1_3gpuE8ELNS1_3repE0EEENS1_30default_config_static_selectorELNS0_4arch9wavefront6targetE1EEEvSM_,@function
_ZN7rocprim17ROCPRIM_400000_NS6detail17trampoline_kernelINS0_14default_configENS1_22reduce_config_selectorIbEEZNS1_11reduce_implILb1ES3_N6hipcub16HIPCUB_304000_NS22TransformInputIteratorIb7NonZeroIiEPilEEPllNS8_6detail34convert_binary_result_type_wrapperINS8_3SumESD_lEEEE10hipError_tPvRmT1_T2_T3_mT4_P12ihipStream_tbEUlT_E1_NS1_11comp_targetILNS1_3genE4ELNS1_11target_archE910ELNS1_3gpuE8ELNS1_3repE0EEENS1_30default_config_static_selectorELNS0_4arch9wavefront6targetE1EEEvSM_: ; @_ZN7rocprim17ROCPRIM_400000_NS6detail17trampoline_kernelINS0_14default_configENS1_22reduce_config_selectorIbEEZNS1_11reduce_implILb1ES3_N6hipcub16HIPCUB_304000_NS22TransformInputIteratorIb7NonZeroIiEPilEEPllNS8_6detail34convert_binary_result_type_wrapperINS8_3SumESD_lEEEE10hipError_tPvRmT1_T2_T3_mT4_P12ihipStream_tbEUlT_E1_NS1_11comp_targetILNS1_3genE4ELNS1_11target_archE910ELNS1_3gpuE8ELNS1_3repE0EEENS1_30default_config_static_selectorELNS0_4arch9wavefront6targetE1EEEvSM_
; %bb.0:
	.section	.rodata,"a",@progbits
	.p2align	6, 0x0
	.amdhsa_kernel _ZN7rocprim17ROCPRIM_400000_NS6detail17trampoline_kernelINS0_14default_configENS1_22reduce_config_selectorIbEEZNS1_11reduce_implILb1ES3_N6hipcub16HIPCUB_304000_NS22TransformInputIteratorIb7NonZeroIiEPilEEPllNS8_6detail34convert_binary_result_type_wrapperINS8_3SumESD_lEEEE10hipError_tPvRmT1_T2_T3_mT4_P12ihipStream_tbEUlT_E1_NS1_11comp_targetILNS1_3genE4ELNS1_11target_archE910ELNS1_3gpuE8ELNS1_3repE0EEENS1_30default_config_static_selectorELNS0_4arch9wavefront6targetE1EEEvSM_
		.amdhsa_group_segment_fixed_size 0
		.amdhsa_private_segment_fixed_size 0
		.amdhsa_kernarg_size 56
		.amdhsa_user_sgpr_count 6
		.amdhsa_user_sgpr_private_segment_buffer 1
		.amdhsa_user_sgpr_dispatch_ptr 0
		.amdhsa_user_sgpr_queue_ptr 0
		.amdhsa_user_sgpr_kernarg_segment_ptr 1
		.amdhsa_user_sgpr_dispatch_id 0
		.amdhsa_user_sgpr_flat_scratch_init 0
		.amdhsa_user_sgpr_private_segment_size 0
		.amdhsa_uses_dynamic_stack 0
		.amdhsa_system_sgpr_private_segment_wavefront_offset 0
		.amdhsa_system_sgpr_workgroup_id_x 1
		.amdhsa_system_sgpr_workgroup_id_y 0
		.amdhsa_system_sgpr_workgroup_id_z 0
		.amdhsa_system_sgpr_workgroup_info 0
		.amdhsa_system_vgpr_workitem_id 0
		.amdhsa_next_free_vgpr 1
		.amdhsa_next_free_sgpr 0
		.amdhsa_reserve_vcc 0
		.amdhsa_reserve_flat_scratch 0
		.amdhsa_float_round_mode_32 0
		.amdhsa_float_round_mode_16_64 0
		.amdhsa_float_denorm_mode_32 3
		.amdhsa_float_denorm_mode_16_64 3
		.amdhsa_dx10_clamp 1
		.amdhsa_ieee_mode 1
		.amdhsa_fp16_overflow 0
		.amdhsa_exception_fp_ieee_invalid_op 0
		.amdhsa_exception_fp_denorm_src 0
		.amdhsa_exception_fp_ieee_div_zero 0
		.amdhsa_exception_fp_ieee_overflow 0
		.amdhsa_exception_fp_ieee_underflow 0
		.amdhsa_exception_fp_ieee_inexact 0
		.amdhsa_exception_int_div_zero 0
	.end_amdhsa_kernel
	.section	.text._ZN7rocprim17ROCPRIM_400000_NS6detail17trampoline_kernelINS0_14default_configENS1_22reduce_config_selectorIbEEZNS1_11reduce_implILb1ES3_N6hipcub16HIPCUB_304000_NS22TransformInputIteratorIb7NonZeroIiEPilEEPllNS8_6detail34convert_binary_result_type_wrapperINS8_3SumESD_lEEEE10hipError_tPvRmT1_T2_T3_mT4_P12ihipStream_tbEUlT_E1_NS1_11comp_targetILNS1_3genE4ELNS1_11target_archE910ELNS1_3gpuE8ELNS1_3repE0EEENS1_30default_config_static_selectorELNS0_4arch9wavefront6targetE1EEEvSM_,"axG",@progbits,_ZN7rocprim17ROCPRIM_400000_NS6detail17trampoline_kernelINS0_14default_configENS1_22reduce_config_selectorIbEEZNS1_11reduce_implILb1ES3_N6hipcub16HIPCUB_304000_NS22TransformInputIteratorIb7NonZeroIiEPilEEPllNS8_6detail34convert_binary_result_type_wrapperINS8_3SumESD_lEEEE10hipError_tPvRmT1_T2_T3_mT4_P12ihipStream_tbEUlT_E1_NS1_11comp_targetILNS1_3genE4ELNS1_11target_archE910ELNS1_3gpuE8ELNS1_3repE0EEENS1_30default_config_static_selectorELNS0_4arch9wavefront6targetE1EEEvSM_,comdat
.Lfunc_end178:
	.size	_ZN7rocprim17ROCPRIM_400000_NS6detail17trampoline_kernelINS0_14default_configENS1_22reduce_config_selectorIbEEZNS1_11reduce_implILb1ES3_N6hipcub16HIPCUB_304000_NS22TransformInputIteratorIb7NonZeroIiEPilEEPllNS8_6detail34convert_binary_result_type_wrapperINS8_3SumESD_lEEEE10hipError_tPvRmT1_T2_T3_mT4_P12ihipStream_tbEUlT_E1_NS1_11comp_targetILNS1_3genE4ELNS1_11target_archE910ELNS1_3gpuE8ELNS1_3repE0EEENS1_30default_config_static_selectorELNS0_4arch9wavefront6targetE1EEEvSM_, .Lfunc_end178-_ZN7rocprim17ROCPRIM_400000_NS6detail17trampoline_kernelINS0_14default_configENS1_22reduce_config_selectorIbEEZNS1_11reduce_implILb1ES3_N6hipcub16HIPCUB_304000_NS22TransformInputIteratorIb7NonZeroIiEPilEEPllNS8_6detail34convert_binary_result_type_wrapperINS8_3SumESD_lEEEE10hipError_tPvRmT1_T2_T3_mT4_P12ihipStream_tbEUlT_E1_NS1_11comp_targetILNS1_3genE4ELNS1_11target_archE910ELNS1_3gpuE8ELNS1_3repE0EEENS1_30default_config_static_selectorELNS0_4arch9wavefront6targetE1EEEvSM_
                                        ; -- End function
	.set _ZN7rocprim17ROCPRIM_400000_NS6detail17trampoline_kernelINS0_14default_configENS1_22reduce_config_selectorIbEEZNS1_11reduce_implILb1ES3_N6hipcub16HIPCUB_304000_NS22TransformInputIteratorIb7NonZeroIiEPilEEPllNS8_6detail34convert_binary_result_type_wrapperINS8_3SumESD_lEEEE10hipError_tPvRmT1_T2_T3_mT4_P12ihipStream_tbEUlT_E1_NS1_11comp_targetILNS1_3genE4ELNS1_11target_archE910ELNS1_3gpuE8ELNS1_3repE0EEENS1_30default_config_static_selectorELNS0_4arch9wavefront6targetE1EEEvSM_.num_vgpr, 0
	.set _ZN7rocprim17ROCPRIM_400000_NS6detail17trampoline_kernelINS0_14default_configENS1_22reduce_config_selectorIbEEZNS1_11reduce_implILb1ES3_N6hipcub16HIPCUB_304000_NS22TransformInputIteratorIb7NonZeroIiEPilEEPllNS8_6detail34convert_binary_result_type_wrapperINS8_3SumESD_lEEEE10hipError_tPvRmT1_T2_T3_mT4_P12ihipStream_tbEUlT_E1_NS1_11comp_targetILNS1_3genE4ELNS1_11target_archE910ELNS1_3gpuE8ELNS1_3repE0EEENS1_30default_config_static_selectorELNS0_4arch9wavefront6targetE1EEEvSM_.num_agpr, 0
	.set _ZN7rocprim17ROCPRIM_400000_NS6detail17trampoline_kernelINS0_14default_configENS1_22reduce_config_selectorIbEEZNS1_11reduce_implILb1ES3_N6hipcub16HIPCUB_304000_NS22TransformInputIteratorIb7NonZeroIiEPilEEPllNS8_6detail34convert_binary_result_type_wrapperINS8_3SumESD_lEEEE10hipError_tPvRmT1_T2_T3_mT4_P12ihipStream_tbEUlT_E1_NS1_11comp_targetILNS1_3genE4ELNS1_11target_archE910ELNS1_3gpuE8ELNS1_3repE0EEENS1_30default_config_static_selectorELNS0_4arch9wavefront6targetE1EEEvSM_.numbered_sgpr, 0
	.set _ZN7rocprim17ROCPRIM_400000_NS6detail17trampoline_kernelINS0_14default_configENS1_22reduce_config_selectorIbEEZNS1_11reduce_implILb1ES3_N6hipcub16HIPCUB_304000_NS22TransformInputIteratorIb7NonZeroIiEPilEEPllNS8_6detail34convert_binary_result_type_wrapperINS8_3SumESD_lEEEE10hipError_tPvRmT1_T2_T3_mT4_P12ihipStream_tbEUlT_E1_NS1_11comp_targetILNS1_3genE4ELNS1_11target_archE910ELNS1_3gpuE8ELNS1_3repE0EEENS1_30default_config_static_selectorELNS0_4arch9wavefront6targetE1EEEvSM_.num_named_barrier, 0
	.set _ZN7rocprim17ROCPRIM_400000_NS6detail17trampoline_kernelINS0_14default_configENS1_22reduce_config_selectorIbEEZNS1_11reduce_implILb1ES3_N6hipcub16HIPCUB_304000_NS22TransformInputIteratorIb7NonZeroIiEPilEEPllNS8_6detail34convert_binary_result_type_wrapperINS8_3SumESD_lEEEE10hipError_tPvRmT1_T2_T3_mT4_P12ihipStream_tbEUlT_E1_NS1_11comp_targetILNS1_3genE4ELNS1_11target_archE910ELNS1_3gpuE8ELNS1_3repE0EEENS1_30default_config_static_selectorELNS0_4arch9wavefront6targetE1EEEvSM_.private_seg_size, 0
	.set _ZN7rocprim17ROCPRIM_400000_NS6detail17trampoline_kernelINS0_14default_configENS1_22reduce_config_selectorIbEEZNS1_11reduce_implILb1ES3_N6hipcub16HIPCUB_304000_NS22TransformInputIteratorIb7NonZeroIiEPilEEPllNS8_6detail34convert_binary_result_type_wrapperINS8_3SumESD_lEEEE10hipError_tPvRmT1_T2_T3_mT4_P12ihipStream_tbEUlT_E1_NS1_11comp_targetILNS1_3genE4ELNS1_11target_archE910ELNS1_3gpuE8ELNS1_3repE0EEENS1_30default_config_static_selectorELNS0_4arch9wavefront6targetE1EEEvSM_.uses_vcc, 0
	.set _ZN7rocprim17ROCPRIM_400000_NS6detail17trampoline_kernelINS0_14default_configENS1_22reduce_config_selectorIbEEZNS1_11reduce_implILb1ES3_N6hipcub16HIPCUB_304000_NS22TransformInputIteratorIb7NonZeroIiEPilEEPllNS8_6detail34convert_binary_result_type_wrapperINS8_3SumESD_lEEEE10hipError_tPvRmT1_T2_T3_mT4_P12ihipStream_tbEUlT_E1_NS1_11comp_targetILNS1_3genE4ELNS1_11target_archE910ELNS1_3gpuE8ELNS1_3repE0EEENS1_30default_config_static_selectorELNS0_4arch9wavefront6targetE1EEEvSM_.uses_flat_scratch, 0
	.set _ZN7rocprim17ROCPRIM_400000_NS6detail17trampoline_kernelINS0_14default_configENS1_22reduce_config_selectorIbEEZNS1_11reduce_implILb1ES3_N6hipcub16HIPCUB_304000_NS22TransformInputIteratorIb7NonZeroIiEPilEEPllNS8_6detail34convert_binary_result_type_wrapperINS8_3SumESD_lEEEE10hipError_tPvRmT1_T2_T3_mT4_P12ihipStream_tbEUlT_E1_NS1_11comp_targetILNS1_3genE4ELNS1_11target_archE910ELNS1_3gpuE8ELNS1_3repE0EEENS1_30default_config_static_selectorELNS0_4arch9wavefront6targetE1EEEvSM_.has_dyn_sized_stack, 0
	.set _ZN7rocprim17ROCPRIM_400000_NS6detail17trampoline_kernelINS0_14default_configENS1_22reduce_config_selectorIbEEZNS1_11reduce_implILb1ES3_N6hipcub16HIPCUB_304000_NS22TransformInputIteratorIb7NonZeroIiEPilEEPllNS8_6detail34convert_binary_result_type_wrapperINS8_3SumESD_lEEEE10hipError_tPvRmT1_T2_T3_mT4_P12ihipStream_tbEUlT_E1_NS1_11comp_targetILNS1_3genE4ELNS1_11target_archE910ELNS1_3gpuE8ELNS1_3repE0EEENS1_30default_config_static_selectorELNS0_4arch9wavefront6targetE1EEEvSM_.has_recursion, 0
	.set _ZN7rocprim17ROCPRIM_400000_NS6detail17trampoline_kernelINS0_14default_configENS1_22reduce_config_selectorIbEEZNS1_11reduce_implILb1ES3_N6hipcub16HIPCUB_304000_NS22TransformInputIteratorIb7NonZeroIiEPilEEPllNS8_6detail34convert_binary_result_type_wrapperINS8_3SumESD_lEEEE10hipError_tPvRmT1_T2_T3_mT4_P12ihipStream_tbEUlT_E1_NS1_11comp_targetILNS1_3genE4ELNS1_11target_archE910ELNS1_3gpuE8ELNS1_3repE0EEENS1_30default_config_static_selectorELNS0_4arch9wavefront6targetE1EEEvSM_.has_indirect_call, 0
	.section	.AMDGPU.csdata,"",@progbits
; Kernel info:
; codeLenInByte = 0
; TotalNumSgprs: 4
; NumVgprs: 0
; ScratchSize: 0
; MemoryBound: 0
; FloatMode: 240
; IeeeMode: 1
; LDSByteSize: 0 bytes/workgroup (compile time only)
; SGPRBlocks: 0
; VGPRBlocks: 0
; NumSGPRsForWavesPerEU: 4
; NumVGPRsForWavesPerEU: 1
; Occupancy: 10
; WaveLimiterHint : 0
; COMPUTE_PGM_RSRC2:SCRATCH_EN: 0
; COMPUTE_PGM_RSRC2:USER_SGPR: 6
; COMPUTE_PGM_RSRC2:TRAP_HANDLER: 0
; COMPUTE_PGM_RSRC2:TGID_X_EN: 1
; COMPUTE_PGM_RSRC2:TGID_Y_EN: 0
; COMPUTE_PGM_RSRC2:TGID_Z_EN: 0
; COMPUTE_PGM_RSRC2:TIDIG_COMP_CNT: 0
	.section	.text._ZN7rocprim17ROCPRIM_400000_NS6detail17trampoline_kernelINS0_14default_configENS1_22reduce_config_selectorIbEEZNS1_11reduce_implILb1ES3_N6hipcub16HIPCUB_304000_NS22TransformInputIteratorIb7NonZeroIiEPilEEPllNS8_6detail34convert_binary_result_type_wrapperINS8_3SumESD_lEEEE10hipError_tPvRmT1_T2_T3_mT4_P12ihipStream_tbEUlT_E1_NS1_11comp_targetILNS1_3genE3ELNS1_11target_archE908ELNS1_3gpuE7ELNS1_3repE0EEENS1_30default_config_static_selectorELNS0_4arch9wavefront6targetE1EEEvSM_,"axG",@progbits,_ZN7rocprim17ROCPRIM_400000_NS6detail17trampoline_kernelINS0_14default_configENS1_22reduce_config_selectorIbEEZNS1_11reduce_implILb1ES3_N6hipcub16HIPCUB_304000_NS22TransformInputIteratorIb7NonZeroIiEPilEEPllNS8_6detail34convert_binary_result_type_wrapperINS8_3SumESD_lEEEE10hipError_tPvRmT1_T2_T3_mT4_P12ihipStream_tbEUlT_E1_NS1_11comp_targetILNS1_3genE3ELNS1_11target_archE908ELNS1_3gpuE7ELNS1_3repE0EEENS1_30default_config_static_selectorELNS0_4arch9wavefront6targetE1EEEvSM_,comdat
	.protected	_ZN7rocprim17ROCPRIM_400000_NS6detail17trampoline_kernelINS0_14default_configENS1_22reduce_config_selectorIbEEZNS1_11reduce_implILb1ES3_N6hipcub16HIPCUB_304000_NS22TransformInputIteratorIb7NonZeroIiEPilEEPllNS8_6detail34convert_binary_result_type_wrapperINS8_3SumESD_lEEEE10hipError_tPvRmT1_T2_T3_mT4_P12ihipStream_tbEUlT_E1_NS1_11comp_targetILNS1_3genE3ELNS1_11target_archE908ELNS1_3gpuE7ELNS1_3repE0EEENS1_30default_config_static_selectorELNS0_4arch9wavefront6targetE1EEEvSM_ ; -- Begin function _ZN7rocprim17ROCPRIM_400000_NS6detail17trampoline_kernelINS0_14default_configENS1_22reduce_config_selectorIbEEZNS1_11reduce_implILb1ES3_N6hipcub16HIPCUB_304000_NS22TransformInputIteratorIb7NonZeroIiEPilEEPllNS8_6detail34convert_binary_result_type_wrapperINS8_3SumESD_lEEEE10hipError_tPvRmT1_T2_T3_mT4_P12ihipStream_tbEUlT_E1_NS1_11comp_targetILNS1_3genE3ELNS1_11target_archE908ELNS1_3gpuE7ELNS1_3repE0EEENS1_30default_config_static_selectorELNS0_4arch9wavefront6targetE1EEEvSM_
	.globl	_ZN7rocprim17ROCPRIM_400000_NS6detail17trampoline_kernelINS0_14default_configENS1_22reduce_config_selectorIbEEZNS1_11reduce_implILb1ES3_N6hipcub16HIPCUB_304000_NS22TransformInputIteratorIb7NonZeroIiEPilEEPllNS8_6detail34convert_binary_result_type_wrapperINS8_3SumESD_lEEEE10hipError_tPvRmT1_T2_T3_mT4_P12ihipStream_tbEUlT_E1_NS1_11comp_targetILNS1_3genE3ELNS1_11target_archE908ELNS1_3gpuE7ELNS1_3repE0EEENS1_30default_config_static_selectorELNS0_4arch9wavefront6targetE1EEEvSM_
	.p2align	8
	.type	_ZN7rocprim17ROCPRIM_400000_NS6detail17trampoline_kernelINS0_14default_configENS1_22reduce_config_selectorIbEEZNS1_11reduce_implILb1ES3_N6hipcub16HIPCUB_304000_NS22TransformInputIteratorIb7NonZeroIiEPilEEPllNS8_6detail34convert_binary_result_type_wrapperINS8_3SumESD_lEEEE10hipError_tPvRmT1_T2_T3_mT4_P12ihipStream_tbEUlT_E1_NS1_11comp_targetILNS1_3genE3ELNS1_11target_archE908ELNS1_3gpuE7ELNS1_3repE0EEENS1_30default_config_static_selectorELNS0_4arch9wavefront6targetE1EEEvSM_,@function
_ZN7rocprim17ROCPRIM_400000_NS6detail17trampoline_kernelINS0_14default_configENS1_22reduce_config_selectorIbEEZNS1_11reduce_implILb1ES3_N6hipcub16HIPCUB_304000_NS22TransformInputIteratorIb7NonZeroIiEPilEEPllNS8_6detail34convert_binary_result_type_wrapperINS8_3SumESD_lEEEE10hipError_tPvRmT1_T2_T3_mT4_P12ihipStream_tbEUlT_E1_NS1_11comp_targetILNS1_3genE3ELNS1_11target_archE908ELNS1_3gpuE7ELNS1_3repE0EEENS1_30default_config_static_selectorELNS0_4arch9wavefront6targetE1EEEvSM_: ; @_ZN7rocprim17ROCPRIM_400000_NS6detail17trampoline_kernelINS0_14default_configENS1_22reduce_config_selectorIbEEZNS1_11reduce_implILb1ES3_N6hipcub16HIPCUB_304000_NS22TransformInputIteratorIb7NonZeroIiEPilEEPllNS8_6detail34convert_binary_result_type_wrapperINS8_3SumESD_lEEEE10hipError_tPvRmT1_T2_T3_mT4_P12ihipStream_tbEUlT_E1_NS1_11comp_targetILNS1_3genE3ELNS1_11target_archE908ELNS1_3gpuE7ELNS1_3repE0EEENS1_30default_config_static_selectorELNS0_4arch9wavefront6targetE1EEEvSM_
; %bb.0:
	.section	.rodata,"a",@progbits
	.p2align	6, 0x0
	.amdhsa_kernel _ZN7rocprim17ROCPRIM_400000_NS6detail17trampoline_kernelINS0_14default_configENS1_22reduce_config_selectorIbEEZNS1_11reduce_implILb1ES3_N6hipcub16HIPCUB_304000_NS22TransformInputIteratorIb7NonZeroIiEPilEEPllNS8_6detail34convert_binary_result_type_wrapperINS8_3SumESD_lEEEE10hipError_tPvRmT1_T2_T3_mT4_P12ihipStream_tbEUlT_E1_NS1_11comp_targetILNS1_3genE3ELNS1_11target_archE908ELNS1_3gpuE7ELNS1_3repE0EEENS1_30default_config_static_selectorELNS0_4arch9wavefront6targetE1EEEvSM_
		.amdhsa_group_segment_fixed_size 0
		.amdhsa_private_segment_fixed_size 0
		.amdhsa_kernarg_size 56
		.amdhsa_user_sgpr_count 6
		.amdhsa_user_sgpr_private_segment_buffer 1
		.amdhsa_user_sgpr_dispatch_ptr 0
		.amdhsa_user_sgpr_queue_ptr 0
		.amdhsa_user_sgpr_kernarg_segment_ptr 1
		.amdhsa_user_sgpr_dispatch_id 0
		.amdhsa_user_sgpr_flat_scratch_init 0
		.amdhsa_user_sgpr_private_segment_size 0
		.amdhsa_uses_dynamic_stack 0
		.amdhsa_system_sgpr_private_segment_wavefront_offset 0
		.amdhsa_system_sgpr_workgroup_id_x 1
		.amdhsa_system_sgpr_workgroup_id_y 0
		.amdhsa_system_sgpr_workgroup_id_z 0
		.amdhsa_system_sgpr_workgroup_info 0
		.amdhsa_system_vgpr_workitem_id 0
		.amdhsa_next_free_vgpr 1
		.amdhsa_next_free_sgpr 0
		.amdhsa_reserve_vcc 0
		.amdhsa_reserve_flat_scratch 0
		.amdhsa_float_round_mode_32 0
		.amdhsa_float_round_mode_16_64 0
		.amdhsa_float_denorm_mode_32 3
		.amdhsa_float_denorm_mode_16_64 3
		.amdhsa_dx10_clamp 1
		.amdhsa_ieee_mode 1
		.amdhsa_fp16_overflow 0
		.amdhsa_exception_fp_ieee_invalid_op 0
		.amdhsa_exception_fp_denorm_src 0
		.amdhsa_exception_fp_ieee_div_zero 0
		.amdhsa_exception_fp_ieee_overflow 0
		.amdhsa_exception_fp_ieee_underflow 0
		.amdhsa_exception_fp_ieee_inexact 0
		.amdhsa_exception_int_div_zero 0
	.end_amdhsa_kernel
	.section	.text._ZN7rocprim17ROCPRIM_400000_NS6detail17trampoline_kernelINS0_14default_configENS1_22reduce_config_selectorIbEEZNS1_11reduce_implILb1ES3_N6hipcub16HIPCUB_304000_NS22TransformInputIteratorIb7NonZeroIiEPilEEPllNS8_6detail34convert_binary_result_type_wrapperINS8_3SumESD_lEEEE10hipError_tPvRmT1_T2_T3_mT4_P12ihipStream_tbEUlT_E1_NS1_11comp_targetILNS1_3genE3ELNS1_11target_archE908ELNS1_3gpuE7ELNS1_3repE0EEENS1_30default_config_static_selectorELNS0_4arch9wavefront6targetE1EEEvSM_,"axG",@progbits,_ZN7rocprim17ROCPRIM_400000_NS6detail17trampoline_kernelINS0_14default_configENS1_22reduce_config_selectorIbEEZNS1_11reduce_implILb1ES3_N6hipcub16HIPCUB_304000_NS22TransformInputIteratorIb7NonZeroIiEPilEEPllNS8_6detail34convert_binary_result_type_wrapperINS8_3SumESD_lEEEE10hipError_tPvRmT1_T2_T3_mT4_P12ihipStream_tbEUlT_E1_NS1_11comp_targetILNS1_3genE3ELNS1_11target_archE908ELNS1_3gpuE7ELNS1_3repE0EEENS1_30default_config_static_selectorELNS0_4arch9wavefront6targetE1EEEvSM_,comdat
.Lfunc_end179:
	.size	_ZN7rocprim17ROCPRIM_400000_NS6detail17trampoline_kernelINS0_14default_configENS1_22reduce_config_selectorIbEEZNS1_11reduce_implILb1ES3_N6hipcub16HIPCUB_304000_NS22TransformInputIteratorIb7NonZeroIiEPilEEPllNS8_6detail34convert_binary_result_type_wrapperINS8_3SumESD_lEEEE10hipError_tPvRmT1_T2_T3_mT4_P12ihipStream_tbEUlT_E1_NS1_11comp_targetILNS1_3genE3ELNS1_11target_archE908ELNS1_3gpuE7ELNS1_3repE0EEENS1_30default_config_static_selectorELNS0_4arch9wavefront6targetE1EEEvSM_, .Lfunc_end179-_ZN7rocprim17ROCPRIM_400000_NS6detail17trampoline_kernelINS0_14default_configENS1_22reduce_config_selectorIbEEZNS1_11reduce_implILb1ES3_N6hipcub16HIPCUB_304000_NS22TransformInputIteratorIb7NonZeroIiEPilEEPllNS8_6detail34convert_binary_result_type_wrapperINS8_3SumESD_lEEEE10hipError_tPvRmT1_T2_T3_mT4_P12ihipStream_tbEUlT_E1_NS1_11comp_targetILNS1_3genE3ELNS1_11target_archE908ELNS1_3gpuE7ELNS1_3repE0EEENS1_30default_config_static_selectorELNS0_4arch9wavefront6targetE1EEEvSM_
                                        ; -- End function
	.set _ZN7rocprim17ROCPRIM_400000_NS6detail17trampoline_kernelINS0_14default_configENS1_22reduce_config_selectorIbEEZNS1_11reduce_implILb1ES3_N6hipcub16HIPCUB_304000_NS22TransformInputIteratorIb7NonZeroIiEPilEEPllNS8_6detail34convert_binary_result_type_wrapperINS8_3SumESD_lEEEE10hipError_tPvRmT1_T2_T3_mT4_P12ihipStream_tbEUlT_E1_NS1_11comp_targetILNS1_3genE3ELNS1_11target_archE908ELNS1_3gpuE7ELNS1_3repE0EEENS1_30default_config_static_selectorELNS0_4arch9wavefront6targetE1EEEvSM_.num_vgpr, 0
	.set _ZN7rocprim17ROCPRIM_400000_NS6detail17trampoline_kernelINS0_14default_configENS1_22reduce_config_selectorIbEEZNS1_11reduce_implILb1ES3_N6hipcub16HIPCUB_304000_NS22TransformInputIteratorIb7NonZeroIiEPilEEPllNS8_6detail34convert_binary_result_type_wrapperINS8_3SumESD_lEEEE10hipError_tPvRmT1_T2_T3_mT4_P12ihipStream_tbEUlT_E1_NS1_11comp_targetILNS1_3genE3ELNS1_11target_archE908ELNS1_3gpuE7ELNS1_3repE0EEENS1_30default_config_static_selectorELNS0_4arch9wavefront6targetE1EEEvSM_.num_agpr, 0
	.set _ZN7rocprim17ROCPRIM_400000_NS6detail17trampoline_kernelINS0_14default_configENS1_22reduce_config_selectorIbEEZNS1_11reduce_implILb1ES3_N6hipcub16HIPCUB_304000_NS22TransformInputIteratorIb7NonZeroIiEPilEEPllNS8_6detail34convert_binary_result_type_wrapperINS8_3SumESD_lEEEE10hipError_tPvRmT1_T2_T3_mT4_P12ihipStream_tbEUlT_E1_NS1_11comp_targetILNS1_3genE3ELNS1_11target_archE908ELNS1_3gpuE7ELNS1_3repE0EEENS1_30default_config_static_selectorELNS0_4arch9wavefront6targetE1EEEvSM_.numbered_sgpr, 0
	.set _ZN7rocprim17ROCPRIM_400000_NS6detail17trampoline_kernelINS0_14default_configENS1_22reduce_config_selectorIbEEZNS1_11reduce_implILb1ES3_N6hipcub16HIPCUB_304000_NS22TransformInputIteratorIb7NonZeroIiEPilEEPllNS8_6detail34convert_binary_result_type_wrapperINS8_3SumESD_lEEEE10hipError_tPvRmT1_T2_T3_mT4_P12ihipStream_tbEUlT_E1_NS1_11comp_targetILNS1_3genE3ELNS1_11target_archE908ELNS1_3gpuE7ELNS1_3repE0EEENS1_30default_config_static_selectorELNS0_4arch9wavefront6targetE1EEEvSM_.num_named_barrier, 0
	.set _ZN7rocprim17ROCPRIM_400000_NS6detail17trampoline_kernelINS0_14default_configENS1_22reduce_config_selectorIbEEZNS1_11reduce_implILb1ES3_N6hipcub16HIPCUB_304000_NS22TransformInputIteratorIb7NonZeroIiEPilEEPllNS8_6detail34convert_binary_result_type_wrapperINS8_3SumESD_lEEEE10hipError_tPvRmT1_T2_T3_mT4_P12ihipStream_tbEUlT_E1_NS1_11comp_targetILNS1_3genE3ELNS1_11target_archE908ELNS1_3gpuE7ELNS1_3repE0EEENS1_30default_config_static_selectorELNS0_4arch9wavefront6targetE1EEEvSM_.private_seg_size, 0
	.set _ZN7rocprim17ROCPRIM_400000_NS6detail17trampoline_kernelINS0_14default_configENS1_22reduce_config_selectorIbEEZNS1_11reduce_implILb1ES3_N6hipcub16HIPCUB_304000_NS22TransformInputIteratorIb7NonZeroIiEPilEEPllNS8_6detail34convert_binary_result_type_wrapperINS8_3SumESD_lEEEE10hipError_tPvRmT1_T2_T3_mT4_P12ihipStream_tbEUlT_E1_NS1_11comp_targetILNS1_3genE3ELNS1_11target_archE908ELNS1_3gpuE7ELNS1_3repE0EEENS1_30default_config_static_selectorELNS0_4arch9wavefront6targetE1EEEvSM_.uses_vcc, 0
	.set _ZN7rocprim17ROCPRIM_400000_NS6detail17trampoline_kernelINS0_14default_configENS1_22reduce_config_selectorIbEEZNS1_11reduce_implILb1ES3_N6hipcub16HIPCUB_304000_NS22TransformInputIteratorIb7NonZeroIiEPilEEPllNS8_6detail34convert_binary_result_type_wrapperINS8_3SumESD_lEEEE10hipError_tPvRmT1_T2_T3_mT4_P12ihipStream_tbEUlT_E1_NS1_11comp_targetILNS1_3genE3ELNS1_11target_archE908ELNS1_3gpuE7ELNS1_3repE0EEENS1_30default_config_static_selectorELNS0_4arch9wavefront6targetE1EEEvSM_.uses_flat_scratch, 0
	.set _ZN7rocprim17ROCPRIM_400000_NS6detail17trampoline_kernelINS0_14default_configENS1_22reduce_config_selectorIbEEZNS1_11reduce_implILb1ES3_N6hipcub16HIPCUB_304000_NS22TransformInputIteratorIb7NonZeroIiEPilEEPllNS8_6detail34convert_binary_result_type_wrapperINS8_3SumESD_lEEEE10hipError_tPvRmT1_T2_T3_mT4_P12ihipStream_tbEUlT_E1_NS1_11comp_targetILNS1_3genE3ELNS1_11target_archE908ELNS1_3gpuE7ELNS1_3repE0EEENS1_30default_config_static_selectorELNS0_4arch9wavefront6targetE1EEEvSM_.has_dyn_sized_stack, 0
	.set _ZN7rocprim17ROCPRIM_400000_NS6detail17trampoline_kernelINS0_14default_configENS1_22reduce_config_selectorIbEEZNS1_11reduce_implILb1ES3_N6hipcub16HIPCUB_304000_NS22TransformInputIteratorIb7NonZeroIiEPilEEPllNS8_6detail34convert_binary_result_type_wrapperINS8_3SumESD_lEEEE10hipError_tPvRmT1_T2_T3_mT4_P12ihipStream_tbEUlT_E1_NS1_11comp_targetILNS1_3genE3ELNS1_11target_archE908ELNS1_3gpuE7ELNS1_3repE0EEENS1_30default_config_static_selectorELNS0_4arch9wavefront6targetE1EEEvSM_.has_recursion, 0
	.set _ZN7rocprim17ROCPRIM_400000_NS6detail17trampoline_kernelINS0_14default_configENS1_22reduce_config_selectorIbEEZNS1_11reduce_implILb1ES3_N6hipcub16HIPCUB_304000_NS22TransformInputIteratorIb7NonZeroIiEPilEEPllNS8_6detail34convert_binary_result_type_wrapperINS8_3SumESD_lEEEE10hipError_tPvRmT1_T2_T3_mT4_P12ihipStream_tbEUlT_E1_NS1_11comp_targetILNS1_3genE3ELNS1_11target_archE908ELNS1_3gpuE7ELNS1_3repE0EEENS1_30default_config_static_selectorELNS0_4arch9wavefront6targetE1EEEvSM_.has_indirect_call, 0
	.section	.AMDGPU.csdata,"",@progbits
; Kernel info:
; codeLenInByte = 0
; TotalNumSgprs: 4
; NumVgprs: 0
; ScratchSize: 0
; MemoryBound: 0
; FloatMode: 240
; IeeeMode: 1
; LDSByteSize: 0 bytes/workgroup (compile time only)
; SGPRBlocks: 0
; VGPRBlocks: 0
; NumSGPRsForWavesPerEU: 4
; NumVGPRsForWavesPerEU: 1
; Occupancy: 10
; WaveLimiterHint : 0
; COMPUTE_PGM_RSRC2:SCRATCH_EN: 0
; COMPUTE_PGM_RSRC2:USER_SGPR: 6
; COMPUTE_PGM_RSRC2:TRAP_HANDLER: 0
; COMPUTE_PGM_RSRC2:TGID_X_EN: 1
; COMPUTE_PGM_RSRC2:TGID_Y_EN: 0
; COMPUTE_PGM_RSRC2:TGID_Z_EN: 0
; COMPUTE_PGM_RSRC2:TIDIG_COMP_CNT: 0
	.section	.text._ZN7rocprim17ROCPRIM_400000_NS6detail17trampoline_kernelINS0_14default_configENS1_22reduce_config_selectorIbEEZNS1_11reduce_implILb1ES3_N6hipcub16HIPCUB_304000_NS22TransformInputIteratorIb7NonZeroIiEPilEEPllNS8_6detail34convert_binary_result_type_wrapperINS8_3SumESD_lEEEE10hipError_tPvRmT1_T2_T3_mT4_P12ihipStream_tbEUlT_E1_NS1_11comp_targetILNS1_3genE2ELNS1_11target_archE906ELNS1_3gpuE6ELNS1_3repE0EEENS1_30default_config_static_selectorELNS0_4arch9wavefront6targetE1EEEvSM_,"axG",@progbits,_ZN7rocprim17ROCPRIM_400000_NS6detail17trampoline_kernelINS0_14default_configENS1_22reduce_config_selectorIbEEZNS1_11reduce_implILb1ES3_N6hipcub16HIPCUB_304000_NS22TransformInputIteratorIb7NonZeroIiEPilEEPllNS8_6detail34convert_binary_result_type_wrapperINS8_3SumESD_lEEEE10hipError_tPvRmT1_T2_T3_mT4_P12ihipStream_tbEUlT_E1_NS1_11comp_targetILNS1_3genE2ELNS1_11target_archE906ELNS1_3gpuE6ELNS1_3repE0EEENS1_30default_config_static_selectorELNS0_4arch9wavefront6targetE1EEEvSM_,comdat
	.protected	_ZN7rocprim17ROCPRIM_400000_NS6detail17trampoline_kernelINS0_14default_configENS1_22reduce_config_selectorIbEEZNS1_11reduce_implILb1ES3_N6hipcub16HIPCUB_304000_NS22TransformInputIteratorIb7NonZeroIiEPilEEPllNS8_6detail34convert_binary_result_type_wrapperINS8_3SumESD_lEEEE10hipError_tPvRmT1_T2_T3_mT4_P12ihipStream_tbEUlT_E1_NS1_11comp_targetILNS1_3genE2ELNS1_11target_archE906ELNS1_3gpuE6ELNS1_3repE0EEENS1_30default_config_static_selectorELNS0_4arch9wavefront6targetE1EEEvSM_ ; -- Begin function _ZN7rocprim17ROCPRIM_400000_NS6detail17trampoline_kernelINS0_14default_configENS1_22reduce_config_selectorIbEEZNS1_11reduce_implILb1ES3_N6hipcub16HIPCUB_304000_NS22TransformInputIteratorIb7NonZeroIiEPilEEPllNS8_6detail34convert_binary_result_type_wrapperINS8_3SumESD_lEEEE10hipError_tPvRmT1_T2_T3_mT4_P12ihipStream_tbEUlT_E1_NS1_11comp_targetILNS1_3genE2ELNS1_11target_archE906ELNS1_3gpuE6ELNS1_3repE0EEENS1_30default_config_static_selectorELNS0_4arch9wavefront6targetE1EEEvSM_
	.globl	_ZN7rocprim17ROCPRIM_400000_NS6detail17trampoline_kernelINS0_14default_configENS1_22reduce_config_selectorIbEEZNS1_11reduce_implILb1ES3_N6hipcub16HIPCUB_304000_NS22TransformInputIteratorIb7NonZeroIiEPilEEPllNS8_6detail34convert_binary_result_type_wrapperINS8_3SumESD_lEEEE10hipError_tPvRmT1_T2_T3_mT4_P12ihipStream_tbEUlT_E1_NS1_11comp_targetILNS1_3genE2ELNS1_11target_archE906ELNS1_3gpuE6ELNS1_3repE0EEENS1_30default_config_static_selectorELNS0_4arch9wavefront6targetE1EEEvSM_
	.p2align	8
	.type	_ZN7rocprim17ROCPRIM_400000_NS6detail17trampoline_kernelINS0_14default_configENS1_22reduce_config_selectorIbEEZNS1_11reduce_implILb1ES3_N6hipcub16HIPCUB_304000_NS22TransformInputIteratorIb7NonZeroIiEPilEEPllNS8_6detail34convert_binary_result_type_wrapperINS8_3SumESD_lEEEE10hipError_tPvRmT1_T2_T3_mT4_P12ihipStream_tbEUlT_E1_NS1_11comp_targetILNS1_3genE2ELNS1_11target_archE906ELNS1_3gpuE6ELNS1_3repE0EEENS1_30default_config_static_selectorELNS0_4arch9wavefront6targetE1EEEvSM_,@function
_ZN7rocprim17ROCPRIM_400000_NS6detail17trampoline_kernelINS0_14default_configENS1_22reduce_config_selectorIbEEZNS1_11reduce_implILb1ES3_N6hipcub16HIPCUB_304000_NS22TransformInputIteratorIb7NonZeroIiEPilEEPllNS8_6detail34convert_binary_result_type_wrapperINS8_3SumESD_lEEEE10hipError_tPvRmT1_T2_T3_mT4_P12ihipStream_tbEUlT_E1_NS1_11comp_targetILNS1_3genE2ELNS1_11target_archE906ELNS1_3gpuE6ELNS1_3repE0EEENS1_30default_config_static_selectorELNS0_4arch9wavefront6targetE1EEEvSM_: ; @_ZN7rocprim17ROCPRIM_400000_NS6detail17trampoline_kernelINS0_14default_configENS1_22reduce_config_selectorIbEEZNS1_11reduce_implILb1ES3_N6hipcub16HIPCUB_304000_NS22TransformInputIteratorIb7NonZeroIiEPilEEPllNS8_6detail34convert_binary_result_type_wrapperINS8_3SumESD_lEEEE10hipError_tPvRmT1_T2_T3_mT4_P12ihipStream_tbEUlT_E1_NS1_11comp_targetILNS1_3genE2ELNS1_11target_archE906ELNS1_3gpuE6ELNS1_3repE0EEENS1_30default_config_static_selectorELNS0_4arch9wavefront6targetE1EEEvSM_
; %bb.0:
	s_mov_b64 s[38:39], s[2:3]
	s_mov_b64 s[36:37], s[0:1]
	s_load_dword s26, s[4:5], 0x4
	s_load_dwordx2 s[18:19], s[4:5], 0x8
	s_load_dwordx4 s[20:23], s[4:5], 0x18
	s_add_u32 s36, s36, s7
	s_addc_u32 s37, s37, 0
	s_waitcnt lgkmcnt(0)
	s_cmp_lt_i32 s26, 16
	s_cbranch_scc1 .LBB180_10
; %bb.1:
	s_cmp_gt_i32 s26, 63
	s_cbranch_scc0 .LBB180_11
; %bb.2:
	s_cmpk_gt_i32 s26, 0x7f
	s_cbranch_scc0 .LBB180_12
; %bb.3:
	s_mov_b64 s[0:1], 0
	s_cmpk_eq_i32 s26, 0x80
	s_mov_b64 s[2:3], 0
                                        ; implicit-def: $vgpr1_vgpr2
                                        ; implicit-def: $vgpr3_vgpr4
	s_cbranch_scc0 .LBB180_13
; %bb.4:
	s_mov_b32 s7, 0
	s_lshl_b32 s8, s6, 14
	s_mov_b32 s9, s7
	s_lshr_b64 s[10:11], s[20:21], 14
	s_lshl_b64 s[2:3], s[8:9], 2
	s_add_u32 s2, s18, s2
	s_addc_u32 s3, s19, s3
	s_cmp_lg_u64 s[10:11], s[6:7]
	s_cbranch_scc0 .LBB180_21
; %bb.5:
	v_lshlrev_b32_e32 v7, 2, v0
	v_mov_b32_e32 v1, s3
	v_add_co_u32_e32 v5, vcc, s2, v7
	v_addc_co_u32_e32 v6, vcc, 0, v1, vcc
	s_movk_i32 s10, 0x2000
	v_add_co_u32_e32 v1, vcc, s10, v5
	global_load_dword v13, v7, s[2:3] offset:1536
	global_load_dword v14, v7, s[2:3] offset:2048
	;; [unrolled: 1-line block ×5, first 2 shown]
	v_addc_co_u32_e32 v2, vcc, 0, v6, vcc
	global_load_dword v18, v[1:2], off offset:-4096
	s_movk_i32 s9, 0x1000
	v_add_co_u32_e32 v3, vcc, s9, v5
	v_addc_co_u32_e32 v4, vcc, 0, v6, vcc
	global_load_dword v19, v[3:4], off offset:512
	global_load_dword v20, v[3:4], off offset:1024
	;; [unrolled: 1-line block ×7, first 2 shown]
	global_load_dword v26, v[1:2], off
	global_load_dword v27, v[1:2], off offset:512
	global_load_dword v28, v[1:2], off offset:1024
	;; [unrolled: 1-line block ×7, first 2 shown]
                                        ; kill: killed $vgpr1 killed $vgpr2
                                        ; kill: killed $vgpr3 killed $vgpr4
	s_nop 0
	global_load_dword v2, v7, s[2:3]
	global_load_dword v4, v7, s[2:3] offset:512
	global_load_dword v3, v7, s[2:3] offset:1024
	s_movk_i32 s10, 0x4000
	v_add_co_u32_e32 v7, vcc, s10, v5
	s_movk_i32 s9, 0x3000
	v_addc_co_u32_e32 v8, vcc, 0, v6, vcc
	v_add_co_u32_e32 v9, vcc, s9, v5
	global_load_dword v34, v[7:8], off offset:-4096
	v_addc_co_u32_e32 v10, vcc, 0, v6, vcc
	global_load_dword v35, v[9:10], off offset:512
	global_load_dword v36, v[9:10], off offset:1024
	;; [unrolled: 1-line block ×3, first 2 shown]
	s_mov_b32 s9, 0xf000
	v_add_co_u32_e32 v11, vcc, s9, v5
	v_addc_co_u32_e32 v12, vcc, 0, v6, vcc
	global_load_dword v38, v[9:10], off offset:2048
	global_load_dword v39, v[9:10], off offset:2560
	;; [unrolled: 1-line block ×5, first 2 shown]
	global_load_dword v43, v[7:8], off
	global_load_dword v44, v[7:8], off offset:512
	global_load_dword v45, v[7:8], off offset:1024
	;; [unrolled: 1-line block ×7, first 2 shown]
	s_movk_i32 s9, 0x5000
	s_mov_b32 s10, 0xc000
	v_mov_b32_e32 v1, 0
	s_waitcnt vmcnt(40)
	v_cmp_ne_u32_e32 vcc, 0, v13
	v_cndmask_b32_e64 v13, 0, 1, vcc
	s_waitcnt vmcnt(39)
	v_cmp_ne_u32_e32 vcc, 0, v14
	v_cndmask_b32_e64 v14, 0, 1, vcc
	;; [unrolled: 3-line block ×21, first 2 shown]
	v_add_co_u32_e32 v7, vcc, s9, v5
	v_addc_co_u32_e32 v8, vcc, 0, v6, vcc
	s_movk_i32 s9, 0x6000
	v_add_co_u32_e32 v9, vcc, s9, v5
	v_addc_co_u32_e32 v10, vcc, 0, v6, vcc
	global_load_dword v51, v[9:10], off offset:-4096
	global_load_dword v52, v[7:8], off offset:512
	global_load_dword v53, v[7:8], off offset:1024
	global_load_dword v54, v[7:8], off offset:1536
	global_load_dword v55, v[7:8], off offset:2048
	global_load_dword v56, v[7:8], off offset:2560
	global_load_dword v57, v[7:8], off offset:3072
	global_load_dword v58, v[7:8], off offset:3584
	s_waitcnt vmcnt(24)
	v_cmp_ne_u32_e32 vcc, 0, v34
	v_cndmask_b32_e64 v34, 0, 1, vcc
	s_waitcnt vmcnt(23)
	v_cmp_ne_u32_e32 vcc, 0, v35
	v_cndmask_b32_e64 v35, 0, 1, vcc
	;; [unrolled: 3-line block ×6, first 2 shown]
	s_waitcnt vmcnt(18)
	v_cmp_ne_u32_e32 vcc, 0, v40
	s_movk_i32 s9, 0x7000
	v_cndmask_b32_e64 v40, 0, 1, vcc
	v_add_co_u32_e32 v7, vcc, s9, v5
	v_addc_co_u32_e32 v8, vcc, 0, v6, vcc
	s_mov_b32 s9, 0x8000
	global_load_dword v59, v[9:10], off
	global_load_dword v60, v[9:10], off offset:512
	global_load_dword v61, v[9:10], off offset:1024
	;; [unrolled: 1-line block ×7, first 2 shown]
	v_add_co_u32_e32 v9, vcc, s9, v5
	v_addc_co_u32_e32 v10, vcc, 0, v6, vcc
	global_load_dword v67, v[9:10], off offset:-4096
	global_load_dword v68, v[7:8], off offset:512
	global_load_dword v69, v[7:8], off offset:1024
	;; [unrolled: 1-line block ×4, first 2 shown]
	s_waitcnt vmcnt(29)
	v_cmp_ne_u32_e32 vcc, 0, v42
	v_cndmask_b32_e64 v42, 0, 1, vcc
	s_waitcnt vmcnt(28)
	v_cmp_ne_u32_e32 vcc, 0, v43
	global_load_dword v72, v[7:8], off offset:2560
	global_load_dword v73, v[7:8], off offset:3072
	v_cndmask_b32_e64 v43, 0, 1, vcc
	s_waitcnt vmcnt(29)
	v_cmp_ne_u32_e32 vcc, 0, v44
	global_load_dword v74, v[7:8], off offset:3584
	global_load_dword v75, v[9:10], off
	global_load_dword v76, v[9:10], off offset:512
	global_load_dword v77, v[9:10], off offset:1024
	;; [unrolled: 1-line block ×3, first 2 shown]
	v_cndmask_b32_e64 v44, 0, 1, vcc
	s_waitcnt vmcnt(33)
	v_cmp_ne_u32_e32 vcc, 0, v45
	v_cndmask_b32_e64 v45, 0, 1, vcc
	s_waitcnt vmcnt(32)
	v_cmp_ne_u32_e32 vcc, 0, v46
	;; [unrolled: 3-line block ×6, first 2 shown]
	s_mov_b32 s9, 0xa000
	v_cndmask_b32_e64 v50, 0, 1, vcc
	v_add_co_u32_e32 v7, vcc, s9, v5
	global_load_dword v79, v[9:10], off offset:2048
	global_load_dword v80, v[9:10], off offset:2560
	;; [unrolled: 1-line block ×4, first 2 shown]
	v_addc_co_u32_e32 v8, vcc, 0, v6, vcc
	global_load_dword v83, v[7:8], off offset:-4096
	s_mov_b32 s9, 0x9000
	v_mov_b32_dpp v1, v1 quad_perm:[1,0,3,2] row_mask:0xf bank_mask:0xf bound_ctrl:1
	s_waitcnt vmcnt(32)
	v_cmp_ne_u32_e32 vcc, 0, v51
	v_cndmask_b32_e64 v51, 0, 1, vcc
	s_waitcnt vmcnt(31)
	v_cmp_ne_u32_e32 vcc, 0, v52
	v_cndmask_b32_e64 v52, 0, 1, vcc
	;; [unrolled: 3-line block ×7, first 2 shown]
	v_add_co_u32_e32 v9, vcc, s9, v5
	v_addc_co_u32_e32 v10, vcc, 0, v6, vcc
	global_load_dword v84, v[9:10], off offset:512
	global_load_dword v85, v[9:10], off offset:1024
	;; [unrolled: 1-line block ×7, first 2 shown]
	global_load_dword v91, v[7:8], off
	global_load_dword v92, v[7:8], off offset:512
	global_load_dword v93, v[7:8], off offset:1024
	;; [unrolled: 1-line block ×3, first 2 shown]
	s_waitcnt vmcnt(36)
	v_cmp_ne_u32_e32 vcc, 0, v58
	v_cndmask_b32_e64 v58, 0, 1, vcc
	s_waitcnt vmcnt(35)
	v_cmp_ne_u32_e32 vcc, 0, v59
	v_cndmask_b32_e64 v59, 0, 1, vcc
	;; [unrolled: 3-line block ×25, first 2 shown]
	s_waitcnt vmcnt(11)
	v_cmp_ne_u32_e32 vcc, 0, v83
	global_load_dword v95, v[7:8], off offset:2048
	global_load_dword v96, v[7:8], off offset:2560
	v_cndmask_b32_e64 v83, 0, 1, vcc
	v_add_co_u32_e32 v9, vcc, s10, v5
	s_mov_b32 s9, 0xb000
	v_addc_co_u32_e32 v10, vcc, 0, v6, vcc
	global_load_dword v97, v[7:8], off offset:3072
	global_load_dword v98, v[7:8], off offset:3584
	global_load_dword v99, v[9:10], off offset:-4096
	v_add_co_u32_e32 v7, vcc, s9, v5
	v_addc_co_u32_e32 v8, vcc, 0, v6, vcc
	global_load_dword v100, v[7:8], off offset:512
	global_load_dword v101, v[7:8], off offset:1024
	;; [unrolled: 1-line block ×7, first 2 shown]
	global_load_dword v107, v[9:10], off
	global_load_dword v108, v[9:10], off offset:512
	global_load_dword v109, v[9:10], off offset:1024
	;; [unrolled: 1-line block ×4, first 2 shown]
	s_mov_b32 s10, 0xe000
	s_mov_b32 s9, 0xd000
	s_waitcnt vmcnt(27)
	v_cmp_ne_u32_e32 vcc, 0, v84
	v_cndmask_b32_e64 v84, 0, 1, vcc
	s_waitcnt vmcnt(26)
	v_cmp_ne_u32_e32 vcc, 0, v85
	v_cndmask_b32_e64 v85, 0, 1, vcc
	;; [unrolled: 3-line block ×3, first 2 shown]
	v_add_co_u32_e32 v7, vcc, s10, v5
	v_addc_co_u32_e32 v8, vcc, 0, v6, vcc
	global_load_dword v112, v[9:10], off offset:2560
	global_load_dword v113, v[9:10], off offset:3072
	;; [unrolled: 1-line block ×3, first 2 shown]
	global_load_dword v115, v[7:8], off offset:-4096
	v_add_co_u32_e32 v5, vcc, s9, v5
	v_addc_co_u32_e32 v6, vcc, 0, v6, vcc
	global_load_dword v9, v[5:6], off offset:512
	global_load_dword v10, v[5:6], off offset:1024
	global_load_dword v116, v[5:6], off offset:1536
	global_load_dword v117, v[5:6], off offset:2048
	global_load_dword v118, v[5:6], off offset:2560
	global_load_dword v119, v[5:6], off offset:3072
	s_waitcnt vmcnt(34)
	v_cmp_ne_u32_e32 vcc, 0, v87
	v_cndmask_b32_e64 v87, 0, 1, vcc
	s_waitcnt vmcnt(33)
	v_cmp_ne_u32_e32 vcc, 0, v88
	global_load_dword v120, v[5:6], off offset:3584
	global_load_dword v121, v[7:8], off
	v_cndmask_b32_e64 v88, 0, 1, vcc
	s_waitcnt vmcnt(34)
	v_cmp_ne_u32_e32 vcc, 0, v89
	v_cndmask_b32_e64 v89, 0, 1, vcc
	s_waitcnt vmcnt(33)
	v_cmp_ne_u32_e32 vcc, 0, v90
	global_load_dword v6, v[7:8], off offset:512
	global_load_dword v90, v[7:8], off offset:1024
	;; [unrolled: 1-line block ×6, first 2 shown]
	v_cndmask_b32_e64 v5, 0, 1, vcc
	s_waitcnt vmcnt(38)
	v_cmp_ne_u32_e32 vcc, 0, v91
	v_cndmask_b32_e64 v91, 0, 1, vcc
	s_waitcnt vmcnt(37)
	v_cmp_ne_u32_e32 vcc, 0, v92
	global_load_dword v126, v[7:8], off offset:3584
	global_load_dword v127, v[11:12], off
	v_cndmask_b32_e64 v92, 0, 1, vcc
	s_waitcnt vmcnt(38)
	v_cmp_ne_u32_e32 vcc, 0, v93
	v_cndmask_b32_e64 v93, 0, 1, vcc
	s_waitcnt vmcnt(37)
	v_cmp_ne_u32_e32 vcc, 0, v94
	global_load_dword v8, v[11:12], off offset:512
	global_load_dword v94, v[11:12], off offset:1024
	;; [unrolled: 1-line block ×5, first 2 shown]
	s_nop 0
	global_load_dword v11, v[11:12], off offset:3072
	v_cndmask_b32_e64 v7, 0, 1, vcc
	s_waitcnt vmcnt(42)
	v_cmp_ne_u32_e32 vcc, 0, v95
	v_cndmask_b32_e64 v95, 0, 1, vcc
	s_waitcnt vmcnt(41)
	v_cmp_ne_u32_e32 vcc, 0, v96
	;; [unrolled: 3-line block ×43, first 2 shown]
	v_cndmask_b32_e64 v11, 0, 1, vcc
	v_cmp_ne_u32_e32 vcc, 0, v41
	v_cndmask_b32_e64 v41, 0, 1, vcc
	v_cmp_ne_u32_e32 vcc, 0, v4
	;; [unrolled: 2-line block ×4, first 2 shown]
	v_addc_co_u32_e32 v2, vcc, v4, v2, vcc
	v_add_co_u32_e32 v2, vcc, v2, v13
	v_addc_co_u32_e64 v3, s[10:11], 0, 0, vcc
	v_add_co_u32_e32 v2, vcc, v2, v14
	v_addc_co_u32_e32 v3, vcc, 0, v3, vcc
	v_add_co_u32_e32 v2, vcc, v2, v15
	v_addc_co_u32_e32 v3, vcc, 0, v3, vcc
	;; [unrolled: 2-line block ×124, first 2 shown]
	s_nop 0
	v_mov_b32_dpp v5, v2 quad_perm:[1,0,3,2] row_mask:0xf bank_mask:0xf bound_ctrl:1
	v_add_co_u32_e32 v2, vcc, v2, v5
	v_addc_co_u32_e32 v4, vcc, 0, v4, vcc
	v_add_co_u32_e32 v5, vcc, 0, v2
	v_addc_co_u32_e32 v1, vcc, v1, v4, vcc
	v_mov_b32_dpp v2, v2 quad_perm:[2,3,0,1] row_mask:0xf bank_mask:0xf bound_ctrl:1
	v_add_co_u32_e32 v2, vcc, v5, v2
	v_mov_b32_dpp v4, v1 quad_perm:[2,3,0,1] row_mask:0xf bank_mask:0xf bound_ctrl:1
	v_addc_co_u32_e32 v1, vcc, 0, v1, vcc
	v_add_co_u32_e32 v5, vcc, 0, v2
	v_addc_co_u32_e32 v1, vcc, v1, v4, vcc
	v_mov_b32_dpp v2, v2 row_ror:4 row_mask:0xf bank_mask:0xf bound_ctrl:1
	v_add_co_u32_e32 v2, vcc, v5, v2
	v_mov_b32_dpp v4, v1 row_ror:4 row_mask:0xf bank_mask:0xf bound_ctrl:1
	v_addc_co_u32_e32 v1, vcc, 0, v1, vcc
	v_add_co_u32_e32 v5, vcc, 0, v2
	v_addc_co_u32_e32 v1, vcc, v1, v4, vcc
	v_mov_b32_dpp v2, v2 row_ror:8 row_mask:0xf bank_mask:0xf bound_ctrl:1
	v_add_co_u32_e32 v2, vcc, v5, v2
	v_mov_b32_dpp v4, v1 row_ror:8 row_mask:0xf bank_mask:0xf bound_ctrl:1
	v_addc_co_u32_e32 v1, vcc, 0, v1, vcc
	v_add_co_u32_e32 v5, vcc, 0, v2
	v_addc_co_u32_e32 v1, vcc, v1, v4, vcc
	v_mov_b32_dpp v2, v2 row_bcast:15 row_mask:0xf bank_mask:0xf bound_ctrl:1
	v_add_co_u32_e32 v2, vcc, v5, v2
	v_mov_b32_dpp v4, v1 row_bcast:15 row_mask:0xf bank_mask:0xf bound_ctrl:1
	v_addc_co_u32_e32 v1, vcc, 0, v1, vcc
	v_add_co_u32_e32 v5, vcc, 0, v2
	v_addc_co_u32_e32 v1, vcc, v1, v4, vcc
	v_mov_b32_dpp v2, v2 row_bcast:31 row_mask:0xf bank_mask:0xf bound_ctrl:1
	v_mbcnt_lo_u32_b32 v3, -1, 0
	v_add_co_u32_e32 v2, vcc, v5, v2
	v_mbcnt_hi_u32_b32 v3, -1, v3
	v_addc_co_u32_e32 v4, vcc, 0, v1, vcc
	v_cmp_eq_u32_e32 vcc, 0, v3
	s_nop 0
	v_add_u32_dpp v5, v1, v4 row_bcast:31 row_mask:0xf bank_mask:0xf bound_ctrl:1
	v_lshlrev_b32_e32 v4, 2, v3
	v_or_b32_e32 v6, 0xfc, v4
	ds_bpermute_b32 v1, v6, v2
	ds_bpermute_b32 v2, v6, v5
	s_and_saveexec_b64 s[10:11], vcc
	s_cbranch_execz .LBB180_7
; %bb.6:
	v_lshrrev_b32_e32 v5, 3, v0
	v_and_b32_e32 v5, 8, v5
	s_waitcnt lgkmcnt(0)
	ds_write_b64 v5, v[1:2]
.LBB180_7:
	s_or_b64 exec, exec, s[10:11]
	v_cmp_gt_u32_e32 vcc, 64, v0
	s_waitcnt lgkmcnt(0)
	s_barrier
	s_and_saveexec_b64 s[10:11], vcc
	s_cbranch_execz .LBB180_9
; %bb.8:
	v_and_b32_e32 v1, 1, v3
	v_lshlrev_b32_e32 v1, 3, v1
	ds_read_b64 v[1:2], v1
	v_or_b32_e32 v3, 4, v4
	s_waitcnt lgkmcnt(0)
	ds_bpermute_b32 v4, v3, v1
	ds_bpermute_b32 v3, v3, v2
	s_waitcnt lgkmcnt(1)
	v_add_co_u32_e32 v1, vcc, v1, v4
	v_addc_co_u32_e32 v2, vcc, 0, v2, vcc
	v_add_co_u32_e32 v1, vcc, 0, v1
	s_waitcnt lgkmcnt(0)
	v_addc_co_u32_e32 v2, vcc, v2, v3, vcc
.LBB180_9:
	s_or_b64 exec, exec, s[10:11]
	s_mov_b64 s[10:11], 0
	s_branch .LBB180_22
.LBB180_10:
	s_mov_b64 s[2:3], 0
                                        ; implicit-def: $vgpr1_vgpr2
                                        ; implicit-def: $vgpr3_vgpr4
	s_cbranch_execnz .LBB180_592
	s_branch .LBB180_731
.LBB180_11:
	s_mov_b64 s[2:3], 0
                                        ; implicit-def: $vgpr1_vgpr2
                                        ; implicit-def: $vgpr3_vgpr4
	s_cbranch_execnz .LBB180_442
	s_branch .LBB180_591
.LBB180_12:
	s_mov_b64 s[0:1], -1
	s_mov_b64 s[2:3], 0
                                        ; implicit-def: $vgpr1_vgpr2
                                        ; implicit-def: $vgpr3_vgpr4
.LBB180_13:
	s_and_b64 vcc, exec, s[0:1]
	s_cbranch_vccz .LBB180_441
.LBB180_14:
	s_cmp_eq_u32 s26, 64
                                        ; implicit-def: $vgpr1_vgpr2
                                        ; implicit-def: $vgpr3_vgpr4
	s_cbranch_scc0 .LBB180_441
; %bb.15:
	s_mov_b32 s7, 0
	s_lshl_b32 s2, s6, 13
	s_mov_b32 s3, s7
	s_lshr_b64 s[8:9], s[20:21], 13
	s_lshl_b64 s[0:1], s[2:3], 2
	s_add_u32 s0, s18, s0
	s_addc_u32 s1, s19, s1
	s_cmp_lg_u64 s[8:9], s[6:7]
	s_cbranch_scc0 .LBB180_295
; %bb.16:
	v_lshlrev_b32_e32 v5, 2, v0
	v_mov_b32_e32 v1, s1
	v_add_co_u32_e32 v9, vcc, s0, v5
	v_addc_co_u32_e32 v10, vcc, 0, v1, vcc
	s_movk_i32 s8, 0x2000
	v_add_co_u32_e32 v1, vcc, s8, v9
	global_load_dword v11, v5, s[0:1] offset:1536
	global_load_dword v12, v5, s[0:1] offset:2048
	;; [unrolled: 1-line block ×5, first 2 shown]
	v_addc_co_u32_e32 v2, vcc, 0, v10, vcc
	global_load_dword v16, v[1:2], off offset:-4096
	s_movk_i32 s3, 0x1000
	v_add_co_u32_e32 v3, vcc, s3, v9
	v_addc_co_u32_e32 v4, vcc, 0, v10, vcc
	global_load_dword v17, v[3:4], off offset:512
	global_load_dword v18, v[3:4], off offset:1024
	global_load_dword v19, v5, s[0:1]
	global_load_dword v20, v5, s[0:1] offset:512
	global_load_dword v21, v5, s[0:1] offset:1024
	global_load_dword v23, v[3:4], off offset:1536
	global_load_dword v24, v[3:4], off offset:2048
	;; [unrolled: 1-line block ×5, first 2 shown]
	s_movk_i32 s3, 0x3000
	v_add_co_u32_e32 v5, vcc, s3, v9
	s_movk_i32 s8, 0x4000
	v_addc_co_u32_e32 v6, vcc, 0, v10, vcc
	v_add_co_u32_e32 v7, vcc, s8, v9
	s_movk_i32 s9, 0x7000
	v_addc_co_u32_e32 v8, vcc, 0, v10, vcc
	v_add_co_u32_e32 v3, vcc, s9, v9
	v_addc_co_u32_e32 v4, vcc, 0, v10, vcc
	global_load_dword v28, v[1:2], off
	global_load_dword v29, v[1:2], off offset:512
	global_load_dword v30, v[1:2], off offset:1024
	;; [unrolled: 1-line block ×14, first 2 shown]
                                        ; kill: killed $vgpr5 killed $vgpr6
                                        ; kill: killed $vgpr1 killed $vgpr2
	global_load_dword v43, v[7:8], off offset:-4096
	global_load_dword v44, v[7:8], off
	global_load_dword v45, v[3:4], off offset:1536
	global_load_dword v46, v[3:4], off offset:2048
	;; [unrolled: 1-line block ×9, first 2 shown]
	s_movk_i32 s8, 0x6000
	s_movk_i32 s3, 0x5000
	v_mov_b32_e32 v22, 0
	s_waitcnt vmcnt(41)
	v_cmp_ne_u32_e32 vcc, 0, v11
	v_cndmask_b32_e64 v11, 0, 1, vcc
	s_waitcnt vmcnt(40)
	v_cmp_ne_u32_e32 vcc, 0, v12
	v_cndmask_b32_e64 v12, 0, 1, vcc
	;; [unrolled: 3-line block ×7, first 2 shown]
	v_add_co_u32_e32 v1, vcc, s8, v9
	v_addc_co_u32_e32 v2, vcc, 0, v10, vcc
	global_load_dword v54, v[7:8], off offset:2560
	global_load_dword v55, v[7:8], off offset:3072
	;; [unrolled: 1-line block ×3, first 2 shown]
	global_load_dword v57, v[1:2], off offset:-4096
	v_add_co_u32_e32 v5, vcc, s3, v9
	v_addc_co_u32_e32 v6, vcc, 0, v10, vcc
	global_load_dword v7, v[5:6], off offset:512
	global_load_dword v8, v[5:6], off offset:1024
	s_waitcnt vmcnt(40)
	v_cmp_ne_u32_e32 vcc, 0, v18
	global_load_dword v10, v[5:6], off offset:1536
	global_load_dword v18, v[5:6], off offset:2048
	;; [unrolled: 1-line block ×4, first 2 shown]
	v_cndmask_b32_e64 v9, 0, 1, vcc
	s_waitcnt vmcnt(40)
	v_cmp_ne_u32_e32 vcc, 0, v23
	global_load_dword v60, v[5:6], off offset:3584
	global_load_dword v61, v[1:2], off
	v_cndmask_b32_e64 v23, 0, 1, vcc
	s_waitcnt vmcnt(41)
	v_cmp_ne_u32_e32 vcc, 0, v24
	v_cndmask_b32_e64 v24, 0, 1, vcc
	s_waitcnt vmcnt(40)
	v_cmp_ne_u32_e32 vcc, 0, v25
	global_load_dword v6, v[1:2], off offset:512
	global_load_dword v25, v[1:2], off offset:1024
	;; [unrolled: 1-line block ×6, first 2 shown]
	v_cndmask_b32_e64 v5, 0, 1, vcc
	s_waitcnt vmcnt(45)
	v_cmp_ne_u32_e32 vcc, 0, v26
	v_cndmask_b32_e64 v26, 0, 1, vcc
	s_waitcnt vmcnt(44)
	v_cmp_ne_u32_e32 vcc, 0, v27
	global_load_dword v66, v[1:2], off offset:3584
	global_load_dword v67, v[3:4], off
	v_cndmask_b32_e64 v27, 0, 1, vcc
	s_waitcnt vmcnt(45)
	v_cmp_ne_u32_e32 vcc, 0, v28
	v_cndmask_b32_e64 v28, 0, 1, vcc
	s_waitcnt vmcnt(44)
	v_cmp_ne_u32_e32 vcc, 0, v29
	global_load_dword v2, v[3:4], off offset:512
	global_load_dword v29, v[3:4], off offset:1024
	v_cndmask_b32_e64 v1, 0, 1, vcc
	s_waitcnt vmcnt(45)
	v_cmp_ne_u32_e32 vcc, 0, v30
	v_cndmask_b32_e64 v3, 0, 1, vcc
	s_waitcnt vmcnt(37)
	v_cmp_ne_u32_e32 vcc, 0, v38
	;; [unrolled: 3-line block ×7, first 2 shown]
	v_cndmask_b32_e64 v41, 0, 1, vcc
	v_cmp_ne_u32_e32 vcc, 0, v31
	v_cndmask_b32_e64 v31, 0, 1, vcc
	v_cmp_ne_u32_e32 vcc, 0, v32
	;; [unrolled: 2-line block ×7, first 2 shown]
	v_cndmask_b32_e64 v37, 0, 1, vcc
	s_waitcnt vmcnt(31)
	v_cmp_ne_u32_e32 vcc, 0, v44
	v_cndmask_b32_e64 v42, 0, 1, vcc
	s_waitcnt vmcnt(25)
	v_cmp_ne_u32_e32 vcc, 0, v50
	;; [unrolled: 3-line block ×27, first 2 shown]
	v_cndmask_b32_e64 v29, 0, 1, vcc
	v_cmp_ne_u32_e32 vcc, 0, v45
	v_cndmask_b32_e64 v45, 0, 1, vcc
	v_cmp_ne_u32_e32 vcc, 0, v46
	;; [unrolled: 2-line block ×8, first 2 shown]
	v_addc_co_u32_e32 v19, vcc, v20, v19, vcc
	v_add_co_u32_e32 v11, vcc, v19, v11
	v_addc_co_u32_e64 v19, s[8:9], 0, 0, vcc
	v_add_co_u32_e32 v11, vcc, v11, v12
	v_addc_co_u32_e32 v12, vcc, 0, v19, vcc
	v_add_co_u32_e32 v11, vcc, v11, v13
	v_addc_co_u32_e32 v12, vcc, 0, v12, vcc
	;; [unrolled: 2-line block ×60, first 2 shown]
	s_nop 0
	v_mov_b32_dpp v4, v1 quad_perm:[1,0,3,2] row_mask:0xf bank_mask:0xf bound_ctrl:1
	v_add_co_u32_e32 v1, vcc, v1, v4
	v_addc_co_u32_e32 v2, vcc, 0, v2, vcc
	v_mov_b32_dpp v5, v22 quad_perm:[1,0,3,2] row_mask:0xf bank_mask:0xf bound_ctrl:1
	v_add_co_u32_e32 v4, vcc, 0, v1
	v_addc_co_u32_e32 v2, vcc, v5, v2, vcc
	v_mov_b32_dpp v1, v1 quad_perm:[2,3,0,1] row_mask:0xf bank_mask:0xf bound_ctrl:1
	v_add_co_u32_e32 v1, vcc, v4, v1
	v_mov_b32_dpp v5, v2 quad_perm:[2,3,0,1] row_mask:0xf bank_mask:0xf bound_ctrl:1
	v_addc_co_u32_e32 v2, vcc, 0, v2, vcc
	v_add_co_u32_e32 v4, vcc, 0, v1
	v_addc_co_u32_e32 v2, vcc, v2, v5, vcc
	v_mov_b32_dpp v1, v1 row_ror:4 row_mask:0xf bank_mask:0xf bound_ctrl:1
	v_add_co_u32_e32 v1, vcc, v4, v1
	v_mov_b32_dpp v5, v2 row_ror:4 row_mask:0xf bank_mask:0xf bound_ctrl:1
	v_addc_co_u32_e32 v2, vcc, 0, v2, vcc
	v_add_co_u32_e32 v4, vcc, 0, v1
	v_addc_co_u32_e32 v2, vcc, v2, v5, vcc
	v_mov_b32_dpp v1, v1 row_ror:8 row_mask:0xf bank_mask:0xf bound_ctrl:1
	v_add_co_u32_e32 v1, vcc, v4, v1
	v_mov_b32_dpp v5, v2 row_ror:8 row_mask:0xf bank_mask:0xf bound_ctrl:1
	v_addc_co_u32_e32 v2, vcc, 0, v2, vcc
	v_add_co_u32_e32 v4, vcc, 0, v1
	v_addc_co_u32_e32 v2, vcc, v2, v5, vcc
	v_mov_b32_dpp v1, v1 row_bcast:15 row_mask:0xf bank_mask:0xf bound_ctrl:1
	v_add_co_u32_e32 v1, vcc, v4, v1
	v_mov_b32_dpp v5, v2 row_bcast:15 row_mask:0xf bank_mask:0xf bound_ctrl:1
	v_addc_co_u32_e32 v2, vcc, 0, v2, vcc
	v_add_co_u32_e32 v4, vcc, 0, v1
	v_addc_co_u32_e32 v2, vcc, v2, v5, vcc
	v_mov_b32_dpp v1, v1 row_bcast:31 row_mask:0xf bank_mask:0xf bound_ctrl:1
	v_mbcnt_lo_u32_b32 v3, -1, 0
	v_add_co_u32_e32 v1, vcc, v4, v1
	v_mbcnt_hi_u32_b32 v3, -1, v3
	v_addc_co_u32_e32 v4, vcc, 0, v2, vcc
	v_cmp_eq_u32_e32 vcc, 0, v3
	s_nop 0
	v_add_u32_dpp v2, v2, v4 row_bcast:31 row_mask:0xf bank_mask:0xf bound_ctrl:1
	v_lshlrev_b32_e32 v4, 2, v3
	v_or_b32_e32 v5, 0xfc, v4
	ds_bpermute_b32 v1, v5, v1
	ds_bpermute_b32 v2, v5, v2
	s_and_saveexec_b64 s[8:9], vcc
	s_cbranch_execz .LBB180_18
; %bb.17:
	v_lshrrev_b32_e32 v5, 3, v0
	v_and_b32_e32 v5, 8, v5
	s_waitcnt lgkmcnt(0)
	ds_write_b64 v5, v[1:2] offset:96
.LBB180_18:
	s_or_b64 exec, exec, s[8:9]
	v_cmp_gt_u32_e32 vcc, 64, v0
	s_waitcnt lgkmcnt(0)
	s_barrier
	s_and_saveexec_b64 s[8:9], vcc
	s_cbranch_execz .LBB180_20
; %bb.19:
	v_and_b32_e32 v1, 1, v3
	v_lshlrev_b32_e32 v1, 3, v1
	ds_read_b64 v[1:2], v1 offset:96
	v_or_b32_e32 v3, 4, v4
	s_waitcnt lgkmcnt(0)
	ds_bpermute_b32 v4, v3, v1
	ds_bpermute_b32 v3, v3, v2
	s_waitcnt lgkmcnt(1)
	v_add_co_u32_e32 v1, vcc, v1, v4
	v_addc_co_u32_e32 v2, vcc, 0, v2, vcc
	v_add_co_u32_e32 v1, vcc, 0, v1
	s_waitcnt lgkmcnt(0)
	v_addc_co_u32_e32 v2, vcc, v2, v3, vcc
.LBB180_20:
	s_or_b64 exec, exec, s[8:9]
	s_mov_b64 s[8:9], 0
	s_branch .LBB180_296
.LBB180_21:
	s_mov_b64 s[10:11], -1
                                        ; implicit-def: $vgpr1_vgpr2
.LBB180_22:
	s_and_b64 vcc, exec, s[10:11]
	s_cbranch_vccz .LBB180_294
; %bb.23:
	s_sub_i32 s10, s20, s8
	v_cmp_gt_u32_e32 vcc, s10, v0
                                        ; implicit-def: $vgpr1_vgpr2
                                        ; kill: killed $vgpr1_vgpr2
	s_and_saveexec_b64 s[8:9], vcc
	s_cbranch_execz .LBB180_25
; %bb.24:
	v_lshlrev_b32_e32 v1, 2, v0
	global_load_dword v1, v1, s[2:3]
	s_mov_b32 s11, 0
	v_mov_b32_e32 v2, s11
	s_waitcnt vmcnt(0)
	v_cmp_ne_u32_e32 vcc, 0, v1
	v_cndmask_b32_e64 v1, 0, 1, vcc
	buffer_store_dword v1, off, s[36:39], 0 offset:8 ; 4-byte Folded Spill
	s_nop 0
	buffer_store_dword v2, off, s[36:39], 0 offset:12 ; 4-byte Folded Spill
.LBB180_25:
	s_or_b64 exec, exec, s[8:9]
	v_or_b32_e32 v1, 0x80, v0
	v_mov_b32_e32 v2, 0
	v_mov_b32_e32 v5, 0
	;; [unrolled: 1-line block ×4, first 2 shown]
	v_cmp_gt_u32_e32 vcc, s10, v1
	s_and_saveexec_b64 s[8:9], vcc
	s_cbranch_execz .LBB180_27
; %bb.26:
	v_lshlrev_b32_e32 v1, 2, v0
	global_load_dword v1, v1, s[2:3] offset:512
	s_mov_b32 s11, 0
	v_mov_b32_e32 v6, s11
	s_waitcnt vmcnt(0)
	v_cmp_ne_u32_e32 vcc, 0, v1
	v_cndmask_b32_e64 v5, 0, 1, vcc
.LBB180_27:
	s_or_b64 exec, exec, s[8:9]
	v_or_b32_e32 v1, 0x100, v0
	v_cmp_gt_u32_e32 vcc, s10, v1
	s_and_saveexec_b64 s[8:9], vcc
	s_cbranch_execz .LBB180_29
; %bb.28:
	v_lshlrev_b32_e32 v1, 2, v0
	global_load_dword v1, v1, s[2:3] offset:1024
	s_mov_b32 s11, 0
	v_mov_b32_e32 v3, s11
	s_waitcnt vmcnt(0)
	v_cmp_ne_u32_e32 vcc, 0, v1
	v_cndmask_b32_e64 v2, 0, 1, vcc
.LBB180_29:
	s_or_b64 exec, exec, s[8:9]
	v_or_b32_e32 v1, 0x180, v0
	v_mov_b32_e32 v7, 0
	v_mov_b32_e32 v9, 0
	;; [unrolled: 1-line block ×4, first 2 shown]
	v_cmp_gt_u32_e32 vcc, s10, v1
	buffer_store_dword v7, off, s[36:39], 0 ; 4-byte Folded Spill
	s_nop 0
	buffer_store_dword v8, off, s[36:39], 0 offset:4 ; 4-byte Folded Spill
	s_and_saveexec_b64 s[8:9], vcc
	s_cbranch_execz .LBB180_31
; %bb.30:
	v_lshlrev_b32_e32 v1, 2, v0
	global_load_dword v1, v1, s[2:3] offset:1536
	s_mov_b32 s11, 0
	v_mov_b32_e32 v10, s11
	s_waitcnt vmcnt(0)
	v_cmp_ne_u32_e32 vcc, 0, v1
	v_cndmask_b32_e64 v9, 0, 1, vcc
.LBB180_31:
	s_or_b64 exec, exec, s[8:9]
	v_or_b32_e32 v1, 0x200, v0
	v_cmp_gt_u32_e32 vcc, s10, v1
	s_and_saveexec_b64 s[8:9], vcc
	s_cbranch_execz .LBB180_33
; %bb.32:
	v_lshlrev_b32_e32 v1, 2, v0
	global_load_dword v1, v1, s[2:3] offset:2048
	s_mov_b32 s11, 0
	v_mov_b32_e32 v8, s11
	s_waitcnt vmcnt(0)
	v_cmp_ne_u32_e32 vcc, 0, v1
	v_cndmask_b32_e64 v7, 0, 1, vcc
	buffer_store_dword v7, off, s[36:39], 0 ; 4-byte Folded Spill
	s_nop 0
	buffer_store_dword v8, off, s[36:39], 0 offset:4 ; 4-byte Folded Spill
.LBB180_33:
	s_or_b64 exec, exec, s[8:9]
	v_or_b32_e32 v1, 0x280, v0
	v_mov_b32_e32 v11, 0
	v_mov_b32_e32 v13, 0
	;; [unrolled: 1-line block ×4, first 2 shown]
	v_cmp_gt_u32_e32 vcc, s10, v1
	s_and_saveexec_b64 s[8:9], vcc
	s_cbranch_execz .LBB180_35
; %bb.34:
	v_lshlrev_b32_e32 v1, 2, v0
	global_load_dword v1, v1, s[2:3] offset:2560
	s_mov_b32 s11, 0
	v_mov_b32_e32 v14, s11
	s_waitcnt vmcnt(0)
	v_cmp_ne_u32_e32 vcc, 0, v1
	v_cndmask_b32_e64 v13, 0, 1, vcc
.LBB180_35:
	s_or_b64 exec, exec, s[8:9]
	v_or_b32_e32 v1, 0x300, v0
	v_cmp_gt_u32_e32 vcc, s10, v1
	s_and_saveexec_b64 s[8:9], vcc
	s_cbranch_execz .LBB180_37
; %bb.36:
	v_lshlrev_b32_e32 v1, 2, v0
	global_load_dword v1, v1, s[2:3] offset:3072
	s_mov_b32 s11, 0
	v_mov_b32_e32 v12, s11
	s_waitcnt vmcnt(0)
	v_cmp_ne_u32_e32 vcc, 0, v1
	v_cndmask_b32_e64 v11, 0, 1, vcc
.LBB180_37:
	s_or_b64 exec, exec, s[8:9]
	v_or_b32_e32 v1, 0x380, v0
	v_mov_b32_e32 v15, 0
	v_mov_b32_e32 v17, 0
	;; [unrolled: 1-line block ×4, first 2 shown]
	v_cmp_gt_u32_e32 vcc, s10, v1
	s_and_saveexec_b64 s[8:9], vcc
	s_cbranch_execz .LBB180_39
; %bb.38:
	v_lshlrev_b32_e32 v1, 2, v0
	global_load_dword v1, v1, s[2:3] offset:3584
	s_mov_b32 s11, 0
	v_mov_b32_e32 v18, s11
	s_waitcnt vmcnt(0)
	v_cmp_ne_u32_e32 vcc, 0, v1
	v_cndmask_b32_e64 v17, 0, 1, vcc
.LBB180_39:
	s_or_b64 exec, exec, s[8:9]
	v_or_b32_e32 v1, 0x400, v0
	v_cmp_gt_u32_e32 vcc, s10, v1
	s_and_saveexec_b64 s[8:9], vcc
	s_cbranch_execz .LBB180_41
; %bb.40:
	v_lshlrev_b32_e32 v1, 2, v1
	global_load_dword v1, v1, s[2:3]
	s_mov_b32 s11, 0
	v_mov_b32_e32 v16, s11
	s_waitcnt vmcnt(0)
	v_cmp_ne_u32_e32 vcc, 0, v1
	v_cndmask_b32_e64 v15, 0, 1, vcc
.LBB180_41:
	s_or_b64 exec, exec, s[8:9]
	v_or_b32_e32 v1, 0x480, v0
	v_mov_b32_e32 v19, 0
	v_mov_b32_e32 v21, 0
	v_mov_b32_e32 v20, 0
	v_mov_b32_e32 v22, 0
	v_cmp_gt_u32_e32 vcc, s10, v1
	s_and_saveexec_b64 s[8:9], vcc
	s_cbranch_execz .LBB180_43
; %bb.42:
	v_lshlrev_b32_e32 v1, 2, v1
	global_load_dword v1, v1, s[2:3]
	s_mov_b32 s11, 0
	v_mov_b32_e32 v22, s11
	s_waitcnt vmcnt(0)
	v_cmp_ne_u32_e32 vcc, 0, v1
	v_cndmask_b32_e64 v21, 0, 1, vcc
.LBB180_43:
	s_or_b64 exec, exec, s[8:9]
	v_or_b32_e32 v1, 0x500, v0
	v_cmp_gt_u32_e32 vcc, s10, v1
	s_and_saveexec_b64 s[8:9], vcc
	s_cbranch_execz .LBB180_45
; %bb.44:
	v_lshlrev_b32_e32 v1, 2, v1
	global_load_dword v1, v1, s[2:3]
	s_mov_b32 s11, 0
	v_mov_b32_e32 v20, s11
	s_waitcnt vmcnt(0)
	v_cmp_ne_u32_e32 vcc, 0, v1
	v_cndmask_b32_e64 v19, 0, 1, vcc
.LBB180_45:
	s_or_b64 exec, exec, s[8:9]
	v_or_b32_e32 v1, 0x580, v0
	v_mov_b32_e32 v23, 0
	v_mov_b32_e32 v25, 0
	v_mov_b32_e32 v24, 0
	v_mov_b32_e32 v26, 0
	v_cmp_gt_u32_e32 vcc, s10, v1
	s_and_saveexec_b64 s[8:9], vcc
	s_cbranch_execz .LBB180_47
; %bb.46:
	v_lshlrev_b32_e32 v1, 2, v1
	global_load_dword v1, v1, s[2:3]
	s_mov_b32 s11, 0
	v_mov_b32_e32 v26, s11
	s_waitcnt vmcnt(0)
	v_cmp_ne_u32_e32 vcc, 0, v1
	v_cndmask_b32_e64 v25, 0, 1, vcc
.LBB180_47:
	;; [unrolled: 32-line block ×59, first 2 shown]
	s_or_b64 exec, exec, s[8:9]
	v_or_b32_e32 v1, 0x3f00, v0
	v_cmp_gt_u32_e32 vcc, s10, v1
	s_and_saveexec_b64 s[8:9], vcc
	s_cbranch_execz .LBB180_277
; %bb.276:
	v_lshlrev_b32_e32 v1, 2, v1
	global_load_dword v1, v1, s[2:3]
	s_mov_b32 s11, 0
	v_mov_b32_e32 v252, s11
	s_waitcnt vmcnt(0)
	v_cmp_ne_u32_e32 vcc, 0, v1
	v_cndmask_b32_e64 v251, 0, 1, vcc
.LBB180_277:
	s_or_b64 exec, exec, s[8:9]
	v_mov_b32_e32 v8, v3
	v_mov_b32_e32 v7, v2
	v_or_b32_e32 v255, 0x3f80, v0
	v_mov_b32_e32 v1, 0
	v_mov_b32_e32 v2, 0
	v_cmp_gt_u32_e32 vcc, s10, v255
	s_and_saveexec_b64 s[8:9], vcc
	s_cbranch_execz .LBB180_279
; %bb.278:
	v_lshlrev_b32_e32 v1, 2, v255
	global_load_dword v1, v1, s[2:3]
	s_mov_b32 s2, 0
	v_mov_b32_e32 v2, s2
	s_waitcnt vmcnt(0)
	v_cmp_ne_u32_e32 vcc, 0, v1
	v_cndmask_b32_e64 v1, 0, 1, vcc
.LBB180_279:
	s_or_b64 exec, exec, s[8:9]
	buffer_load_dword v3, off, s[36:39], 0 offset:8 ; 4-byte Folded Reload
	buffer_load_dword v4, off, s[36:39], 0 offset:12 ; 4-byte Folded Reload
	s_min_u32 s8, s10, 0x80
	s_waitcnt vmcnt(1)
	v_add_co_u32_e32 v5, vcc, v5, v3
	s_waitcnt vmcnt(0)
	v_addc_co_u32_e32 v6, vcc, v6, v4, vcc
	v_add_co_u32_e32 v3, vcc, v5, v7
	v_addc_co_u32_e32 v4, vcc, v6, v8, vcc
	buffer_load_dword v5, off, s[36:39], 0  ; 4-byte Folded Reload
	buffer_load_dword v6, off, s[36:39], 0 offset:4 ; 4-byte Folded Reload
	v_add_co_u32_e32 v3, vcc, v3, v9
	v_addc_co_u32_e32 v4, vcc, v4, v10, vcc
	s_waitcnt vmcnt(1)
	v_add_co_u32_e32 v3, vcc, v3, v5
	s_waitcnt vmcnt(0)
	v_addc_co_u32_e32 v4, vcc, v4, v6, vcc
	v_add_co_u32_e32 v3, vcc, v3, v13
	v_addc_co_u32_e32 v4, vcc, v4, v14, vcc
	v_add_co_u32_e32 v3, vcc, v3, v11
	;; [unrolled: 2-line block ×123, first 2 shown]
	v_mbcnt_lo_u32_b32 v3, -1, 0
	v_mbcnt_hi_u32_b32 v3, -1, v3
	v_addc_co_u32_e32 v2, vcc, v4, v2, vcc
	v_and_b32_e32 v4, 63, v3
	v_cmp_ne_u32_e32 vcc, 63, v4
	v_addc_co_u32_e32 v6, vcc, 0, v3, vcc
	v_lshlrev_b32_e32 v6, 2, v6
	ds_bpermute_b32 v8, v6, v1
	ds_bpermute_b32 v7, v6, v2
	v_and_b32_e32 v5, 64, v0
	v_sub_u32_e64 v5, s8, v5 clamp
	v_add_u32_e32 v6, 1, v4
	v_cmp_lt_u32_e32 vcc, v6, v5
	v_mov_b32_e32 v6, v1
	s_and_saveexec_b64 s[2:3], vcc
	s_cbranch_execz .LBB180_281
; %bb.280:
	s_waitcnt lgkmcnt(1)
	v_add_co_u32_e32 v6, vcc, v1, v8
	v_addc_co_u32_e32 v2, vcc, 0, v2, vcc
	v_add_co_u32_e32 v1, vcc, 0, v6
	s_waitcnt lgkmcnt(0)
	v_addc_co_u32_e32 v2, vcc, v7, v2, vcc
.LBB180_281:
	s_or_b64 exec, exec, s[2:3]
	v_cmp_gt_u32_e32 vcc, 62, v4
	s_waitcnt lgkmcnt(0)
	v_cndmask_b32_e64 v7, 0, 2, vcc
	v_add_lshl_u32 v7, v7, v3, 2
	ds_bpermute_b32 v8, v7, v6
	ds_bpermute_b32 v7, v7, v2
	v_add_u32_e32 v9, 2, v4
	v_cmp_lt_u32_e32 vcc, v9, v5
	s_and_saveexec_b64 s[2:3], vcc
	s_cbranch_execz .LBB180_283
; %bb.282:
	s_waitcnt lgkmcnt(1)
	v_add_co_u32_e32 v6, vcc, v1, v8
	v_addc_co_u32_e32 v2, vcc, 0, v2, vcc
	v_add_co_u32_e32 v1, vcc, 0, v6
	s_waitcnt lgkmcnt(0)
	v_addc_co_u32_e32 v2, vcc, v7, v2, vcc
.LBB180_283:
	s_or_b64 exec, exec, s[2:3]
	v_cmp_gt_u32_e32 vcc, 60, v4
	s_waitcnt lgkmcnt(0)
	v_cndmask_b32_e64 v7, 0, 4, vcc
	v_add_lshl_u32 v7, v7, v3, 2
	ds_bpermute_b32 v8, v7, v6
	ds_bpermute_b32 v7, v7, v2
	v_add_u32_e32 v9, 4, v4
	v_cmp_lt_u32_e32 vcc, v9, v5
	;; [unrolled: 19-line block ×4, first 2 shown]
	s_and_saveexec_b64 s[2:3], vcc
	s_cbranch_execz .LBB180_289
; %bb.288:
	s_waitcnt lgkmcnt(1)
	v_add_co_u32_e32 v6, vcc, v1, v8
	v_addc_co_u32_e32 v2, vcc, 0, v2, vcc
	v_add_co_u32_e32 v1, vcc, 0, v6
	s_waitcnt lgkmcnt(0)
	v_addc_co_u32_e32 v2, vcc, v7, v2, vcc
.LBB180_289:
	s_or_b64 exec, exec, s[2:3]
	s_waitcnt lgkmcnt(0)
	v_lshlrev_b32_e32 v7, 2, v3
	v_or_b32_e32 v8, 0x80, v7
	ds_bpermute_b32 v6, v8, v6
	ds_bpermute_b32 v8, v8, v2
	v_add_u32_e32 v4, 32, v4
	s_waitcnt lgkmcnt(1)
	v_add_co_u32_e32 v6, vcc, v1, v6
	v_addc_co_u32_e32 v9, vcc, 0, v2, vcc
	v_add_co_u32_e32 v6, vcc, 0, v6
	s_waitcnt lgkmcnt(0)
	v_addc_co_u32_e32 v8, vcc, v9, v8, vcc
	v_cmp_lt_u32_e32 vcc, v4, v5
	v_cndmask_b32_e32 v2, v2, v8, vcc
	v_cndmask_b32_e32 v1, v1, v6, vcc
	v_cmp_eq_u32_e32 vcc, 0, v3
	s_and_saveexec_b64 s[2:3], vcc
; %bb.290:
	v_lshrrev_b32_e32 v4, 3, v0
	v_and_b32_e32 v4, 8, v4
	ds_write_b64 v4, v[1:2] offset:128
; %bb.291:
	s_or_b64 exec, exec, s[2:3]
	v_cmp_gt_u32_e32 vcc, 2, v0
	s_waitcnt lgkmcnt(0)
	s_barrier
	s_and_saveexec_b64 s[2:3], vcc
	s_cbranch_execz .LBB180_293
; %bb.292:
	v_lshlrev_b32_e32 v1, 3, v3
	ds_read_b64 v[1:2], v1 offset:128
	v_or_b32_e32 v4, 4, v7
	s_add_i32 s8, s8, 63
	v_and_b32_e32 v3, 1, v3
	s_lshr_b32 s8, s8, 6
	s_waitcnt lgkmcnt(0)
	ds_bpermute_b32 v5, v4, v2
	ds_bpermute_b32 v4, v4, v1
	v_add_u32_e32 v3, 1, v3
	v_cmp_gt_u32_e32 vcc, s8, v3
	s_waitcnt lgkmcnt(1)
	v_cndmask_b32_e32 v3, 0, v5, vcc
	s_waitcnt lgkmcnt(0)
	v_cndmask_b32_e32 v4, 0, v4, vcc
	v_add_co_u32_e32 v1, vcc, v4, v1
	v_addc_co_u32_e32 v2, vcc, v3, v2, vcc
.LBB180_293:
	s_or_b64 exec, exec, s[2:3]
.LBB180_294:
	v_mov_b32_e32 v3, s6
	v_cmp_eq_u32_e64 s[2:3], 0, v0
	v_mov_b32_e32 v4, s7
	s_and_b64 vcc, exec, s[0:1]
	s_cbranch_vccnz .LBB180_14
	s_branch .LBB180_441
.LBB180_295:
	s_mov_b64 s[8:9], -1
                                        ; implicit-def: $vgpr1_vgpr2
.LBB180_296:
	s_and_b64 vcc, exec, s[8:9]
	s_cbranch_vccz .LBB180_440
; %bb.297:
	s_sub_i32 s8, s20, s2
	v_cmp_gt_u32_e32 vcc, s8, v0
                                        ; implicit-def: $vgpr1_vgpr2
	s_and_saveexec_b64 s[2:3], vcc
	s_cbranch_execz .LBB180_299
; %bb.298:
	v_lshlrev_b32_e32 v1, 2, v0
	global_load_dword v1, v1, s[0:1]
	s_mov_b32 s9, 0
	v_mov_b32_e32 v2, s9
	s_waitcnt vmcnt(0)
	v_cmp_ne_u32_e32 vcc, 0, v1
	v_cndmask_b32_e64 v1, 0, 1, vcc
.LBB180_299:
	s_or_b64 exec, exec, s[2:3]
	v_or_b32_e32 v7, 0x80, v0
	v_mov_b32_e32 v3, 0
	v_mov_b32_e32 v5, 0
	v_mov_b32_e32 v4, 0
	v_mov_b32_e32 v6, 0
	v_cmp_gt_u32_e32 vcc, s8, v7
	s_and_saveexec_b64 s[2:3], vcc
	s_cbranch_execz .LBB180_301
; %bb.300:
	v_lshlrev_b32_e32 v5, 2, v0
	global_load_dword v5, v5, s[0:1] offset:512
	s_mov_b32 s9, 0
	v_mov_b32_e32 v6, s9
	s_waitcnt vmcnt(0)
	v_cmp_ne_u32_e32 vcc, 0, v5
	v_cndmask_b32_e64 v5, 0, 1, vcc
.LBB180_301:
	s_or_b64 exec, exec, s[2:3]
	v_or_b32_e32 v7, 0x100, v0
	v_cmp_gt_u32_e32 vcc, s8, v7
	s_and_saveexec_b64 s[2:3], vcc
	s_cbranch_execz .LBB180_303
; %bb.302:
	v_lshlrev_b32_e32 v3, 2, v0
	global_load_dword v3, v3, s[0:1] offset:1024
	s_mov_b32 s9, 0
	v_mov_b32_e32 v4, s9
	s_waitcnt vmcnt(0)
	v_cmp_ne_u32_e32 vcc, 0, v3
	v_cndmask_b32_e64 v3, 0, 1, vcc
.LBB180_303:
	s_or_b64 exec, exec, s[2:3]
	v_or_b32_e32 v11, 0x180, v0
	v_mov_b32_e32 v7, 0
	v_mov_b32_e32 v9, 0
	v_mov_b32_e32 v8, 0
	v_mov_b32_e32 v10, 0
	v_cmp_gt_u32_e32 vcc, s8, v11
	s_and_saveexec_b64 s[2:3], vcc
	s_cbranch_execz .LBB180_305
; %bb.304:
	v_lshlrev_b32_e32 v9, 2, v0
	global_load_dword v9, v9, s[0:1] offset:1536
	s_mov_b32 s9, 0
	v_mov_b32_e32 v10, s9
	s_waitcnt vmcnt(0)
	v_cmp_ne_u32_e32 vcc, 0, v9
	v_cndmask_b32_e64 v9, 0, 1, vcc
.LBB180_305:
	s_or_b64 exec, exec, s[2:3]
	v_or_b32_e32 v11, 0x200, v0
	v_cmp_gt_u32_e32 vcc, s8, v11
	s_and_saveexec_b64 s[2:3], vcc
	s_cbranch_execz .LBB180_307
; %bb.306:
	v_lshlrev_b32_e32 v7, 2, v0
	global_load_dword v7, v7, s[0:1] offset:2048
	s_mov_b32 s9, 0
	v_mov_b32_e32 v8, s9
	s_waitcnt vmcnt(0)
	v_cmp_ne_u32_e32 vcc, 0, v7
	v_cndmask_b32_e64 v7, 0, 1, vcc
.LBB180_307:
	;; [unrolled: 32-line block ×3, first 2 shown]
	s_or_b64 exec, exec, s[2:3]
	v_or_b32_e32 v19, 0x380, v0
	v_mov_b32_e32 v15, 0
	v_mov_b32_e32 v17, 0
	;; [unrolled: 1-line block ×4, first 2 shown]
	v_cmp_gt_u32_e32 vcc, s8, v19
	s_and_saveexec_b64 s[2:3], vcc
	s_cbranch_execz .LBB180_313
; %bb.312:
	v_lshlrev_b32_e32 v17, 2, v0
	global_load_dword v17, v17, s[0:1] offset:3584
	s_mov_b32 s9, 0
	v_mov_b32_e32 v18, s9
	s_waitcnt vmcnt(0)
	v_cmp_ne_u32_e32 vcc, 0, v17
	v_cndmask_b32_e64 v17, 0, 1, vcc
.LBB180_313:
	s_or_b64 exec, exec, s[2:3]
	v_or_b32_e32 v19, 0x400, v0
	v_cmp_gt_u32_e32 vcc, s8, v19
	s_and_saveexec_b64 s[2:3], vcc
	s_cbranch_execz .LBB180_315
; %bb.314:
	v_lshlrev_b32_e32 v15, 2, v19
	global_load_dword v15, v15, s[0:1]
	s_mov_b32 s9, 0
	v_mov_b32_e32 v16, s9
	s_waitcnt vmcnt(0)
	v_cmp_ne_u32_e32 vcc, 0, v15
	v_cndmask_b32_e64 v15, 0, 1, vcc
.LBB180_315:
	s_or_b64 exec, exec, s[2:3]
	v_or_b32_e32 v23, 0x480, v0
	v_mov_b32_e32 v19, 0
	v_mov_b32_e32 v21, 0
	v_mov_b32_e32 v20, 0
	v_mov_b32_e32 v22, 0
	v_cmp_gt_u32_e32 vcc, s8, v23
	s_and_saveexec_b64 s[2:3], vcc
	s_cbranch_execz .LBB180_317
; %bb.316:
	v_lshlrev_b32_e32 v21, 2, v23
	global_load_dword v21, v21, s[0:1]
	s_mov_b32 s9, 0
	v_mov_b32_e32 v22, s9
	s_waitcnt vmcnt(0)
	v_cmp_ne_u32_e32 vcc, 0, v21
	v_cndmask_b32_e64 v21, 0, 1, vcc
.LBB180_317:
	s_or_b64 exec, exec, s[2:3]
	v_or_b32_e32 v23, 0x500, v0
	v_cmp_gt_u32_e32 vcc, s8, v23
	s_and_saveexec_b64 s[2:3], vcc
	s_cbranch_execz .LBB180_319
; %bb.318:
	v_lshlrev_b32_e32 v19, 2, v23
	global_load_dword v19, v19, s[0:1]
	s_mov_b32 s9, 0
	v_mov_b32_e32 v20, s9
	s_waitcnt vmcnt(0)
	v_cmp_ne_u32_e32 vcc, 0, v19
	v_cndmask_b32_e64 v19, 0, 1, vcc
.LBB180_319:
	s_or_b64 exec, exec, s[2:3]
	v_or_b32_e32 v27, 0x580, v0
	v_mov_b32_e32 v23, 0
	v_mov_b32_e32 v25, 0
	v_mov_b32_e32 v24, 0
	v_mov_b32_e32 v26, 0
	v_cmp_gt_u32_e32 vcc, s8, v27
	s_and_saveexec_b64 s[2:3], vcc
	s_cbranch_execz .LBB180_321
; %bb.320:
	v_lshlrev_b32_e32 v25, 2, v27
	global_load_dword v25, v25, s[0:1]
	s_mov_b32 s9, 0
	v_mov_b32_e32 v26, s9
	s_waitcnt vmcnt(0)
	v_cmp_ne_u32_e32 vcc, 0, v25
	v_cndmask_b32_e64 v25, 0, 1, vcc
.LBB180_321:
	s_or_b64 exec, exec, s[2:3]
	v_or_b32_e32 v27, 0x600, v0
	v_cmp_gt_u32_e32 vcc, s8, v27
	s_and_saveexec_b64 s[2:3], vcc
	s_cbranch_execz .LBB180_323
; %bb.322:
	v_lshlrev_b32_e32 v23, 2, v27
	global_load_dword v23, v23, s[0:1]
	s_mov_b32 s9, 0
	v_mov_b32_e32 v24, s9
	s_waitcnt vmcnt(0)
	v_cmp_ne_u32_e32 vcc, 0, v23
	v_cndmask_b32_e64 v23, 0, 1, vcc
.LBB180_323:
	s_or_b64 exec, exec, s[2:3]
	v_or_b32_e32 v31, 0x680, v0
	v_mov_b32_e32 v27, 0
	v_mov_b32_e32 v29, 0
	v_mov_b32_e32 v28, 0
	v_mov_b32_e32 v30, 0
	v_cmp_gt_u32_e32 vcc, s8, v31
	s_and_saveexec_b64 s[2:3], vcc
	s_cbranch_execz .LBB180_325
; %bb.324:
	v_lshlrev_b32_e32 v29, 2, v31
	global_load_dword v29, v29, s[0:1]
	s_mov_b32 s9, 0
	v_mov_b32_e32 v30, s9
	s_waitcnt vmcnt(0)
	v_cmp_ne_u32_e32 vcc, 0, v29
	v_cndmask_b32_e64 v29, 0, 1, vcc
.LBB180_325:
	s_or_b64 exec, exec, s[2:3]
	v_or_b32_e32 v31, 0x700, v0
	v_cmp_gt_u32_e32 vcc, s8, v31
	s_and_saveexec_b64 s[2:3], vcc
	s_cbranch_execz .LBB180_327
; %bb.326:
	v_lshlrev_b32_e32 v27, 2, v31
	global_load_dword v27, v27, s[0:1]
	s_mov_b32 s9, 0
	v_mov_b32_e32 v28, s9
	s_waitcnt vmcnt(0)
	v_cmp_ne_u32_e32 vcc, 0, v27
	v_cndmask_b32_e64 v27, 0, 1, vcc
.LBB180_327:
	s_or_b64 exec, exec, s[2:3]
	v_or_b32_e32 v35, 0x780, v0
	v_mov_b32_e32 v31, 0
	v_mov_b32_e32 v33, 0
	v_mov_b32_e32 v32, 0
	v_mov_b32_e32 v34, 0
	v_cmp_gt_u32_e32 vcc, s8, v35
	s_and_saveexec_b64 s[2:3], vcc
	s_cbranch_execz .LBB180_329
; %bb.328:
	v_lshlrev_b32_e32 v33, 2, v35
	global_load_dword v33, v33, s[0:1]
	s_mov_b32 s9, 0
	v_mov_b32_e32 v34, s9
	s_waitcnt vmcnt(0)
	v_cmp_ne_u32_e32 vcc, 0, v33
	v_cndmask_b32_e64 v33, 0, 1, vcc
.LBB180_329:
	s_or_b64 exec, exec, s[2:3]
	v_or_b32_e32 v35, 0x800, v0
	v_cmp_gt_u32_e32 vcc, s8, v35
	s_and_saveexec_b64 s[2:3], vcc
	s_cbranch_execz .LBB180_331
; %bb.330:
	v_lshlrev_b32_e32 v31, 2, v35
	global_load_dword v31, v31, s[0:1]
	s_mov_b32 s9, 0
	v_mov_b32_e32 v32, s9
	s_waitcnt vmcnt(0)
	v_cmp_ne_u32_e32 vcc, 0, v31
	v_cndmask_b32_e64 v31, 0, 1, vcc
.LBB180_331:
	s_or_b64 exec, exec, s[2:3]
	v_or_b32_e32 v39, 0x880, v0
	v_mov_b32_e32 v35, 0
	v_mov_b32_e32 v37, 0
	v_mov_b32_e32 v36, 0
	v_mov_b32_e32 v38, 0
	v_cmp_gt_u32_e32 vcc, s8, v39
	s_and_saveexec_b64 s[2:3], vcc
	s_cbranch_execz .LBB180_333
; %bb.332:
	v_lshlrev_b32_e32 v37, 2, v39
	global_load_dword v37, v37, s[0:1]
	s_mov_b32 s9, 0
	v_mov_b32_e32 v38, s9
	s_waitcnt vmcnt(0)
	v_cmp_ne_u32_e32 vcc, 0, v37
	v_cndmask_b32_e64 v37, 0, 1, vcc
.LBB180_333:
	s_or_b64 exec, exec, s[2:3]
	v_or_b32_e32 v39, 0x900, v0
	v_cmp_gt_u32_e32 vcc, s8, v39
	s_and_saveexec_b64 s[2:3], vcc
	s_cbranch_execz .LBB180_335
; %bb.334:
	v_lshlrev_b32_e32 v35, 2, v39
	global_load_dword v35, v35, s[0:1]
	s_mov_b32 s9, 0
	v_mov_b32_e32 v36, s9
	s_waitcnt vmcnt(0)
	v_cmp_ne_u32_e32 vcc, 0, v35
	v_cndmask_b32_e64 v35, 0, 1, vcc
.LBB180_335:
	s_or_b64 exec, exec, s[2:3]
	v_or_b32_e32 v43, 0x980, v0
	v_mov_b32_e32 v39, 0
	v_mov_b32_e32 v41, 0
	v_mov_b32_e32 v40, 0
	v_mov_b32_e32 v42, 0
	v_cmp_gt_u32_e32 vcc, s8, v43
	s_and_saveexec_b64 s[2:3], vcc
	s_cbranch_execz .LBB180_337
; %bb.336:
	v_lshlrev_b32_e32 v41, 2, v43
	global_load_dword v41, v41, s[0:1]
	s_mov_b32 s9, 0
	v_mov_b32_e32 v42, s9
	s_waitcnt vmcnt(0)
	v_cmp_ne_u32_e32 vcc, 0, v41
	v_cndmask_b32_e64 v41, 0, 1, vcc
.LBB180_337:
	s_or_b64 exec, exec, s[2:3]
	v_or_b32_e32 v43, 0xa00, v0
	v_cmp_gt_u32_e32 vcc, s8, v43
	s_and_saveexec_b64 s[2:3], vcc
	s_cbranch_execz .LBB180_339
; %bb.338:
	v_lshlrev_b32_e32 v39, 2, v43
	global_load_dword v39, v39, s[0:1]
	s_mov_b32 s9, 0
	v_mov_b32_e32 v40, s9
	s_waitcnt vmcnt(0)
	v_cmp_ne_u32_e32 vcc, 0, v39
	v_cndmask_b32_e64 v39, 0, 1, vcc
.LBB180_339:
	s_or_b64 exec, exec, s[2:3]
	v_or_b32_e32 v47, 0xa80, v0
	v_mov_b32_e32 v43, 0
	v_mov_b32_e32 v45, 0
	v_mov_b32_e32 v44, 0
	v_mov_b32_e32 v46, 0
	v_cmp_gt_u32_e32 vcc, s8, v47
	s_and_saveexec_b64 s[2:3], vcc
	s_cbranch_execz .LBB180_341
; %bb.340:
	v_lshlrev_b32_e32 v45, 2, v47
	global_load_dword v45, v45, s[0:1]
	s_mov_b32 s9, 0
	v_mov_b32_e32 v46, s9
	s_waitcnt vmcnt(0)
	v_cmp_ne_u32_e32 vcc, 0, v45
	v_cndmask_b32_e64 v45, 0, 1, vcc
.LBB180_341:
	s_or_b64 exec, exec, s[2:3]
	v_or_b32_e32 v47, 0xb00, v0
	v_cmp_gt_u32_e32 vcc, s8, v47
	s_and_saveexec_b64 s[2:3], vcc
	s_cbranch_execz .LBB180_343
; %bb.342:
	v_lshlrev_b32_e32 v43, 2, v47
	global_load_dword v43, v43, s[0:1]
	s_mov_b32 s9, 0
	v_mov_b32_e32 v44, s9
	s_waitcnt vmcnt(0)
	v_cmp_ne_u32_e32 vcc, 0, v43
	v_cndmask_b32_e64 v43, 0, 1, vcc
.LBB180_343:
	s_or_b64 exec, exec, s[2:3]
	v_or_b32_e32 v51, 0xb80, v0
	v_mov_b32_e32 v47, 0
	v_mov_b32_e32 v49, 0
	v_mov_b32_e32 v48, 0
	v_mov_b32_e32 v50, 0
	v_cmp_gt_u32_e32 vcc, s8, v51
	s_and_saveexec_b64 s[2:3], vcc
	s_cbranch_execz .LBB180_345
; %bb.344:
	v_lshlrev_b32_e32 v49, 2, v51
	global_load_dword v49, v49, s[0:1]
	s_mov_b32 s9, 0
	v_mov_b32_e32 v50, s9
	s_waitcnt vmcnt(0)
	v_cmp_ne_u32_e32 vcc, 0, v49
	v_cndmask_b32_e64 v49, 0, 1, vcc
.LBB180_345:
	s_or_b64 exec, exec, s[2:3]
	v_or_b32_e32 v51, 0xc00, v0
	v_cmp_gt_u32_e32 vcc, s8, v51
	s_and_saveexec_b64 s[2:3], vcc
	s_cbranch_execz .LBB180_347
; %bb.346:
	v_lshlrev_b32_e32 v47, 2, v51
	global_load_dword v47, v47, s[0:1]
	s_mov_b32 s9, 0
	v_mov_b32_e32 v48, s9
	s_waitcnt vmcnt(0)
	v_cmp_ne_u32_e32 vcc, 0, v47
	v_cndmask_b32_e64 v47, 0, 1, vcc
.LBB180_347:
	s_or_b64 exec, exec, s[2:3]
	v_or_b32_e32 v55, 0xc80, v0
	v_mov_b32_e32 v51, 0
	v_mov_b32_e32 v53, 0
	v_mov_b32_e32 v52, 0
	v_mov_b32_e32 v54, 0
	v_cmp_gt_u32_e32 vcc, s8, v55
	s_and_saveexec_b64 s[2:3], vcc
	s_cbranch_execz .LBB180_349
; %bb.348:
	v_lshlrev_b32_e32 v53, 2, v55
	global_load_dword v53, v53, s[0:1]
	s_mov_b32 s9, 0
	v_mov_b32_e32 v54, s9
	s_waitcnt vmcnt(0)
	v_cmp_ne_u32_e32 vcc, 0, v53
	v_cndmask_b32_e64 v53, 0, 1, vcc
.LBB180_349:
	s_or_b64 exec, exec, s[2:3]
	v_or_b32_e32 v55, 0xd00, v0
	v_cmp_gt_u32_e32 vcc, s8, v55
	s_and_saveexec_b64 s[2:3], vcc
	s_cbranch_execz .LBB180_351
; %bb.350:
	v_lshlrev_b32_e32 v51, 2, v55
	global_load_dword v51, v51, s[0:1]
	s_mov_b32 s9, 0
	v_mov_b32_e32 v52, s9
	s_waitcnt vmcnt(0)
	v_cmp_ne_u32_e32 vcc, 0, v51
	v_cndmask_b32_e64 v51, 0, 1, vcc
.LBB180_351:
	s_or_b64 exec, exec, s[2:3]
	v_or_b32_e32 v59, 0xd80, v0
	v_mov_b32_e32 v55, 0
	v_mov_b32_e32 v57, 0
	v_mov_b32_e32 v56, 0
	v_mov_b32_e32 v58, 0
	v_cmp_gt_u32_e32 vcc, s8, v59
	s_and_saveexec_b64 s[2:3], vcc
	s_cbranch_execz .LBB180_353
; %bb.352:
	v_lshlrev_b32_e32 v57, 2, v59
	global_load_dword v57, v57, s[0:1]
	s_mov_b32 s9, 0
	v_mov_b32_e32 v58, s9
	s_waitcnt vmcnt(0)
	v_cmp_ne_u32_e32 vcc, 0, v57
	v_cndmask_b32_e64 v57, 0, 1, vcc
.LBB180_353:
	s_or_b64 exec, exec, s[2:3]
	v_or_b32_e32 v59, 0xe00, v0
	v_cmp_gt_u32_e32 vcc, s8, v59
	s_and_saveexec_b64 s[2:3], vcc
	s_cbranch_execz .LBB180_355
; %bb.354:
	v_lshlrev_b32_e32 v55, 2, v59
	global_load_dword v55, v55, s[0:1]
	s_mov_b32 s9, 0
	v_mov_b32_e32 v56, s9
	s_waitcnt vmcnt(0)
	v_cmp_ne_u32_e32 vcc, 0, v55
	v_cndmask_b32_e64 v55, 0, 1, vcc
.LBB180_355:
	s_or_b64 exec, exec, s[2:3]
	v_or_b32_e32 v63, 0xe80, v0
	v_mov_b32_e32 v59, 0
	v_mov_b32_e32 v61, 0
	v_mov_b32_e32 v60, 0
	v_mov_b32_e32 v62, 0
	v_cmp_gt_u32_e32 vcc, s8, v63
	s_and_saveexec_b64 s[2:3], vcc
	s_cbranch_execz .LBB180_357
; %bb.356:
	v_lshlrev_b32_e32 v61, 2, v63
	global_load_dword v61, v61, s[0:1]
	s_mov_b32 s9, 0
	v_mov_b32_e32 v62, s9
	s_waitcnt vmcnt(0)
	v_cmp_ne_u32_e32 vcc, 0, v61
	v_cndmask_b32_e64 v61, 0, 1, vcc
.LBB180_357:
	s_or_b64 exec, exec, s[2:3]
	v_or_b32_e32 v63, 0xf00, v0
	v_cmp_gt_u32_e32 vcc, s8, v63
	s_and_saveexec_b64 s[2:3], vcc
	s_cbranch_execz .LBB180_359
; %bb.358:
	v_lshlrev_b32_e32 v59, 2, v63
	global_load_dword v59, v59, s[0:1]
	s_mov_b32 s9, 0
	v_mov_b32_e32 v60, s9
	s_waitcnt vmcnt(0)
	v_cmp_ne_u32_e32 vcc, 0, v59
	v_cndmask_b32_e64 v59, 0, 1, vcc
.LBB180_359:
	s_or_b64 exec, exec, s[2:3]
	v_or_b32_e32 v67, 0xf80, v0
	v_mov_b32_e32 v63, 0
	v_mov_b32_e32 v65, 0
	v_mov_b32_e32 v64, 0
	v_mov_b32_e32 v66, 0
	v_cmp_gt_u32_e32 vcc, s8, v67
	s_and_saveexec_b64 s[2:3], vcc
	s_cbranch_execz .LBB180_361
; %bb.360:
	v_lshlrev_b32_e32 v65, 2, v67
	global_load_dword v65, v65, s[0:1]
	s_mov_b32 s9, 0
	v_mov_b32_e32 v66, s9
	s_waitcnt vmcnt(0)
	v_cmp_ne_u32_e32 vcc, 0, v65
	v_cndmask_b32_e64 v65, 0, 1, vcc
.LBB180_361:
	s_or_b64 exec, exec, s[2:3]
	v_or_b32_e32 v67, 0x1000, v0
	v_cmp_gt_u32_e32 vcc, s8, v67
	s_and_saveexec_b64 s[2:3], vcc
	s_cbranch_execz .LBB180_363
; %bb.362:
	v_lshlrev_b32_e32 v63, 2, v67
	global_load_dword v63, v63, s[0:1]
	s_mov_b32 s9, 0
	v_mov_b32_e32 v64, s9
	s_waitcnt vmcnt(0)
	v_cmp_ne_u32_e32 vcc, 0, v63
	v_cndmask_b32_e64 v63, 0, 1, vcc
.LBB180_363:
	s_or_b64 exec, exec, s[2:3]
	v_or_b32_e32 v71, 0x1080, v0
	v_mov_b32_e32 v67, 0
	v_mov_b32_e32 v69, 0
	v_mov_b32_e32 v68, 0
	v_mov_b32_e32 v70, 0
	v_cmp_gt_u32_e32 vcc, s8, v71
	s_and_saveexec_b64 s[2:3], vcc
	s_cbranch_execz .LBB180_365
; %bb.364:
	v_lshlrev_b32_e32 v69, 2, v71
	global_load_dword v69, v69, s[0:1]
	s_mov_b32 s9, 0
	v_mov_b32_e32 v70, s9
	s_waitcnt vmcnt(0)
	v_cmp_ne_u32_e32 vcc, 0, v69
	v_cndmask_b32_e64 v69, 0, 1, vcc
.LBB180_365:
	s_or_b64 exec, exec, s[2:3]
	v_or_b32_e32 v71, 0x1100, v0
	v_cmp_gt_u32_e32 vcc, s8, v71
	s_and_saveexec_b64 s[2:3], vcc
	s_cbranch_execz .LBB180_367
; %bb.366:
	v_lshlrev_b32_e32 v67, 2, v71
	global_load_dword v67, v67, s[0:1]
	s_mov_b32 s9, 0
	v_mov_b32_e32 v68, s9
	s_waitcnt vmcnt(0)
	v_cmp_ne_u32_e32 vcc, 0, v67
	v_cndmask_b32_e64 v67, 0, 1, vcc
.LBB180_367:
	s_or_b64 exec, exec, s[2:3]
	v_or_b32_e32 v75, 0x1180, v0
	v_mov_b32_e32 v71, 0
	v_mov_b32_e32 v73, 0
	v_mov_b32_e32 v72, 0
	v_mov_b32_e32 v74, 0
	v_cmp_gt_u32_e32 vcc, s8, v75
	s_and_saveexec_b64 s[2:3], vcc
	s_cbranch_execz .LBB180_369
; %bb.368:
	v_lshlrev_b32_e32 v73, 2, v75
	global_load_dword v73, v73, s[0:1]
	s_mov_b32 s9, 0
	v_mov_b32_e32 v74, s9
	s_waitcnt vmcnt(0)
	v_cmp_ne_u32_e32 vcc, 0, v73
	v_cndmask_b32_e64 v73, 0, 1, vcc
.LBB180_369:
	s_or_b64 exec, exec, s[2:3]
	v_or_b32_e32 v75, 0x1200, v0
	v_cmp_gt_u32_e32 vcc, s8, v75
	s_and_saveexec_b64 s[2:3], vcc
	s_cbranch_execz .LBB180_371
; %bb.370:
	v_lshlrev_b32_e32 v71, 2, v75
	global_load_dword v71, v71, s[0:1]
	s_mov_b32 s9, 0
	v_mov_b32_e32 v72, s9
	s_waitcnt vmcnt(0)
	v_cmp_ne_u32_e32 vcc, 0, v71
	v_cndmask_b32_e64 v71, 0, 1, vcc
.LBB180_371:
	s_or_b64 exec, exec, s[2:3]
	v_or_b32_e32 v79, 0x1280, v0
	v_mov_b32_e32 v75, 0
	v_mov_b32_e32 v77, 0
	v_mov_b32_e32 v76, 0
	v_mov_b32_e32 v78, 0
	v_cmp_gt_u32_e32 vcc, s8, v79
	s_and_saveexec_b64 s[2:3], vcc
	s_cbranch_execz .LBB180_373
; %bb.372:
	v_lshlrev_b32_e32 v77, 2, v79
	global_load_dword v77, v77, s[0:1]
	s_mov_b32 s9, 0
	v_mov_b32_e32 v78, s9
	s_waitcnt vmcnt(0)
	v_cmp_ne_u32_e32 vcc, 0, v77
	v_cndmask_b32_e64 v77, 0, 1, vcc
.LBB180_373:
	s_or_b64 exec, exec, s[2:3]
	v_or_b32_e32 v79, 0x1300, v0
	v_cmp_gt_u32_e32 vcc, s8, v79
	s_and_saveexec_b64 s[2:3], vcc
	s_cbranch_execz .LBB180_375
; %bb.374:
	v_lshlrev_b32_e32 v75, 2, v79
	global_load_dword v75, v75, s[0:1]
	s_mov_b32 s9, 0
	v_mov_b32_e32 v76, s9
	s_waitcnt vmcnt(0)
	v_cmp_ne_u32_e32 vcc, 0, v75
	v_cndmask_b32_e64 v75, 0, 1, vcc
.LBB180_375:
	s_or_b64 exec, exec, s[2:3]
	v_or_b32_e32 v83, 0x1380, v0
	v_mov_b32_e32 v79, 0
	v_mov_b32_e32 v81, 0
	v_mov_b32_e32 v80, 0
	v_mov_b32_e32 v82, 0
	v_cmp_gt_u32_e32 vcc, s8, v83
	s_and_saveexec_b64 s[2:3], vcc
	s_cbranch_execz .LBB180_377
; %bb.376:
	v_lshlrev_b32_e32 v81, 2, v83
	global_load_dword v81, v81, s[0:1]
	s_mov_b32 s9, 0
	v_mov_b32_e32 v82, s9
	s_waitcnt vmcnt(0)
	v_cmp_ne_u32_e32 vcc, 0, v81
	v_cndmask_b32_e64 v81, 0, 1, vcc
.LBB180_377:
	s_or_b64 exec, exec, s[2:3]
	v_or_b32_e32 v83, 0x1400, v0
	v_cmp_gt_u32_e32 vcc, s8, v83
	s_and_saveexec_b64 s[2:3], vcc
	s_cbranch_execz .LBB180_379
; %bb.378:
	v_lshlrev_b32_e32 v79, 2, v83
	global_load_dword v79, v79, s[0:1]
	s_mov_b32 s9, 0
	v_mov_b32_e32 v80, s9
	s_waitcnt vmcnt(0)
	v_cmp_ne_u32_e32 vcc, 0, v79
	v_cndmask_b32_e64 v79, 0, 1, vcc
.LBB180_379:
	s_or_b64 exec, exec, s[2:3]
	v_or_b32_e32 v87, 0x1480, v0
	v_mov_b32_e32 v83, 0
	v_mov_b32_e32 v85, 0
	v_mov_b32_e32 v84, 0
	v_mov_b32_e32 v86, 0
	v_cmp_gt_u32_e32 vcc, s8, v87
	s_and_saveexec_b64 s[2:3], vcc
	s_cbranch_execz .LBB180_381
; %bb.380:
	v_lshlrev_b32_e32 v85, 2, v87
	global_load_dword v85, v85, s[0:1]
	s_mov_b32 s9, 0
	v_mov_b32_e32 v86, s9
	s_waitcnt vmcnt(0)
	v_cmp_ne_u32_e32 vcc, 0, v85
	v_cndmask_b32_e64 v85, 0, 1, vcc
.LBB180_381:
	s_or_b64 exec, exec, s[2:3]
	v_or_b32_e32 v87, 0x1500, v0
	v_cmp_gt_u32_e32 vcc, s8, v87
	s_and_saveexec_b64 s[2:3], vcc
	s_cbranch_execz .LBB180_383
; %bb.382:
	v_lshlrev_b32_e32 v83, 2, v87
	global_load_dword v83, v83, s[0:1]
	s_mov_b32 s9, 0
	v_mov_b32_e32 v84, s9
	s_waitcnt vmcnt(0)
	v_cmp_ne_u32_e32 vcc, 0, v83
	v_cndmask_b32_e64 v83, 0, 1, vcc
.LBB180_383:
	s_or_b64 exec, exec, s[2:3]
	v_or_b32_e32 v91, 0x1580, v0
	v_mov_b32_e32 v87, 0
	v_mov_b32_e32 v89, 0
	v_mov_b32_e32 v88, 0
	v_mov_b32_e32 v90, 0
	v_cmp_gt_u32_e32 vcc, s8, v91
	s_and_saveexec_b64 s[2:3], vcc
	s_cbranch_execz .LBB180_385
; %bb.384:
	v_lshlrev_b32_e32 v89, 2, v91
	global_load_dword v89, v89, s[0:1]
	s_mov_b32 s9, 0
	v_mov_b32_e32 v90, s9
	s_waitcnt vmcnt(0)
	v_cmp_ne_u32_e32 vcc, 0, v89
	v_cndmask_b32_e64 v89, 0, 1, vcc
.LBB180_385:
	s_or_b64 exec, exec, s[2:3]
	v_or_b32_e32 v91, 0x1600, v0
	v_cmp_gt_u32_e32 vcc, s8, v91
	s_and_saveexec_b64 s[2:3], vcc
	s_cbranch_execz .LBB180_387
; %bb.386:
	v_lshlrev_b32_e32 v87, 2, v91
	global_load_dword v87, v87, s[0:1]
	s_mov_b32 s9, 0
	v_mov_b32_e32 v88, s9
	s_waitcnt vmcnt(0)
	v_cmp_ne_u32_e32 vcc, 0, v87
	v_cndmask_b32_e64 v87, 0, 1, vcc
.LBB180_387:
	s_or_b64 exec, exec, s[2:3]
	v_or_b32_e32 v95, 0x1680, v0
	v_mov_b32_e32 v91, 0
	v_mov_b32_e32 v93, 0
	v_mov_b32_e32 v92, 0
	v_mov_b32_e32 v94, 0
	v_cmp_gt_u32_e32 vcc, s8, v95
	s_and_saveexec_b64 s[2:3], vcc
	s_cbranch_execz .LBB180_389
; %bb.388:
	v_lshlrev_b32_e32 v93, 2, v95
	global_load_dword v93, v93, s[0:1]
	s_mov_b32 s9, 0
	v_mov_b32_e32 v94, s9
	s_waitcnt vmcnt(0)
	v_cmp_ne_u32_e32 vcc, 0, v93
	v_cndmask_b32_e64 v93, 0, 1, vcc
.LBB180_389:
	s_or_b64 exec, exec, s[2:3]
	v_or_b32_e32 v95, 0x1700, v0
	v_cmp_gt_u32_e32 vcc, s8, v95
	s_and_saveexec_b64 s[2:3], vcc
	s_cbranch_execz .LBB180_391
; %bb.390:
	v_lshlrev_b32_e32 v91, 2, v95
	global_load_dword v91, v91, s[0:1]
	s_mov_b32 s9, 0
	v_mov_b32_e32 v92, s9
	s_waitcnt vmcnt(0)
	v_cmp_ne_u32_e32 vcc, 0, v91
	v_cndmask_b32_e64 v91, 0, 1, vcc
.LBB180_391:
	s_or_b64 exec, exec, s[2:3]
	v_or_b32_e32 v99, 0x1780, v0
	v_mov_b32_e32 v95, 0
	v_mov_b32_e32 v97, 0
	v_mov_b32_e32 v96, 0
	v_mov_b32_e32 v98, 0
	v_cmp_gt_u32_e32 vcc, s8, v99
	s_and_saveexec_b64 s[2:3], vcc
	s_cbranch_execz .LBB180_393
; %bb.392:
	v_lshlrev_b32_e32 v97, 2, v99
	global_load_dword v97, v97, s[0:1]
	s_mov_b32 s9, 0
	v_mov_b32_e32 v98, s9
	s_waitcnt vmcnt(0)
	v_cmp_ne_u32_e32 vcc, 0, v97
	v_cndmask_b32_e64 v97, 0, 1, vcc
.LBB180_393:
	s_or_b64 exec, exec, s[2:3]
	v_or_b32_e32 v99, 0x1800, v0
	v_cmp_gt_u32_e32 vcc, s8, v99
	s_and_saveexec_b64 s[2:3], vcc
	s_cbranch_execz .LBB180_395
; %bb.394:
	v_lshlrev_b32_e32 v95, 2, v99
	global_load_dword v95, v95, s[0:1]
	s_mov_b32 s9, 0
	v_mov_b32_e32 v96, s9
	s_waitcnt vmcnt(0)
	v_cmp_ne_u32_e32 vcc, 0, v95
	v_cndmask_b32_e64 v95, 0, 1, vcc
.LBB180_395:
	s_or_b64 exec, exec, s[2:3]
	v_or_b32_e32 v103, 0x1880, v0
	v_mov_b32_e32 v99, 0
	v_mov_b32_e32 v101, 0
	v_mov_b32_e32 v100, 0
	v_mov_b32_e32 v102, 0
	v_cmp_gt_u32_e32 vcc, s8, v103
	s_and_saveexec_b64 s[2:3], vcc
	s_cbranch_execz .LBB180_397
; %bb.396:
	v_lshlrev_b32_e32 v101, 2, v103
	global_load_dword v101, v101, s[0:1]
	s_mov_b32 s9, 0
	v_mov_b32_e32 v102, s9
	s_waitcnt vmcnt(0)
	v_cmp_ne_u32_e32 vcc, 0, v101
	v_cndmask_b32_e64 v101, 0, 1, vcc
.LBB180_397:
	s_or_b64 exec, exec, s[2:3]
	v_or_b32_e32 v103, 0x1900, v0
	v_cmp_gt_u32_e32 vcc, s8, v103
	s_and_saveexec_b64 s[2:3], vcc
	s_cbranch_execz .LBB180_399
; %bb.398:
	v_lshlrev_b32_e32 v99, 2, v103
	global_load_dword v99, v99, s[0:1]
	s_mov_b32 s9, 0
	v_mov_b32_e32 v100, s9
	s_waitcnt vmcnt(0)
	v_cmp_ne_u32_e32 vcc, 0, v99
	v_cndmask_b32_e64 v99, 0, 1, vcc
.LBB180_399:
	s_or_b64 exec, exec, s[2:3]
	v_or_b32_e32 v107, 0x1980, v0
	v_mov_b32_e32 v103, 0
	v_mov_b32_e32 v105, 0
	v_mov_b32_e32 v104, 0
	v_mov_b32_e32 v106, 0
	v_cmp_gt_u32_e32 vcc, s8, v107
	s_and_saveexec_b64 s[2:3], vcc
	s_cbranch_execz .LBB180_401
; %bb.400:
	v_lshlrev_b32_e32 v105, 2, v107
	global_load_dword v105, v105, s[0:1]
	s_mov_b32 s9, 0
	v_mov_b32_e32 v106, s9
	s_waitcnt vmcnt(0)
	v_cmp_ne_u32_e32 vcc, 0, v105
	v_cndmask_b32_e64 v105, 0, 1, vcc
.LBB180_401:
	s_or_b64 exec, exec, s[2:3]
	v_or_b32_e32 v107, 0x1a00, v0
	v_cmp_gt_u32_e32 vcc, s8, v107
	s_and_saveexec_b64 s[2:3], vcc
	s_cbranch_execz .LBB180_403
; %bb.402:
	v_lshlrev_b32_e32 v103, 2, v107
	global_load_dword v103, v103, s[0:1]
	s_mov_b32 s9, 0
	v_mov_b32_e32 v104, s9
	s_waitcnt vmcnt(0)
	v_cmp_ne_u32_e32 vcc, 0, v103
	v_cndmask_b32_e64 v103, 0, 1, vcc
.LBB180_403:
	s_or_b64 exec, exec, s[2:3]
	v_or_b32_e32 v111, 0x1a80, v0
	v_mov_b32_e32 v107, 0
	v_mov_b32_e32 v109, 0
	v_mov_b32_e32 v108, 0
	v_mov_b32_e32 v110, 0
	v_cmp_gt_u32_e32 vcc, s8, v111
	s_and_saveexec_b64 s[2:3], vcc
	s_cbranch_execz .LBB180_405
; %bb.404:
	v_lshlrev_b32_e32 v109, 2, v111
	global_load_dword v109, v109, s[0:1]
	s_mov_b32 s9, 0
	v_mov_b32_e32 v110, s9
	s_waitcnt vmcnt(0)
	v_cmp_ne_u32_e32 vcc, 0, v109
	v_cndmask_b32_e64 v109, 0, 1, vcc
.LBB180_405:
	s_or_b64 exec, exec, s[2:3]
	v_or_b32_e32 v111, 0x1b00, v0
	v_cmp_gt_u32_e32 vcc, s8, v111
	s_and_saveexec_b64 s[2:3], vcc
	s_cbranch_execz .LBB180_407
; %bb.406:
	v_lshlrev_b32_e32 v107, 2, v111
	global_load_dword v107, v107, s[0:1]
	s_mov_b32 s9, 0
	v_mov_b32_e32 v108, s9
	s_waitcnt vmcnt(0)
	v_cmp_ne_u32_e32 vcc, 0, v107
	v_cndmask_b32_e64 v107, 0, 1, vcc
.LBB180_407:
	s_or_b64 exec, exec, s[2:3]
	v_or_b32_e32 v115, 0x1b80, v0
	v_mov_b32_e32 v111, 0
	v_mov_b32_e32 v113, 0
	v_mov_b32_e32 v112, 0
	v_mov_b32_e32 v114, 0
	v_cmp_gt_u32_e32 vcc, s8, v115
	s_and_saveexec_b64 s[2:3], vcc
	s_cbranch_execz .LBB180_409
; %bb.408:
	v_lshlrev_b32_e32 v113, 2, v115
	global_load_dword v113, v113, s[0:1]
	s_mov_b32 s9, 0
	v_mov_b32_e32 v114, s9
	s_waitcnt vmcnt(0)
	v_cmp_ne_u32_e32 vcc, 0, v113
	v_cndmask_b32_e64 v113, 0, 1, vcc
.LBB180_409:
	s_or_b64 exec, exec, s[2:3]
	v_or_b32_e32 v115, 0x1c00, v0
	v_cmp_gt_u32_e32 vcc, s8, v115
	s_and_saveexec_b64 s[2:3], vcc
	s_cbranch_execz .LBB180_411
; %bb.410:
	v_lshlrev_b32_e32 v111, 2, v115
	global_load_dword v111, v111, s[0:1]
	s_mov_b32 s9, 0
	v_mov_b32_e32 v112, s9
	s_waitcnt vmcnt(0)
	v_cmp_ne_u32_e32 vcc, 0, v111
	v_cndmask_b32_e64 v111, 0, 1, vcc
.LBB180_411:
	s_or_b64 exec, exec, s[2:3]
	v_or_b32_e32 v119, 0x1c80, v0
	v_mov_b32_e32 v115, 0
	v_mov_b32_e32 v117, 0
	v_mov_b32_e32 v116, 0
	v_mov_b32_e32 v118, 0
	v_cmp_gt_u32_e32 vcc, s8, v119
	s_and_saveexec_b64 s[2:3], vcc
	s_cbranch_execz .LBB180_413
; %bb.412:
	v_lshlrev_b32_e32 v117, 2, v119
	global_load_dword v117, v117, s[0:1]
	s_mov_b32 s9, 0
	v_mov_b32_e32 v118, s9
	s_waitcnt vmcnt(0)
	v_cmp_ne_u32_e32 vcc, 0, v117
	v_cndmask_b32_e64 v117, 0, 1, vcc
.LBB180_413:
	s_or_b64 exec, exec, s[2:3]
	v_or_b32_e32 v119, 0x1d00, v0
	v_cmp_gt_u32_e32 vcc, s8, v119
	s_and_saveexec_b64 s[2:3], vcc
	s_cbranch_execz .LBB180_415
; %bb.414:
	v_lshlrev_b32_e32 v115, 2, v119
	global_load_dword v115, v115, s[0:1]
	s_mov_b32 s9, 0
	v_mov_b32_e32 v116, s9
	s_waitcnt vmcnt(0)
	v_cmp_ne_u32_e32 vcc, 0, v115
	v_cndmask_b32_e64 v115, 0, 1, vcc
.LBB180_415:
	s_or_b64 exec, exec, s[2:3]
	v_or_b32_e32 v123, 0x1d80, v0
	v_mov_b32_e32 v119, 0
	v_mov_b32_e32 v121, 0
	v_mov_b32_e32 v120, 0
	v_mov_b32_e32 v122, 0
	v_cmp_gt_u32_e32 vcc, s8, v123
	s_and_saveexec_b64 s[2:3], vcc
	s_cbranch_execz .LBB180_417
; %bb.416:
	v_lshlrev_b32_e32 v121, 2, v123
	global_load_dword v121, v121, s[0:1]
	s_mov_b32 s9, 0
	v_mov_b32_e32 v122, s9
	s_waitcnt vmcnt(0)
	v_cmp_ne_u32_e32 vcc, 0, v121
	v_cndmask_b32_e64 v121, 0, 1, vcc
.LBB180_417:
	s_or_b64 exec, exec, s[2:3]
	v_or_b32_e32 v123, 0x1e00, v0
	v_cmp_gt_u32_e32 vcc, s8, v123
	s_and_saveexec_b64 s[2:3], vcc
	s_cbranch_execz .LBB180_419
; %bb.418:
	v_lshlrev_b32_e32 v119, 2, v123
	global_load_dword v119, v119, s[0:1]
	s_mov_b32 s9, 0
	v_mov_b32_e32 v120, s9
	s_waitcnt vmcnt(0)
	v_cmp_ne_u32_e32 vcc, 0, v119
	v_cndmask_b32_e64 v119, 0, 1, vcc
.LBB180_419:
	s_or_b64 exec, exec, s[2:3]
	v_or_b32_e32 v127, 0x1e80, v0
	v_mov_b32_e32 v123, 0
	v_mov_b32_e32 v125, 0
	v_mov_b32_e32 v124, 0
	v_mov_b32_e32 v126, 0
	v_cmp_gt_u32_e32 vcc, s8, v127
	s_and_saveexec_b64 s[2:3], vcc
	s_cbranch_execz .LBB180_421
; %bb.420:
	v_lshlrev_b32_e32 v125, 2, v127
	global_load_dword v125, v125, s[0:1]
	s_mov_b32 s9, 0
	v_mov_b32_e32 v126, s9
	s_waitcnt vmcnt(0)
	v_cmp_ne_u32_e32 vcc, 0, v125
	v_cndmask_b32_e64 v125, 0, 1, vcc
.LBB180_421:
	s_or_b64 exec, exec, s[2:3]
	v_or_b32_e32 v127, 0x1f00, v0
	v_cmp_gt_u32_e32 vcc, s8, v127
	s_and_saveexec_b64 s[2:3], vcc
	s_cbranch_execz .LBB180_423
; %bb.422:
	v_lshlrev_b32_e32 v123, 2, v127
	global_load_dword v123, v123, s[0:1]
	s_mov_b32 s9, 0
	v_mov_b32_e32 v124, s9
	s_waitcnt vmcnt(0)
	v_cmp_ne_u32_e32 vcc, 0, v123
	v_cndmask_b32_e64 v123, 0, 1, vcc
.LBB180_423:
	s_or_b64 exec, exec, s[2:3]
	v_or_b32_e32 v129, 0x1f80, v0
	v_mov_b32_e32 v127, 0
	v_mov_b32_e32 v128, 0
	v_cmp_gt_u32_e32 vcc, s8, v129
	s_and_saveexec_b64 s[2:3], vcc
	s_cbranch_execz .LBB180_425
; %bb.424:
	v_lshlrev_b32_e32 v127, 2, v129
	global_load_dword v127, v127, s[0:1]
	s_mov_b32 s0, 0
	v_mov_b32_e32 v128, s0
	s_waitcnt vmcnt(0)
	v_cmp_ne_u32_e32 vcc, 0, v127
	v_cndmask_b32_e64 v127, 0, 1, vcc
.LBB180_425:
	s_or_b64 exec, exec, s[2:3]
	v_add_co_u32_e32 v1, vcc, v5, v1
	v_addc_co_u32_e32 v2, vcc, v6, v2, vcc
	v_add_co_u32_e32 v1, vcc, v1, v3
	v_addc_co_u32_e32 v2, vcc, v2, v4, vcc
	;; [unrolled: 2-line block ×62, first 2 shown]
	v_mbcnt_lo_u32_b32 v3, -1, 0
	v_add_co_u32_e32 v1, vcc, v1, v127
	v_mbcnt_hi_u32_b32 v3, -1, v3
	v_addc_co_u32_e32 v2, vcc, v2, v128, vcc
	v_and_b32_e32 v4, 63, v3
	v_cmp_ne_u32_e32 vcc, 63, v4
	v_addc_co_u32_e32 v6, vcc, 0, v3, vcc
	v_lshlrev_b32_e32 v6, 2, v6
	ds_bpermute_b32 v8, v6, v1
	ds_bpermute_b32 v7, v6, v2
	s_min_u32 s2, s8, 0x80
	v_and_b32_e32 v5, 64, v0
	v_sub_u32_e64 v5, s2, v5 clamp
	v_add_u32_e32 v6, 1, v4
	v_cmp_lt_u32_e32 vcc, v6, v5
	v_mov_b32_e32 v6, v1
	s_and_saveexec_b64 s[0:1], vcc
	s_cbranch_execz .LBB180_427
; %bb.426:
	s_waitcnt lgkmcnt(1)
	v_add_co_u32_e32 v6, vcc, v1, v8
	v_addc_co_u32_e32 v2, vcc, 0, v2, vcc
	v_add_co_u32_e32 v1, vcc, 0, v6
	s_waitcnt lgkmcnt(0)
	v_addc_co_u32_e32 v2, vcc, v7, v2, vcc
.LBB180_427:
	s_or_b64 exec, exec, s[0:1]
	v_cmp_gt_u32_e32 vcc, 62, v4
	s_waitcnt lgkmcnt(0)
	v_cndmask_b32_e64 v7, 0, 2, vcc
	v_add_lshl_u32 v7, v7, v3, 2
	ds_bpermute_b32 v8, v7, v6
	ds_bpermute_b32 v7, v7, v2
	v_add_u32_e32 v9, 2, v4
	v_cmp_lt_u32_e32 vcc, v9, v5
	s_and_saveexec_b64 s[0:1], vcc
	s_cbranch_execz .LBB180_429
; %bb.428:
	s_waitcnt lgkmcnt(1)
	v_add_co_u32_e32 v6, vcc, v1, v8
	v_addc_co_u32_e32 v2, vcc, 0, v2, vcc
	v_add_co_u32_e32 v1, vcc, 0, v6
	s_waitcnt lgkmcnt(0)
	v_addc_co_u32_e32 v2, vcc, v7, v2, vcc
.LBB180_429:
	s_or_b64 exec, exec, s[0:1]
	v_cmp_gt_u32_e32 vcc, 60, v4
	s_waitcnt lgkmcnt(0)
	v_cndmask_b32_e64 v7, 0, 4, vcc
	v_add_lshl_u32 v7, v7, v3, 2
	ds_bpermute_b32 v8, v7, v6
	ds_bpermute_b32 v7, v7, v2
	v_add_u32_e32 v9, 4, v4
	v_cmp_lt_u32_e32 vcc, v9, v5
	;; [unrolled: 19-line block ×4, first 2 shown]
	s_and_saveexec_b64 s[0:1], vcc
	s_cbranch_execz .LBB180_435
; %bb.434:
	s_waitcnt lgkmcnt(1)
	v_add_co_u32_e32 v6, vcc, v1, v8
	v_addc_co_u32_e32 v2, vcc, 0, v2, vcc
	v_add_co_u32_e32 v1, vcc, 0, v6
	s_waitcnt lgkmcnt(0)
	v_addc_co_u32_e32 v2, vcc, v7, v2, vcc
.LBB180_435:
	s_or_b64 exec, exec, s[0:1]
	s_waitcnt lgkmcnt(0)
	v_lshlrev_b32_e32 v7, 2, v3
	v_or_b32_e32 v8, 0x80, v7
	ds_bpermute_b32 v6, v8, v6
	ds_bpermute_b32 v8, v8, v2
	v_add_u32_e32 v4, 32, v4
	s_waitcnt lgkmcnt(1)
	v_add_co_u32_e32 v6, vcc, v1, v6
	v_addc_co_u32_e32 v9, vcc, 0, v2, vcc
	v_add_co_u32_e32 v6, vcc, 0, v6
	s_waitcnt lgkmcnt(0)
	v_addc_co_u32_e32 v8, vcc, v9, v8, vcc
	v_cmp_lt_u32_e32 vcc, v4, v5
	v_cndmask_b32_e32 v2, v2, v8, vcc
	v_cndmask_b32_e32 v1, v1, v6, vcc
	v_cmp_eq_u32_e32 vcc, 0, v3
	s_and_saveexec_b64 s[0:1], vcc
; %bb.436:
	v_lshrrev_b32_e32 v4, 3, v0
	v_and_b32_e32 v4, 8, v4
	ds_write_b64 v4, v[1:2] offset:128
; %bb.437:
	s_or_b64 exec, exec, s[0:1]
	v_cmp_gt_u32_e32 vcc, 2, v0
	s_waitcnt lgkmcnt(0)
	s_barrier
	s_and_saveexec_b64 s[0:1], vcc
	s_cbranch_execz .LBB180_439
; %bb.438:
	v_lshlrev_b32_e32 v1, 3, v3
	ds_read_b64 v[1:2], v1 offset:128
	v_or_b32_e32 v4, 4, v7
	s_add_i32 s2, s2, 63
	v_and_b32_e32 v3, 1, v3
	s_lshr_b32 s2, s2, 6
	s_waitcnt lgkmcnt(0)
	ds_bpermute_b32 v5, v4, v2
	ds_bpermute_b32 v4, v4, v1
	v_add_u32_e32 v3, 1, v3
	v_cmp_gt_u32_e32 vcc, s2, v3
	s_waitcnt lgkmcnt(1)
	v_cndmask_b32_e32 v3, 0, v5, vcc
	s_waitcnt lgkmcnt(0)
	v_cndmask_b32_e32 v4, 0, v4, vcc
	v_add_co_u32_e32 v1, vcc, v4, v1
	v_addc_co_u32_e32 v2, vcc, v3, v2, vcc
.LBB180_439:
	s_or_b64 exec, exec, s[0:1]
.LBB180_440:
	v_mov_b32_e32 v3, s6
	v_cmp_eq_u32_e64 s[2:3], 0, v0
	v_mov_b32_e32 v4, s7
.LBB180_441:
	s_branch .LBB180_591
.LBB180_442:
	s_cmp_gt_i32 s26, 31
	s_cbranch_scc0 .LBB180_450
; %bb.443:
	s_cmp_eq_u32 s26, 32
                                        ; implicit-def: $vgpr1_vgpr2
                                        ; implicit-def: $vgpr3_vgpr4
	s_cbranch_scc0 .LBB180_451
; %bb.444:
	s_mov_b32 s7, 0
	s_lshl_b32 s2, s6, 12
	s_mov_b32 s3, s7
	s_lshr_b64 s[8:9], s[20:21], 12
	s_lshl_b64 s[0:1], s[2:3], 2
	s_add_u32 s0, s18, s0
	s_addc_u32 s1, s19, s1
	s_cmp_lg_u64 s[8:9], s[6:7]
	s_cbranch_scc0 .LBB180_452
; %bb.445:
	v_lshlrev_b32_e32 v5, 2, v0
	v_mov_b32_e32 v1, s1
	v_add_co_u32_e32 v6, vcc, s0, v5
	v_addc_co_u32_e32 v7, vcc, 0, v1, vcc
	s_movk_i32 s8, 0x2000
	v_add_co_u32_e32 v1, vcc, s8, v6
	global_load_dword v8, v5, s[0:1] offset:1536
	global_load_dword v9, v5, s[0:1] offset:2048
	;; [unrolled: 1-line block ×5, first 2 shown]
	v_addc_co_u32_e32 v2, vcc, 0, v7, vcc
	global_load_dword v13, v[1:2], off offset:-4096
	s_movk_i32 s3, 0x1000
	v_add_co_u32_e32 v3, vcc, s3, v6
	v_addc_co_u32_e32 v4, vcc, 0, v7, vcc
	global_load_dword v14, v[3:4], off offset:512
	global_load_dword v15, v[3:4], off offset:1024
	;; [unrolled: 1-line block ×7, first 2 shown]
	global_load_dword v21, v[1:2], off
	global_load_dword v22, v[1:2], off offset:512
	global_load_dword v23, v[1:2], off offset:1024
	;; [unrolled: 1-line block ×3, first 2 shown]
	s_nop 0
	global_load_dword v3, v[1:2], off offset:2048
	global_load_dword v4, v[1:2], off offset:2560
	;; [unrolled: 1-line block ×4, first 2 shown]
	s_movk_i32 s3, 0x3000
	v_add_co_u32_e32 v1, vcc, s3, v6
	v_addc_co_u32_e32 v2, vcc, 0, v7, vcc
	global_load_dword v6, v[1:2], off
	global_load_dword v7, v[1:2], off offset:512
	global_load_dword v27, v[1:2], off offset:1024
	;; [unrolled: 1-line block ×7, first 2 shown]
	global_load_dword v33, v5, s[0:1] offset:512
	global_load_dword v34, v5, s[0:1]
	global_load_dword v35, v5, s[0:1] offset:1024
	v_mov_b32_e32 v1, 0
	s_waitcnt vmcnt(31)
	v_cmp_ne_u32_e32 vcc, 0, v8
	v_cndmask_b32_e64 v2, 0, 1, vcc
	s_waitcnt vmcnt(30)
	v_cmp_ne_u32_e32 vcc, 0, v9
	v_cndmask_b32_e64 v5, 0, 1, vcc
	;; [unrolled: 3-line block ×31, first 2 shown]
	s_waitcnt vmcnt(0)
	v_cmp_ne_u32_e32 vcc, 0, v35
	v_addc_co_u32_e32 v31, vcc, v31, v32, vcc
	v_add_co_u32_e32 v2, vcc, v31, v2
	v_addc_co_u32_e64 v31, s[8:9], 0, 0, vcc
	v_add_co_u32_e32 v2, vcc, v2, v5
	v_addc_co_u32_e32 v5, vcc, 0, v31, vcc
	v_add_co_u32_e32 v2, vcc, v2, v8
	v_addc_co_u32_e32 v5, vcc, 0, v5, vcc
	v_add_co_u32_e32 v2, vcc, v2, v9
	v_addc_co_u32_e32 v5, vcc, 0, v5, vcc
	v_add_co_u32_e32 v2, vcc, v2, v10
	v_addc_co_u32_e32 v5, vcc, 0, v5, vcc
	v_add_co_u32_e32 v2, vcc, v2, v11
	v_addc_co_u32_e32 v5, vcc, 0, v5, vcc
	v_add_co_u32_e32 v2, vcc, v2, v12
	v_addc_co_u32_e32 v5, vcc, 0, v5, vcc
	v_add_co_u32_e32 v2, vcc, v2, v13
	v_addc_co_u32_e32 v5, vcc, 0, v5, vcc
	v_add_co_u32_e32 v2, vcc, v2, v14
	v_addc_co_u32_e32 v5, vcc, 0, v5, vcc
	v_add_co_u32_e32 v2, vcc, v2, v15
	v_addc_co_u32_e32 v5, vcc, 0, v5, vcc
	v_add_co_u32_e32 v2, vcc, v2, v16
	v_addc_co_u32_e32 v5, vcc, 0, v5, vcc
	v_add_co_u32_e32 v2, vcc, v2, v17
	v_addc_co_u32_e32 v5, vcc, 0, v5, vcc
	v_add_co_u32_e32 v2, vcc, v2, v18
	v_addc_co_u32_e32 v5, vcc, 0, v5, vcc
	v_add_co_u32_e32 v2, vcc, v2, v19
	v_addc_co_u32_e32 v5, vcc, 0, v5, vcc
	v_add_co_u32_e32 v2, vcc, v2, v20
	v_addc_co_u32_e32 v5, vcc, 0, v5, vcc
	v_add_co_u32_e32 v2, vcc, v2, v21
	v_addc_co_u32_e32 v5, vcc, 0, v5, vcc
	v_add_co_u32_e32 v2, vcc, v2, v22
	v_addc_co_u32_e32 v5, vcc, 0, v5, vcc
	v_add_co_u32_e32 v2, vcc, v2, v3
	v_addc_co_u32_e32 v3, vcc, 0, v5, vcc
	v_add_co_u32_e32 v2, vcc, v2, v4
	v_addc_co_u32_e32 v3, vcc, 0, v3, vcc
	v_add_co_u32_e32 v2, vcc, v2, v23
	v_addc_co_u32_e32 v3, vcc, 0, v3, vcc
	v_add_co_u32_e32 v2, vcc, v2, v24
	v_addc_co_u32_e32 v3, vcc, 0, v3, vcc
	v_add_co_u32_e32 v2, vcc, v2, v6
	v_addc_co_u32_e32 v3, vcc, 0, v3, vcc
	v_add_co_u32_e32 v2, vcc, v2, v7
	v_addc_co_u32_e32 v3, vcc, 0, v3, vcc
	v_add_co_u32_e32 v2, vcc, v2, v25
	v_addc_co_u32_e32 v3, vcc, 0, v3, vcc
	v_add_co_u32_e32 v2, vcc, v2, v26
	v_addc_co_u32_e32 v3, vcc, 0, v3, vcc
	v_add_co_u32_e32 v2, vcc, v2, v27
	v_addc_co_u32_e32 v3, vcc, 0, v3, vcc
	v_add_co_u32_e32 v2, vcc, v2, v28
	v_addc_co_u32_e32 v3, vcc, 0, v3, vcc
	v_add_co_u32_e32 v2, vcc, v2, v29
	v_addc_co_u32_e32 v3, vcc, 0, v3, vcc
	v_add_co_u32_e32 v2, vcc, v2, v30
	v_addc_co_u32_e32 v4, vcc, 0, v3, vcc
	s_nop 0
	v_mov_b32_dpp v5, v2 quad_perm:[1,0,3,2] row_mask:0xf bank_mask:0xf bound_ctrl:1
	v_add_co_u32_e32 v2, vcc, v2, v5
	v_addc_co_u32_e32 v4, vcc, 0, v4, vcc
	v_mov_b32_dpp v1, v1 quad_perm:[1,0,3,2] row_mask:0xf bank_mask:0xf bound_ctrl:1
	v_add_co_u32_e32 v5, vcc, 0, v2
	v_addc_co_u32_e32 v1, vcc, v1, v4, vcc
	v_mov_b32_dpp v2, v2 quad_perm:[2,3,0,1] row_mask:0xf bank_mask:0xf bound_ctrl:1
	v_add_co_u32_e32 v2, vcc, v5, v2
	v_mov_b32_dpp v4, v1 quad_perm:[2,3,0,1] row_mask:0xf bank_mask:0xf bound_ctrl:1
	v_addc_co_u32_e32 v1, vcc, 0, v1, vcc
	v_add_co_u32_e32 v5, vcc, 0, v2
	v_addc_co_u32_e32 v1, vcc, v1, v4, vcc
	v_mov_b32_dpp v2, v2 row_ror:4 row_mask:0xf bank_mask:0xf bound_ctrl:1
	v_add_co_u32_e32 v2, vcc, v5, v2
	v_mov_b32_dpp v4, v1 row_ror:4 row_mask:0xf bank_mask:0xf bound_ctrl:1
	v_addc_co_u32_e32 v1, vcc, 0, v1, vcc
	v_add_co_u32_e32 v5, vcc, 0, v2
	v_addc_co_u32_e32 v1, vcc, v1, v4, vcc
	v_mov_b32_dpp v2, v2 row_ror:8 row_mask:0xf bank_mask:0xf bound_ctrl:1
	v_add_co_u32_e32 v2, vcc, v5, v2
	v_mov_b32_dpp v4, v1 row_ror:8 row_mask:0xf bank_mask:0xf bound_ctrl:1
	v_addc_co_u32_e32 v1, vcc, 0, v1, vcc
	v_add_co_u32_e32 v5, vcc, 0, v2
	v_addc_co_u32_e32 v1, vcc, v1, v4, vcc
	v_mov_b32_dpp v2, v2 row_bcast:15 row_mask:0xf bank_mask:0xf bound_ctrl:1
	v_add_co_u32_e32 v2, vcc, v5, v2
	v_mov_b32_dpp v4, v1 row_bcast:15 row_mask:0xf bank_mask:0xf bound_ctrl:1
	v_addc_co_u32_e32 v1, vcc, 0, v1, vcc
	v_add_co_u32_e32 v5, vcc, 0, v2
	v_addc_co_u32_e32 v1, vcc, v1, v4, vcc
	v_mov_b32_dpp v2, v2 row_bcast:31 row_mask:0xf bank_mask:0xf bound_ctrl:1
	v_mbcnt_lo_u32_b32 v3, -1, 0
	v_add_co_u32_e32 v2, vcc, v5, v2
	v_mbcnt_hi_u32_b32 v3, -1, v3
	v_addc_co_u32_e32 v4, vcc, 0, v1, vcc
	v_cmp_eq_u32_e32 vcc, 0, v3
	s_nop 0
	v_add_u32_dpp v5, v1, v4 row_bcast:31 row_mask:0xf bank_mask:0xf bound_ctrl:1
	v_lshlrev_b32_e32 v4, 2, v3
	v_or_b32_e32 v6, 0xfc, v4
	ds_bpermute_b32 v1, v6, v2
	ds_bpermute_b32 v2, v6, v5
	s_and_saveexec_b64 s[8:9], vcc
	s_cbranch_execz .LBB180_447
; %bb.446:
	v_lshrrev_b32_e32 v5, 3, v0
	v_and_b32_e32 v5, 8, v5
	s_waitcnt lgkmcnt(0)
	ds_write_b64 v5, v[1:2] offset:64
.LBB180_447:
	s_or_b64 exec, exec, s[8:9]
	v_cmp_gt_u32_e32 vcc, 64, v0
	s_waitcnt lgkmcnt(0)
	s_barrier
	s_and_saveexec_b64 s[8:9], vcc
	s_cbranch_execz .LBB180_449
; %bb.448:
	v_and_b32_e32 v1, 1, v3
	v_lshlrev_b32_e32 v1, 3, v1
	ds_read_b64 v[1:2], v1 offset:64
	v_or_b32_e32 v3, 4, v4
	s_waitcnt lgkmcnt(0)
	ds_bpermute_b32 v4, v3, v1
	ds_bpermute_b32 v3, v3, v2
	s_waitcnt lgkmcnt(1)
	v_add_co_u32_e32 v1, vcc, v1, v4
	v_addc_co_u32_e32 v2, vcc, 0, v2, vcc
	v_add_co_u32_e32 v1, vcc, 0, v1
	s_waitcnt lgkmcnt(0)
	v_addc_co_u32_e32 v2, vcc, v2, v3, vcc
.LBB180_449:
	s_or_b64 exec, exec, s[8:9]
	s_mov_b64 s[8:9], 0
	s_branch .LBB180_453
.LBB180_450:
                                        ; implicit-def: $vgpr1_vgpr2
                                        ; implicit-def: $vgpr3_vgpr4
	s_cbranch_execnz .LBB180_534
	s_branch .LBB180_591
.LBB180_451:
	s_branch .LBB180_591
.LBB180_452:
	s_mov_b64 s[8:9], -1
                                        ; implicit-def: $vgpr1_vgpr2
.LBB180_453:
	s_and_b64 vcc, exec, s[8:9]
	s_cbranch_vccz .LBB180_533
; %bb.454:
	s_sub_i32 s8, s20, s2
	v_cmp_gt_u32_e32 vcc, s8, v0
                                        ; implicit-def: $vgpr1_vgpr2
	s_and_saveexec_b64 s[2:3], vcc
	s_cbranch_execz .LBB180_456
; %bb.455:
	v_lshlrev_b32_e32 v1, 2, v0
	global_load_dword v1, v1, s[0:1]
	s_mov_b32 s9, 0
	v_mov_b32_e32 v2, s9
	s_waitcnt vmcnt(0)
	v_cmp_ne_u32_e32 vcc, 0, v1
	v_cndmask_b32_e64 v1, 0, 1, vcc
.LBB180_456:
	s_or_b64 exec, exec, s[2:3]
	v_or_b32_e32 v7, 0x80, v0
	v_mov_b32_e32 v3, 0
	v_mov_b32_e32 v5, 0
	v_mov_b32_e32 v4, 0
	v_mov_b32_e32 v6, 0
	v_cmp_gt_u32_e32 vcc, s8, v7
	s_and_saveexec_b64 s[2:3], vcc
	s_cbranch_execz .LBB180_458
; %bb.457:
	v_lshlrev_b32_e32 v5, 2, v0
	global_load_dword v5, v5, s[0:1] offset:512
	s_mov_b32 s9, 0
	v_mov_b32_e32 v6, s9
	s_waitcnt vmcnt(0)
	v_cmp_ne_u32_e32 vcc, 0, v5
	v_cndmask_b32_e64 v5, 0, 1, vcc
.LBB180_458:
	s_or_b64 exec, exec, s[2:3]
	v_or_b32_e32 v7, 0x100, v0
	v_cmp_gt_u32_e32 vcc, s8, v7
	s_and_saveexec_b64 s[2:3], vcc
	s_cbranch_execz .LBB180_460
; %bb.459:
	v_lshlrev_b32_e32 v3, 2, v0
	global_load_dword v3, v3, s[0:1] offset:1024
	s_mov_b32 s9, 0
	v_mov_b32_e32 v4, s9
	s_waitcnt vmcnt(0)
	v_cmp_ne_u32_e32 vcc, 0, v3
	v_cndmask_b32_e64 v3, 0, 1, vcc
.LBB180_460:
	s_or_b64 exec, exec, s[2:3]
	v_or_b32_e32 v11, 0x180, v0
	v_mov_b32_e32 v7, 0
	v_mov_b32_e32 v9, 0
	v_mov_b32_e32 v8, 0
	v_mov_b32_e32 v10, 0
	v_cmp_gt_u32_e32 vcc, s8, v11
	s_and_saveexec_b64 s[2:3], vcc
	s_cbranch_execz .LBB180_462
; %bb.461:
	v_lshlrev_b32_e32 v9, 2, v0
	global_load_dword v9, v9, s[0:1] offset:1536
	s_mov_b32 s9, 0
	v_mov_b32_e32 v10, s9
	s_waitcnt vmcnt(0)
	v_cmp_ne_u32_e32 vcc, 0, v9
	v_cndmask_b32_e64 v9, 0, 1, vcc
.LBB180_462:
	s_or_b64 exec, exec, s[2:3]
	v_or_b32_e32 v11, 0x200, v0
	v_cmp_gt_u32_e32 vcc, s8, v11
	s_and_saveexec_b64 s[2:3], vcc
	s_cbranch_execz .LBB180_464
; %bb.463:
	v_lshlrev_b32_e32 v7, 2, v0
	global_load_dword v7, v7, s[0:1] offset:2048
	s_mov_b32 s9, 0
	v_mov_b32_e32 v8, s9
	s_waitcnt vmcnt(0)
	v_cmp_ne_u32_e32 vcc, 0, v7
	v_cndmask_b32_e64 v7, 0, 1, vcc
.LBB180_464:
	;; [unrolled: 32-line block ×3, first 2 shown]
	s_or_b64 exec, exec, s[2:3]
	v_or_b32_e32 v19, 0x380, v0
	v_mov_b32_e32 v15, 0
	v_mov_b32_e32 v17, 0
	;; [unrolled: 1-line block ×4, first 2 shown]
	v_cmp_gt_u32_e32 vcc, s8, v19
	s_and_saveexec_b64 s[2:3], vcc
	s_cbranch_execz .LBB180_470
; %bb.469:
	v_lshlrev_b32_e32 v17, 2, v0
	global_load_dword v17, v17, s[0:1] offset:3584
	s_mov_b32 s9, 0
	v_mov_b32_e32 v18, s9
	s_waitcnt vmcnt(0)
	v_cmp_ne_u32_e32 vcc, 0, v17
	v_cndmask_b32_e64 v17, 0, 1, vcc
.LBB180_470:
	s_or_b64 exec, exec, s[2:3]
	v_or_b32_e32 v19, 0x400, v0
	v_cmp_gt_u32_e32 vcc, s8, v19
	s_and_saveexec_b64 s[2:3], vcc
	s_cbranch_execz .LBB180_472
; %bb.471:
	v_lshlrev_b32_e32 v15, 2, v19
	global_load_dword v15, v15, s[0:1]
	s_mov_b32 s9, 0
	v_mov_b32_e32 v16, s9
	s_waitcnt vmcnt(0)
	v_cmp_ne_u32_e32 vcc, 0, v15
	v_cndmask_b32_e64 v15, 0, 1, vcc
.LBB180_472:
	s_or_b64 exec, exec, s[2:3]
	v_or_b32_e32 v23, 0x480, v0
	v_mov_b32_e32 v19, 0
	v_mov_b32_e32 v21, 0
	v_mov_b32_e32 v20, 0
	v_mov_b32_e32 v22, 0
	v_cmp_gt_u32_e32 vcc, s8, v23
	s_and_saveexec_b64 s[2:3], vcc
	s_cbranch_execz .LBB180_474
; %bb.473:
	v_lshlrev_b32_e32 v21, 2, v23
	global_load_dword v21, v21, s[0:1]
	s_mov_b32 s9, 0
	v_mov_b32_e32 v22, s9
	s_waitcnt vmcnt(0)
	v_cmp_ne_u32_e32 vcc, 0, v21
	v_cndmask_b32_e64 v21, 0, 1, vcc
.LBB180_474:
	s_or_b64 exec, exec, s[2:3]
	v_or_b32_e32 v23, 0x500, v0
	v_cmp_gt_u32_e32 vcc, s8, v23
	s_and_saveexec_b64 s[2:3], vcc
	s_cbranch_execz .LBB180_476
; %bb.475:
	v_lshlrev_b32_e32 v19, 2, v23
	global_load_dword v19, v19, s[0:1]
	s_mov_b32 s9, 0
	v_mov_b32_e32 v20, s9
	s_waitcnt vmcnt(0)
	v_cmp_ne_u32_e32 vcc, 0, v19
	v_cndmask_b32_e64 v19, 0, 1, vcc
.LBB180_476:
	s_or_b64 exec, exec, s[2:3]
	v_or_b32_e32 v27, 0x580, v0
	v_mov_b32_e32 v23, 0
	v_mov_b32_e32 v25, 0
	v_mov_b32_e32 v24, 0
	v_mov_b32_e32 v26, 0
	v_cmp_gt_u32_e32 vcc, s8, v27
	s_and_saveexec_b64 s[2:3], vcc
	s_cbranch_execz .LBB180_478
; %bb.477:
	v_lshlrev_b32_e32 v25, 2, v27
	global_load_dword v25, v25, s[0:1]
	s_mov_b32 s9, 0
	v_mov_b32_e32 v26, s9
	s_waitcnt vmcnt(0)
	v_cmp_ne_u32_e32 vcc, 0, v25
	v_cndmask_b32_e64 v25, 0, 1, vcc
.LBB180_478:
	;; [unrolled: 32-line block ×11, first 2 shown]
	s_or_b64 exec, exec, s[2:3]
	v_or_b32_e32 v63, 0xf00, v0
	v_cmp_gt_u32_e32 vcc, s8, v63
	s_and_saveexec_b64 s[2:3], vcc
	s_cbranch_execz .LBB180_516
; %bb.515:
	v_lshlrev_b32_e32 v59, 2, v63
	global_load_dword v59, v59, s[0:1]
	s_mov_b32 s9, 0
	v_mov_b32_e32 v60, s9
	s_waitcnt vmcnt(0)
	v_cmp_ne_u32_e32 vcc, 0, v59
	v_cndmask_b32_e64 v59, 0, 1, vcc
.LBB180_516:
	s_or_b64 exec, exec, s[2:3]
	v_or_b32_e32 v65, 0xf80, v0
	v_mov_b32_e32 v63, 0
	v_mov_b32_e32 v64, 0
	v_cmp_gt_u32_e32 vcc, s8, v65
	s_and_saveexec_b64 s[2:3], vcc
	s_cbranch_execz .LBB180_518
; %bb.517:
	v_lshlrev_b32_e32 v63, 2, v65
	global_load_dword v63, v63, s[0:1]
	s_mov_b32 s0, 0
	v_mov_b32_e32 v64, s0
	s_waitcnt vmcnt(0)
	v_cmp_ne_u32_e32 vcc, 0, v63
	v_cndmask_b32_e64 v63, 0, 1, vcc
.LBB180_518:
	s_or_b64 exec, exec, s[2:3]
	v_add_co_u32_e32 v1, vcc, v5, v1
	v_addc_co_u32_e32 v2, vcc, v6, v2, vcc
	v_add_co_u32_e32 v1, vcc, v1, v3
	v_addc_co_u32_e32 v2, vcc, v2, v4, vcc
	;; [unrolled: 2-line block ×30, first 2 shown]
	v_mbcnt_lo_u32_b32 v3, -1, 0
	v_add_co_u32_e32 v1, vcc, v1, v63
	v_mbcnt_hi_u32_b32 v3, -1, v3
	v_addc_co_u32_e32 v2, vcc, v2, v64, vcc
	v_and_b32_e32 v4, 63, v3
	v_cmp_ne_u32_e32 vcc, 63, v4
	v_addc_co_u32_e32 v6, vcc, 0, v3, vcc
	v_lshlrev_b32_e32 v6, 2, v6
	ds_bpermute_b32 v8, v6, v1
	ds_bpermute_b32 v7, v6, v2
	s_min_u32 s2, s8, 0x80
	v_and_b32_e32 v5, 64, v0
	v_sub_u32_e64 v5, s2, v5 clamp
	v_add_u32_e32 v6, 1, v4
	v_cmp_lt_u32_e32 vcc, v6, v5
	v_mov_b32_e32 v6, v1
	s_and_saveexec_b64 s[0:1], vcc
	s_cbranch_execz .LBB180_520
; %bb.519:
	s_waitcnt lgkmcnt(1)
	v_add_co_u32_e32 v6, vcc, v1, v8
	v_addc_co_u32_e32 v2, vcc, 0, v2, vcc
	v_add_co_u32_e32 v1, vcc, 0, v6
	s_waitcnt lgkmcnt(0)
	v_addc_co_u32_e32 v2, vcc, v7, v2, vcc
.LBB180_520:
	s_or_b64 exec, exec, s[0:1]
	v_cmp_gt_u32_e32 vcc, 62, v4
	s_waitcnt lgkmcnt(0)
	v_cndmask_b32_e64 v7, 0, 2, vcc
	v_add_lshl_u32 v7, v7, v3, 2
	ds_bpermute_b32 v8, v7, v6
	ds_bpermute_b32 v7, v7, v2
	v_add_u32_e32 v9, 2, v4
	v_cmp_lt_u32_e32 vcc, v9, v5
	s_and_saveexec_b64 s[0:1], vcc
	s_cbranch_execz .LBB180_522
; %bb.521:
	s_waitcnt lgkmcnt(1)
	v_add_co_u32_e32 v6, vcc, v1, v8
	v_addc_co_u32_e32 v2, vcc, 0, v2, vcc
	v_add_co_u32_e32 v1, vcc, 0, v6
	s_waitcnt lgkmcnt(0)
	v_addc_co_u32_e32 v2, vcc, v7, v2, vcc
.LBB180_522:
	s_or_b64 exec, exec, s[0:1]
	v_cmp_gt_u32_e32 vcc, 60, v4
	s_waitcnt lgkmcnt(0)
	v_cndmask_b32_e64 v7, 0, 4, vcc
	v_add_lshl_u32 v7, v7, v3, 2
	ds_bpermute_b32 v8, v7, v6
	ds_bpermute_b32 v7, v7, v2
	v_add_u32_e32 v9, 4, v4
	v_cmp_lt_u32_e32 vcc, v9, v5
	s_and_saveexec_b64 s[0:1], vcc
	s_cbranch_execz .LBB180_524
; %bb.523:
	s_waitcnt lgkmcnt(1)
	v_add_co_u32_e32 v6, vcc, v1, v8
	v_addc_co_u32_e32 v2, vcc, 0, v2, vcc
	v_add_co_u32_e32 v1, vcc, 0, v6
	s_waitcnt lgkmcnt(0)
	v_addc_co_u32_e32 v2, vcc, v7, v2, vcc
.LBB180_524:
	s_or_b64 exec, exec, s[0:1]
	v_cmp_gt_u32_e32 vcc, 56, v4
	s_waitcnt lgkmcnt(0)
	v_cndmask_b32_e64 v7, 0, 8, vcc
	v_add_lshl_u32 v7, v7, v3, 2
	ds_bpermute_b32 v8, v7, v6
	ds_bpermute_b32 v7, v7, v2
	v_add_u32_e32 v9, 8, v4
	v_cmp_lt_u32_e32 vcc, v9, v5
	s_and_saveexec_b64 s[0:1], vcc
	s_cbranch_execz .LBB180_526
; %bb.525:
	s_waitcnt lgkmcnt(1)
	v_add_co_u32_e32 v6, vcc, v1, v8
	v_addc_co_u32_e32 v2, vcc, 0, v2, vcc
	v_add_co_u32_e32 v1, vcc, 0, v6
	s_waitcnt lgkmcnt(0)
	v_addc_co_u32_e32 v2, vcc, v7, v2, vcc
.LBB180_526:
	s_or_b64 exec, exec, s[0:1]
	v_cmp_gt_u32_e32 vcc, 48, v4
	s_waitcnt lgkmcnt(0)
	v_cndmask_b32_e64 v7, 0, 16, vcc
	v_add_lshl_u32 v7, v7, v3, 2
	ds_bpermute_b32 v8, v7, v6
	ds_bpermute_b32 v7, v7, v2
	v_add_u32_e32 v9, 16, v4
	v_cmp_lt_u32_e32 vcc, v9, v5
	s_and_saveexec_b64 s[0:1], vcc
	s_cbranch_execz .LBB180_528
; %bb.527:
	s_waitcnt lgkmcnt(1)
	v_add_co_u32_e32 v6, vcc, v1, v8
	v_addc_co_u32_e32 v2, vcc, 0, v2, vcc
	v_add_co_u32_e32 v1, vcc, 0, v6
	s_waitcnt lgkmcnt(0)
	v_addc_co_u32_e32 v2, vcc, v7, v2, vcc
.LBB180_528:
	s_or_b64 exec, exec, s[0:1]
	s_waitcnt lgkmcnt(0)
	v_lshlrev_b32_e32 v7, 2, v3
	v_or_b32_e32 v8, 0x80, v7
	ds_bpermute_b32 v6, v8, v6
	ds_bpermute_b32 v8, v8, v2
	v_add_u32_e32 v4, 32, v4
	s_waitcnt lgkmcnt(1)
	v_add_co_u32_e32 v6, vcc, v1, v6
	v_addc_co_u32_e32 v9, vcc, 0, v2, vcc
	v_add_co_u32_e32 v6, vcc, 0, v6
	s_waitcnt lgkmcnt(0)
	v_addc_co_u32_e32 v8, vcc, v9, v8, vcc
	v_cmp_lt_u32_e32 vcc, v4, v5
	v_cndmask_b32_e32 v2, v2, v8, vcc
	v_cndmask_b32_e32 v1, v1, v6, vcc
	v_cmp_eq_u32_e32 vcc, 0, v3
	s_and_saveexec_b64 s[0:1], vcc
; %bb.529:
	v_lshrrev_b32_e32 v4, 3, v0
	v_and_b32_e32 v4, 8, v4
	ds_write_b64 v4, v[1:2] offset:128
; %bb.530:
	s_or_b64 exec, exec, s[0:1]
	v_cmp_gt_u32_e32 vcc, 2, v0
	s_waitcnt lgkmcnt(0)
	s_barrier
	s_and_saveexec_b64 s[0:1], vcc
	s_cbranch_execz .LBB180_532
; %bb.531:
	v_lshlrev_b32_e32 v1, 3, v3
	ds_read_b64 v[1:2], v1 offset:128
	v_or_b32_e32 v4, 4, v7
	s_add_i32 s2, s2, 63
	v_and_b32_e32 v3, 1, v3
	s_lshr_b32 s2, s2, 6
	s_waitcnt lgkmcnt(0)
	ds_bpermute_b32 v5, v4, v2
	ds_bpermute_b32 v4, v4, v1
	v_add_u32_e32 v3, 1, v3
	v_cmp_gt_u32_e32 vcc, s2, v3
	s_waitcnt lgkmcnt(1)
	v_cndmask_b32_e32 v3, 0, v5, vcc
	s_waitcnt lgkmcnt(0)
	v_cndmask_b32_e32 v4, 0, v4, vcc
	v_add_co_u32_e32 v1, vcc, v4, v1
	v_addc_co_u32_e32 v2, vcc, v3, v2, vcc
.LBB180_532:
	s_or_b64 exec, exec, s[0:1]
.LBB180_533:
	v_mov_b32_e32 v3, s6
	v_cmp_eq_u32_e64 s[2:3], 0, v0
	v_mov_b32_e32 v4, s7
	s_branch .LBB180_591
.LBB180_534:
	s_cmp_eq_u32 s26, 16
                                        ; implicit-def: $vgpr1_vgpr2
                                        ; implicit-def: $vgpr3_vgpr4
	s_cbranch_scc0 .LBB180_591
; %bb.535:
	s_mov_b32 s7, 0
	s_lshl_b32 s2, s6, 11
	s_mov_b32 s3, s7
	s_lshr_b64 s[8:9], s[20:21], 11
	s_lshl_b64 s[0:1], s[2:3], 2
	s_add_u32 s0, s18, s0
	s_addc_u32 s1, s19, s1
	s_cmp_lg_u64 s[8:9], s[6:7]
	s_cbranch_scc0 .LBB180_541
; %bb.536:
	v_lshlrev_b32_e32 v1, 2, v0
	global_load_dword v3, v1, s[0:1] offset:1536
	global_load_dword v4, v1, s[0:1]
	global_load_dword v5, v1, s[0:1] offset:2048
	global_load_dword v6, v1, s[0:1] offset:512
	;; [unrolled: 1-line block ×6, first 2 shown]
	v_mov_b32_e32 v2, s1
	v_add_co_u32_e32 v1, vcc, s0, v1
	v_addc_co_u32_e32 v2, vcc, 0, v2, vcc
	s_movk_i32 s3, 0x1000
	v_add_co_u32_e32 v1, vcc, s3, v1
	v_addc_co_u32_e32 v2, vcc, 0, v2, vcc
	global_load_dword v11, v[1:2], off
	global_load_dword v12, v[1:2], off offset:512
	global_load_dword v13, v[1:2], off offset:1024
	;; [unrolled: 1-line block ×7, first 2 shown]
	v_mov_b32_e32 v1, 0
	s_waitcnt vmcnt(15)
	v_cmp_ne_u32_e32 vcc, 0, v3
	v_cndmask_b32_e64 v2, 0, 1, vcc
	s_waitcnt vmcnt(13)
	v_cmp_ne_u32_e32 vcc, 0, v5
	v_cndmask_b32_e64 v3, 0, 1, vcc
	s_waitcnt vmcnt(11)
	v_cmp_ne_u32_e32 vcc, 0, v7
	v_cndmask_b32_e64 v5, 0, 1, vcc
	s_waitcnt vmcnt(9)
	v_cmp_ne_u32_e32 vcc, 0, v9
	v_cndmask_b32_e64 v7, 0, 1, vcc
	s_waitcnt vmcnt(8)
	v_cmp_ne_u32_e32 vcc, 0, v10
	v_cndmask_b32_e64 v9, 0, 1, vcc
	v_cmp_ne_u32_e32 vcc, 0, v6
	v_cndmask_b32_e64 v6, 0, 1, vcc
	v_cmp_ne_u32_e32 vcc, 0, v4
	v_cndmask_b32_e64 v4, 0, 1, vcc
	v_cmp_ne_u32_e32 vcc, 0, v8
	v_addc_co_u32_e32 v4, vcc, v6, v4, vcc
	s_waitcnt vmcnt(7)
	v_cmp_ne_u32_e32 vcc, 0, v11
	v_cndmask_b32_e64 v6, 0, 1, vcc
	s_waitcnt vmcnt(6)
	v_cmp_ne_u32_e32 vcc, 0, v12
	v_cndmask_b32_e64 v8, 0, 1, vcc
	;; [unrolled: 3-line block ×8, first 2 shown]
	v_add_co_u32_e32 v2, vcc, v4, v2
	v_addc_co_u32_e64 v4, s[8:9], 0, 0, vcc
	v_add_co_u32_e32 v2, vcc, v2, v3
	v_addc_co_u32_e32 v3, vcc, 0, v4, vcc
	v_add_co_u32_e32 v2, vcc, v2, v5
	v_addc_co_u32_e32 v3, vcc, 0, v3, vcc
	;; [unrolled: 2-line block ×12, first 2 shown]
	s_nop 0
	v_mov_b32_dpp v5, v2 quad_perm:[1,0,3,2] row_mask:0xf bank_mask:0xf bound_ctrl:1
	v_add_co_u32_e32 v2, vcc, v2, v5
	v_addc_co_u32_e32 v4, vcc, 0, v4, vcc
	v_mov_b32_dpp v1, v1 quad_perm:[1,0,3,2] row_mask:0xf bank_mask:0xf bound_ctrl:1
	v_add_co_u32_e32 v5, vcc, 0, v2
	v_addc_co_u32_e32 v1, vcc, v1, v4, vcc
	v_mov_b32_dpp v2, v2 quad_perm:[2,3,0,1] row_mask:0xf bank_mask:0xf bound_ctrl:1
	v_add_co_u32_e32 v2, vcc, v5, v2
	v_mov_b32_dpp v4, v1 quad_perm:[2,3,0,1] row_mask:0xf bank_mask:0xf bound_ctrl:1
	v_addc_co_u32_e32 v1, vcc, 0, v1, vcc
	v_add_co_u32_e32 v5, vcc, 0, v2
	v_addc_co_u32_e32 v1, vcc, v1, v4, vcc
	v_mov_b32_dpp v2, v2 row_ror:4 row_mask:0xf bank_mask:0xf bound_ctrl:1
	v_add_co_u32_e32 v2, vcc, v5, v2
	v_mov_b32_dpp v4, v1 row_ror:4 row_mask:0xf bank_mask:0xf bound_ctrl:1
	v_addc_co_u32_e32 v1, vcc, 0, v1, vcc
	v_add_co_u32_e32 v5, vcc, 0, v2
	v_addc_co_u32_e32 v1, vcc, v1, v4, vcc
	v_mov_b32_dpp v2, v2 row_ror:8 row_mask:0xf bank_mask:0xf bound_ctrl:1
	v_add_co_u32_e32 v2, vcc, v5, v2
	v_mov_b32_dpp v4, v1 row_ror:8 row_mask:0xf bank_mask:0xf bound_ctrl:1
	v_addc_co_u32_e32 v1, vcc, 0, v1, vcc
	v_add_co_u32_e32 v5, vcc, 0, v2
	v_addc_co_u32_e32 v1, vcc, v1, v4, vcc
	v_mov_b32_dpp v2, v2 row_bcast:15 row_mask:0xf bank_mask:0xf bound_ctrl:1
	v_add_co_u32_e32 v2, vcc, v5, v2
	v_mov_b32_dpp v4, v1 row_bcast:15 row_mask:0xf bank_mask:0xf bound_ctrl:1
	v_addc_co_u32_e32 v1, vcc, 0, v1, vcc
	v_add_co_u32_e32 v5, vcc, 0, v2
	v_addc_co_u32_e32 v1, vcc, v1, v4, vcc
	v_mov_b32_dpp v2, v2 row_bcast:31 row_mask:0xf bank_mask:0xf bound_ctrl:1
	v_mbcnt_lo_u32_b32 v3, -1, 0
	v_add_co_u32_e32 v2, vcc, v5, v2
	v_mbcnt_hi_u32_b32 v3, -1, v3
	v_addc_co_u32_e32 v4, vcc, 0, v1, vcc
	v_cmp_eq_u32_e32 vcc, 0, v3
	s_nop 0
	v_add_u32_dpp v5, v1, v4 row_bcast:31 row_mask:0xf bank_mask:0xf bound_ctrl:1
	v_lshlrev_b32_e32 v4, 2, v3
	v_or_b32_e32 v6, 0xfc, v4
	ds_bpermute_b32 v1, v6, v2
	ds_bpermute_b32 v2, v6, v5
	s_and_saveexec_b64 s[8:9], vcc
	s_cbranch_execz .LBB180_538
; %bb.537:
	v_lshrrev_b32_e32 v5, 3, v0
	v_and_b32_e32 v5, 8, v5
	s_waitcnt lgkmcnt(0)
	ds_write_b64 v5, v[1:2] offset:16
.LBB180_538:
	s_or_b64 exec, exec, s[8:9]
	v_cmp_gt_u32_e32 vcc, 64, v0
	s_waitcnt lgkmcnt(0)
	s_barrier
	s_and_saveexec_b64 s[8:9], vcc
	s_cbranch_execz .LBB180_540
; %bb.539:
	v_and_b32_e32 v1, 1, v3
	v_lshlrev_b32_e32 v1, 3, v1
	ds_read_b64 v[1:2], v1 offset:16
	v_or_b32_e32 v3, 4, v4
	s_waitcnt lgkmcnt(0)
	ds_bpermute_b32 v4, v3, v1
	ds_bpermute_b32 v3, v3, v2
	s_waitcnt lgkmcnt(1)
	v_add_co_u32_e32 v1, vcc, v1, v4
	v_addc_co_u32_e32 v2, vcc, 0, v2, vcc
	v_add_co_u32_e32 v1, vcc, 0, v1
	s_waitcnt lgkmcnt(0)
	v_addc_co_u32_e32 v2, vcc, v2, v3, vcc
.LBB180_540:
	s_or_b64 exec, exec, s[8:9]
	s_mov_b64 s[8:9], 0
	s_branch .LBB180_542
.LBB180_541:
	s_mov_b64 s[8:9], -1
                                        ; implicit-def: $vgpr1_vgpr2
.LBB180_542:
	s_and_b64 vcc, exec, s[8:9]
	s_cbranch_vccz .LBB180_590
; %bb.543:
	s_sub_i32 s8, s20, s2
	v_cmp_gt_u32_e32 vcc, s8, v0
                                        ; implicit-def: $vgpr1_vgpr2
	s_and_saveexec_b64 s[2:3], vcc
	s_cbranch_execz .LBB180_545
; %bb.544:
	v_lshlrev_b32_e32 v1, 2, v0
	global_load_dword v1, v1, s[0:1]
	s_mov_b32 s9, 0
	v_mov_b32_e32 v2, s9
	s_waitcnt vmcnt(0)
	v_cmp_ne_u32_e32 vcc, 0, v1
	v_cndmask_b32_e64 v1, 0, 1, vcc
.LBB180_545:
	s_or_b64 exec, exec, s[2:3]
	v_or_b32_e32 v7, 0x80, v0
	v_mov_b32_e32 v3, 0
	v_mov_b32_e32 v5, 0
	v_mov_b32_e32 v4, 0
	v_mov_b32_e32 v6, 0
	v_cmp_gt_u32_e32 vcc, s8, v7
	s_and_saveexec_b64 s[2:3], vcc
	s_cbranch_execz .LBB180_547
; %bb.546:
	v_lshlrev_b32_e32 v5, 2, v0
	global_load_dword v5, v5, s[0:1] offset:512
	s_mov_b32 s9, 0
	v_mov_b32_e32 v6, s9
	s_waitcnt vmcnt(0)
	v_cmp_ne_u32_e32 vcc, 0, v5
	v_cndmask_b32_e64 v5, 0, 1, vcc
.LBB180_547:
	s_or_b64 exec, exec, s[2:3]
	v_or_b32_e32 v7, 0x100, v0
	v_cmp_gt_u32_e32 vcc, s8, v7
	s_and_saveexec_b64 s[2:3], vcc
	s_cbranch_execz .LBB180_549
; %bb.548:
	v_lshlrev_b32_e32 v3, 2, v0
	global_load_dword v3, v3, s[0:1] offset:1024
	s_mov_b32 s9, 0
	v_mov_b32_e32 v4, s9
	s_waitcnt vmcnt(0)
	v_cmp_ne_u32_e32 vcc, 0, v3
	v_cndmask_b32_e64 v3, 0, 1, vcc
.LBB180_549:
	s_or_b64 exec, exec, s[2:3]
	v_or_b32_e32 v11, 0x180, v0
	v_mov_b32_e32 v7, 0
	v_mov_b32_e32 v9, 0
	v_mov_b32_e32 v8, 0
	v_mov_b32_e32 v10, 0
	v_cmp_gt_u32_e32 vcc, s8, v11
	s_and_saveexec_b64 s[2:3], vcc
	s_cbranch_execz .LBB180_551
; %bb.550:
	v_lshlrev_b32_e32 v9, 2, v0
	global_load_dword v9, v9, s[0:1] offset:1536
	s_mov_b32 s9, 0
	v_mov_b32_e32 v10, s9
	s_waitcnt vmcnt(0)
	v_cmp_ne_u32_e32 vcc, 0, v9
	v_cndmask_b32_e64 v9, 0, 1, vcc
.LBB180_551:
	s_or_b64 exec, exec, s[2:3]
	v_or_b32_e32 v11, 0x200, v0
	v_cmp_gt_u32_e32 vcc, s8, v11
	s_and_saveexec_b64 s[2:3], vcc
	s_cbranch_execz .LBB180_553
; %bb.552:
	v_lshlrev_b32_e32 v7, 2, v0
	global_load_dword v7, v7, s[0:1] offset:2048
	s_mov_b32 s9, 0
	v_mov_b32_e32 v8, s9
	s_waitcnt vmcnt(0)
	v_cmp_ne_u32_e32 vcc, 0, v7
	v_cndmask_b32_e64 v7, 0, 1, vcc
.LBB180_553:
	;; [unrolled: 32-line block ×3, first 2 shown]
	s_or_b64 exec, exec, s[2:3]
	v_or_b32_e32 v19, 0x380, v0
	v_mov_b32_e32 v15, 0
	v_mov_b32_e32 v17, 0
	;; [unrolled: 1-line block ×4, first 2 shown]
	v_cmp_gt_u32_e32 vcc, s8, v19
	s_and_saveexec_b64 s[2:3], vcc
	s_cbranch_execz .LBB180_559
; %bb.558:
	v_lshlrev_b32_e32 v17, 2, v0
	global_load_dword v17, v17, s[0:1] offset:3584
	s_mov_b32 s9, 0
	v_mov_b32_e32 v18, s9
	s_waitcnt vmcnt(0)
	v_cmp_ne_u32_e32 vcc, 0, v17
	v_cndmask_b32_e64 v17, 0, 1, vcc
.LBB180_559:
	s_or_b64 exec, exec, s[2:3]
	v_or_b32_e32 v19, 0x400, v0
	v_cmp_gt_u32_e32 vcc, s8, v19
	s_and_saveexec_b64 s[2:3], vcc
	s_cbranch_execz .LBB180_561
; %bb.560:
	v_lshlrev_b32_e32 v15, 2, v19
	global_load_dword v15, v15, s[0:1]
	s_mov_b32 s9, 0
	v_mov_b32_e32 v16, s9
	s_waitcnt vmcnt(0)
	v_cmp_ne_u32_e32 vcc, 0, v15
	v_cndmask_b32_e64 v15, 0, 1, vcc
.LBB180_561:
	s_or_b64 exec, exec, s[2:3]
	v_or_b32_e32 v23, 0x480, v0
	v_mov_b32_e32 v19, 0
	v_mov_b32_e32 v21, 0
	v_mov_b32_e32 v20, 0
	v_mov_b32_e32 v22, 0
	v_cmp_gt_u32_e32 vcc, s8, v23
	s_and_saveexec_b64 s[2:3], vcc
	s_cbranch_execz .LBB180_563
; %bb.562:
	v_lshlrev_b32_e32 v21, 2, v23
	global_load_dword v21, v21, s[0:1]
	s_mov_b32 s9, 0
	v_mov_b32_e32 v22, s9
	s_waitcnt vmcnt(0)
	v_cmp_ne_u32_e32 vcc, 0, v21
	v_cndmask_b32_e64 v21, 0, 1, vcc
.LBB180_563:
	s_or_b64 exec, exec, s[2:3]
	v_or_b32_e32 v23, 0x500, v0
	v_cmp_gt_u32_e32 vcc, s8, v23
	s_and_saveexec_b64 s[2:3], vcc
	s_cbranch_execz .LBB180_565
; %bb.564:
	v_lshlrev_b32_e32 v19, 2, v23
	global_load_dword v19, v19, s[0:1]
	s_mov_b32 s9, 0
	v_mov_b32_e32 v20, s9
	s_waitcnt vmcnt(0)
	v_cmp_ne_u32_e32 vcc, 0, v19
	v_cndmask_b32_e64 v19, 0, 1, vcc
.LBB180_565:
	s_or_b64 exec, exec, s[2:3]
	v_or_b32_e32 v27, 0x580, v0
	v_mov_b32_e32 v23, 0
	v_mov_b32_e32 v25, 0
	v_mov_b32_e32 v24, 0
	v_mov_b32_e32 v26, 0
	v_cmp_gt_u32_e32 vcc, s8, v27
	s_and_saveexec_b64 s[2:3], vcc
	s_cbranch_execz .LBB180_567
; %bb.566:
	v_lshlrev_b32_e32 v25, 2, v27
	global_load_dword v25, v25, s[0:1]
	s_mov_b32 s9, 0
	v_mov_b32_e32 v26, s9
	s_waitcnt vmcnt(0)
	v_cmp_ne_u32_e32 vcc, 0, v25
	v_cndmask_b32_e64 v25, 0, 1, vcc
.LBB180_567:
	;; [unrolled: 32-line block ×3, first 2 shown]
	s_or_b64 exec, exec, s[2:3]
	v_or_b32_e32 v31, 0x700, v0
	v_cmp_gt_u32_e32 vcc, s8, v31
	s_and_saveexec_b64 s[2:3], vcc
	s_cbranch_execz .LBB180_573
; %bb.572:
	v_lshlrev_b32_e32 v27, 2, v31
	global_load_dword v27, v27, s[0:1]
	s_mov_b32 s9, 0
	v_mov_b32_e32 v28, s9
	s_waitcnt vmcnt(0)
	v_cmp_ne_u32_e32 vcc, 0, v27
	v_cndmask_b32_e64 v27, 0, 1, vcc
.LBB180_573:
	s_or_b64 exec, exec, s[2:3]
	v_or_b32_e32 v33, 0x780, v0
	v_mov_b32_e32 v31, 0
	v_mov_b32_e32 v32, 0
	v_cmp_gt_u32_e32 vcc, s8, v33
	s_and_saveexec_b64 s[2:3], vcc
	s_cbranch_execz .LBB180_575
; %bb.574:
	v_lshlrev_b32_e32 v31, 2, v33
	global_load_dword v31, v31, s[0:1]
	s_mov_b32 s0, 0
	v_mov_b32_e32 v32, s0
	s_waitcnt vmcnt(0)
	v_cmp_ne_u32_e32 vcc, 0, v31
	v_cndmask_b32_e64 v31, 0, 1, vcc
.LBB180_575:
	s_or_b64 exec, exec, s[2:3]
	v_add_co_u32_e32 v1, vcc, v5, v1
	v_addc_co_u32_e32 v2, vcc, v6, v2, vcc
	v_add_co_u32_e32 v1, vcc, v1, v3
	v_addc_co_u32_e32 v2, vcc, v2, v4, vcc
	;; [unrolled: 2-line block ×14, first 2 shown]
	v_mbcnt_lo_u32_b32 v3, -1, 0
	v_add_co_u32_e32 v1, vcc, v1, v31
	v_mbcnt_hi_u32_b32 v3, -1, v3
	v_addc_co_u32_e32 v2, vcc, v2, v32, vcc
	v_and_b32_e32 v4, 63, v3
	v_cmp_ne_u32_e32 vcc, 63, v4
	v_addc_co_u32_e32 v6, vcc, 0, v3, vcc
	v_lshlrev_b32_e32 v6, 2, v6
	ds_bpermute_b32 v8, v6, v1
	ds_bpermute_b32 v7, v6, v2
	s_min_u32 s2, s8, 0x80
	v_and_b32_e32 v5, 64, v0
	v_sub_u32_e64 v5, s2, v5 clamp
	v_add_u32_e32 v6, 1, v4
	v_cmp_lt_u32_e32 vcc, v6, v5
	v_mov_b32_e32 v6, v1
	s_and_saveexec_b64 s[0:1], vcc
	s_cbranch_execz .LBB180_577
; %bb.576:
	s_waitcnt lgkmcnt(1)
	v_add_co_u32_e32 v6, vcc, v1, v8
	v_addc_co_u32_e32 v2, vcc, 0, v2, vcc
	v_add_co_u32_e32 v1, vcc, 0, v6
	s_waitcnt lgkmcnt(0)
	v_addc_co_u32_e32 v2, vcc, v7, v2, vcc
.LBB180_577:
	s_or_b64 exec, exec, s[0:1]
	v_cmp_gt_u32_e32 vcc, 62, v4
	s_waitcnt lgkmcnt(0)
	v_cndmask_b32_e64 v7, 0, 2, vcc
	v_add_lshl_u32 v7, v7, v3, 2
	ds_bpermute_b32 v8, v7, v6
	ds_bpermute_b32 v7, v7, v2
	v_add_u32_e32 v9, 2, v4
	v_cmp_lt_u32_e32 vcc, v9, v5
	s_and_saveexec_b64 s[0:1], vcc
	s_cbranch_execz .LBB180_579
; %bb.578:
	s_waitcnt lgkmcnt(1)
	v_add_co_u32_e32 v6, vcc, v1, v8
	v_addc_co_u32_e32 v2, vcc, 0, v2, vcc
	v_add_co_u32_e32 v1, vcc, 0, v6
	s_waitcnt lgkmcnt(0)
	v_addc_co_u32_e32 v2, vcc, v7, v2, vcc
.LBB180_579:
	s_or_b64 exec, exec, s[0:1]
	v_cmp_gt_u32_e32 vcc, 60, v4
	s_waitcnt lgkmcnt(0)
	v_cndmask_b32_e64 v7, 0, 4, vcc
	v_add_lshl_u32 v7, v7, v3, 2
	ds_bpermute_b32 v8, v7, v6
	ds_bpermute_b32 v7, v7, v2
	v_add_u32_e32 v9, 4, v4
	v_cmp_lt_u32_e32 vcc, v9, v5
	;; [unrolled: 19-line block ×4, first 2 shown]
	s_and_saveexec_b64 s[0:1], vcc
	s_cbranch_execz .LBB180_585
; %bb.584:
	s_waitcnt lgkmcnt(1)
	v_add_co_u32_e32 v6, vcc, v1, v8
	v_addc_co_u32_e32 v2, vcc, 0, v2, vcc
	v_add_co_u32_e32 v1, vcc, 0, v6
	s_waitcnt lgkmcnt(0)
	v_addc_co_u32_e32 v2, vcc, v7, v2, vcc
.LBB180_585:
	s_or_b64 exec, exec, s[0:1]
	s_waitcnt lgkmcnt(0)
	v_lshlrev_b32_e32 v7, 2, v3
	v_or_b32_e32 v8, 0x80, v7
	ds_bpermute_b32 v6, v8, v6
	ds_bpermute_b32 v8, v8, v2
	v_add_u32_e32 v4, 32, v4
	s_waitcnt lgkmcnt(1)
	v_add_co_u32_e32 v6, vcc, v1, v6
	v_addc_co_u32_e32 v9, vcc, 0, v2, vcc
	v_add_co_u32_e32 v6, vcc, 0, v6
	s_waitcnt lgkmcnt(0)
	v_addc_co_u32_e32 v8, vcc, v9, v8, vcc
	v_cmp_lt_u32_e32 vcc, v4, v5
	v_cndmask_b32_e32 v2, v2, v8, vcc
	v_cndmask_b32_e32 v1, v1, v6, vcc
	v_cmp_eq_u32_e32 vcc, 0, v3
	s_and_saveexec_b64 s[0:1], vcc
; %bb.586:
	v_lshrrev_b32_e32 v4, 3, v0
	v_and_b32_e32 v4, 8, v4
	ds_write_b64 v4, v[1:2] offset:128
; %bb.587:
	s_or_b64 exec, exec, s[0:1]
	v_cmp_gt_u32_e32 vcc, 2, v0
	s_waitcnt lgkmcnt(0)
	s_barrier
	s_and_saveexec_b64 s[0:1], vcc
	s_cbranch_execz .LBB180_589
; %bb.588:
	v_lshlrev_b32_e32 v1, 3, v3
	ds_read_b64 v[1:2], v1 offset:128
	v_or_b32_e32 v4, 4, v7
	s_add_i32 s2, s2, 63
	v_and_b32_e32 v3, 1, v3
	s_lshr_b32 s2, s2, 6
	s_waitcnt lgkmcnt(0)
	ds_bpermute_b32 v5, v4, v2
	ds_bpermute_b32 v4, v4, v1
	v_add_u32_e32 v3, 1, v3
	v_cmp_gt_u32_e32 vcc, s2, v3
	s_waitcnt lgkmcnt(1)
	v_cndmask_b32_e32 v3, 0, v5, vcc
	s_waitcnt lgkmcnt(0)
	v_cndmask_b32_e32 v4, 0, v4, vcc
	v_add_co_u32_e32 v1, vcc, v4, v1
	v_addc_co_u32_e32 v2, vcc, v3, v2, vcc
.LBB180_589:
	s_or_b64 exec, exec, s[0:1]
.LBB180_590:
	v_mov_b32_e32 v3, s6
	v_cmp_eq_u32_e64 s[2:3], 0, v0
	v_mov_b32_e32 v4, s7
.LBB180_591:
	s_branch .LBB180_731
.LBB180_592:
	s_cmp_gt_i32 s26, 3
	s_cbranch_scc0 .LBB180_601
; %bb.593:
	s_cmp_gt_i32 s26, 7
	s_cbranch_scc0 .LBB180_602
; %bb.594:
	s_cmp_eq_u32 s26, 8
                                        ; implicit-def: $vgpr1_vgpr2
                                        ; implicit-def: $vgpr3_vgpr4
	s_cbranch_scc0 .LBB180_603
; %bb.595:
	s_mov_b32 s7, 0
	s_lshl_b32 s0, s6, 10
	s_mov_b32 s1, s7
	s_lshr_b64 s[2:3], s[20:21], 10
	s_lshl_b64 s[8:9], s[0:1], 2
	s_add_u32 s16, s18, s8
	s_addc_u32 s17, s19, s9
	s_cmp_lg_u64 s[2:3], s[6:7]
	s_cbranch_scc0 .LBB180_604
; %bb.596:
	v_lshlrev_b32_e32 v1, 2, v0
	global_load_dword v2, v1, s[16:17] offset:1536
	global_load_dword v4, v1, s[16:17] offset:2048
	;; [unrolled: 1-line block ×6, first 2 shown]
	global_load_dword v9, v1, s[16:17]
	global_load_dword v10, v1, s[16:17] offset:1024
	v_mov_b32_e32 v1, 0
	v_mbcnt_lo_u32_b32 v3, -1, 0
	v_mbcnt_hi_u32_b32 v3, -1, v3
	v_mov_b32_dpp v1, v1 quad_perm:[1,0,3,2] row_mask:0xf bank_mask:0xf bound_ctrl:1
	s_waitcnt vmcnt(7)
	v_cmp_ne_u32_e32 vcc, 0, v2
	v_cndmask_b32_e64 v2, 0, 1, vcc
	s_waitcnt vmcnt(6)
	v_cmp_ne_u32_e32 vcc, 0, v4
	v_cndmask_b32_e64 v4, 0, 1, vcc
	;; [unrolled: 3-line block ×7, first 2 shown]
	s_waitcnt vmcnt(0)
	v_cmp_ne_u32_e32 vcc, 0, v10
	v_addc_co_u32_e32 v8, vcc, v8, v9, vcc
	v_add_co_u32_e32 v2, vcc, v8, v2
	v_addc_co_u32_e64 v8, s[2:3], 0, 0, vcc
	v_add_co_u32_e32 v2, vcc, v2, v4
	v_addc_co_u32_e32 v4, vcc, 0, v8, vcc
	v_add_co_u32_e32 v2, vcc, v2, v5
	v_addc_co_u32_e32 v4, vcc, 0, v4, vcc
	v_add_co_u32_e32 v2, vcc, v2, v6
	v_addc_co_u32_e32 v4, vcc, 0, v4, vcc
	v_add_co_u32_e32 v2, vcc, v2, v7
	v_addc_co_u32_e32 v4, vcc, 0, v4, vcc
	s_nop 0
	v_mov_b32_dpp v5, v2 quad_perm:[1,0,3,2] row_mask:0xf bank_mask:0xf bound_ctrl:1
	v_add_co_u32_e32 v2, vcc, v2, v5
	v_addc_co_u32_e32 v4, vcc, 0, v4, vcc
	v_add_co_u32_e32 v5, vcc, 0, v2
	v_addc_co_u32_e32 v1, vcc, v1, v4, vcc
	v_mov_b32_dpp v2, v2 quad_perm:[2,3,0,1] row_mask:0xf bank_mask:0xf bound_ctrl:1
	v_add_co_u32_e32 v2, vcc, v5, v2
	v_mov_b32_dpp v4, v1 quad_perm:[2,3,0,1] row_mask:0xf bank_mask:0xf bound_ctrl:1
	v_addc_co_u32_e32 v1, vcc, 0, v1, vcc
	v_add_co_u32_e32 v5, vcc, 0, v2
	v_addc_co_u32_e32 v1, vcc, v1, v4, vcc
	v_mov_b32_dpp v2, v2 row_ror:4 row_mask:0xf bank_mask:0xf bound_ctrl:1
	v_add_co_u32_e32 v2, vcc, v5, v2
	v_mov_b32_dpp v4, v1 row_ror:4 row_mask:0xf bank_mask:0xf bound_ctrl:1
	v_addc_co_u32_e32 v1, vcc, 0, v1, vcc
	v_add_co_u32_e32 v5, vcc, 0, v2
	v_addc_co_u32_e32 v1, vcc, v1, v4, vcc
	v_mov_b32_dpp v2, v2 row_ror:8 row_mask:0xf bank_mask:0xf bound_ctrl:1
	v_add_co_u32_e32 v2, vcc, v5, v2
	v_mov_b32_dpp v4, v1 row_ror:8 row_mask:0xf bank_mask:0xf bound_ctrl:1
	v_addc_co_u32_e32 v1, vcc, 0, v1, vcc
	v_add_co_u32_e32 v5, vcc, 0, v2
	v_addc_co_u32_e32 v1, vcc, v1, v4, vcc
	v_mov_b32_dpp v2, v2 row_bcast:15 row_mask:0xf bank_mask:0xf bound_ctrl:1
	v_add_co_u32_e32 v2, vcc, v5, v2
	v_mov_b32_dpp v4, v1 row_bcast:15 row_mask:0xf bank_mask:0xf bound_ctrl:1
	v_addc_co_u32_e32 v1, vcc, 0, v1, vcc
	v_add_co_u32_e32 v5, vcc, 0, v2
	v_addc_co_u32_e32 v1, vcc, v1, v4, vcc
	v_mov_b32_dpp v2, v2 row_bcast:31 row_mask:0xf bank_mask:0xf bound_ctrl:1
	v_add_co_u32_e32 v2, vcc, v5, v2
	v_addc_co_u32_e32 v4, vcc, 0, v1, vcc
	v_cmp_eq_u32_e32 vcc, 0, v3
	s_nop 0
	v_add_u32_dpp v5, v1, v4 row_bcast:31 row_mask:0xf bank_mask:0xf bound_ctrl:1
	v_lshlrev_b32_e32 v4, 2, v3
	v_or_b32_e32 v6, 0xfc, v4
	ds_bpermute_b32 v1, v6, v2
	ds_bpermute_b32 v2, v6, v5
	s_and_saveexec_b64 s[2:3], vcc
	s_cbranch_execz .LBB180_598
; %bb.597:
	v_lshrrev_b32_e32 v5, 3, v0
	v_and_b32_e32 v5, 8, v5
	s_waitcnt lgkmcnt(0)
	ds_write_b64 v5, v[1:2] offset:112
.LBB180_598:
	s_or_b64 exec, exec, s[2:3]
	v_cmp_gt_u32_e32 vcc, 64, v0
	s_waitcnt lgkmcnt(0)
	s_barrier
	s_and_saveexec_b64 s[2:3], vcc
	s_cbranch_execz .LBB180_600
; %bb.599:
	v_and_b32_e32 v1, 1, v3
	v_lshlrev_b32_e32 v1, 3, v1
	ds_read_b64 v[1:2], v1 offset:112
	v_or_b32_e32 v3, 4, v4
	s_waitcnt lgkmcnt(0)
	ds_bpermute_b32 v4, v3, v1
	ds_bpermute_b32 v3, v3, v2
	s_waitcnt lgkmcnt(1)
	v_add_co_u32_e32 v1, vcc, v1, v4
	v_addc_co_u32_e32 v2, vcc, 0, v2, vcc
	v_add_co_u32_e32 v1, vcc, 0, v1
	s_waitcnt lgkmcnt(0)
	v_addc_co_u32_e32 v2, vcc, v2, v3, vcc
.LBB180_600:
	s_or_b64 exec, exec, s[2:3]
	s_mov_b64 s[2:3], 0
	s_branch .LBB180_605
.LBB180_601:
                                        ; implicit-def: $vgpr1_vgpr2
                                        ; implicit-def: $vgpr3_vgpr4
	s_cbranch_execnz .LBB180_672
	s_branch .LBB180_731
.LBB180_602:
                                        ; implicit-def: $vgpr1_vgpr2
                                        ; implicit-def: $vgpr3_vgpr4
	s_cbranch_execnz .LBB180_638
	s_branch .LBB180_671
.LBB180_603:
	s_branch .LBB180_671
.LBB180_604:
	s_mov_b64 s[2:3], -1
                                        ; implicit-def: $vgpr1_vgpr2
.LBB180_605:
	s_and_b64 vcc, exec, s[2:3]
	s_cbranch_vccz .LBB180_637
; %bb.606:
	s_sub_i32 s27, s20, s0
	v_mov_b32_e32 v1, 0
	v_cmp_gt_u32_e32 vcc, s27, v0
	v_mov_b32_e32 v2, v1
	v_mov_b32_e32 v3, v1
	;; [unrolled: 1-line block ×15, first 2 shown]
	s_and_saveexec_b64 s[0:1], vcc
	s_cbranch_execz .LBB180_608
; %bb.607:
	v_lshlrev_b32_e32 v2, 2, v0
	global_load_dword v17, v2, s[16:17]
	v_mov_b32_e32 v2, v1
	v_mov_b32_e32 v3, v1
	v_mov_b32_e32 v4, v1
	v_mov_b32_e32 v5, v1
	v_mov_b32_e32 v6, v1
	v_mov_b32_e32 v7, v1
	v_mov_b32_e32 v8, v1
	v_mov_b32_e32 v9, v1
	v_mov_b32_e32 v10, v1
	v_mov_b32_e32 v11, v1
	v_mov_b32_e32 v12, v1
	v_mov_b32_e32 v13, v1
	v_mov_b32_e32 v14, v1
	v_mov_b32_e32 v15, v1
	v_mov_b32_e32 v16, v1
	s_waitcnt vmcnt(0)
	v_cmp_ne_u32_e32 vcc, 0, v17
	v_cndmask_b32_e64 v1, 0, 1, vcc
	v_and_b32_e32 v1, 0xffff, v1
.LBB180_608:
	s_or_b64 exec, exec, s[0:1]
	v_or_b32_e32 v17, 0x80, v0
	v_cmp_gt_u32_e32 vcc, s27, v17
	s_and_saveexec_b64 s[2:3], vcc
	s_cbranch_execz .LBB180_610
; %bb.609:
	v_lshlrev_b32_e32 v3, 2, v0
	global_load_dword v3, v3, s[16:17] offset:512
	s_mov_b32 s8, 0
	v_mov_b32_e32 v4, s8
	s_waitcnt vmcnt(0)
	v_cmp_ne_u32_e64 s[0:1], 0, v3
	v_cndmask_b32_e64 v3, 0, 1, s[0:1]
.LBB180_610:
	s_or_b64 exec, exec, s[2:3]
	v_or_b32_e32 v17, 0x100, v0
	v_cmp_gt_u32_e64 s[0:1], s27, v17
	s_and_saveexec_b64 s[8:9], s[0:1]
	s_cbranch_execz .LBB180_612
; %bb.611:
	v_lshlrev_b32_e32 v5, 2, v0
	global_load_dword v5, v5, s[16:17] offset:1024
	s_mov_b32 s10, 0
	v_mov_b32_e32 v6, s10
	s_waitcnt vmcnt(0)
	v_cmp_ne_u32_e64 s[2:3], 0, v5
	v_cndmask_b32_e64 v5, 0, 1, s[2:3]
.LBB180_612:
	s_or_b64 exec, exec, s[8:9]
	v_or_b32_e32 v17, 0x180, v0
	v_cmp_gt_u32_e64 s[2:3], s27, v17
	s_and_saveexec_b64 s[10:11], s[2:3]
	;; [unrolled: 14-line block ×6, first 2 shown]
	s_cbranch_execz .LBB180_622
; %bb.621:
	v_lshlrev_b32_e32 v15, 2, v0
	global_load_dword v15, v15, s[16:17] offset:3584
	s_mov_b32 s28, 0
	v_mov_b32_e32 v16, s28
	s_waitcnt vmcnt(0)
	v_cmp_ne_u32_e64 s[16:17], 0, v15
	v_cndmask_b32_e64 v15, 0, 1, s[16:17]
.LBB180_622:
	s_or_b64 exec, exec, s[24:25]
	v_cndmask_b32_e32 v3, 0, v3, vcc
	v_cndmask_b32_e32 v4, 0, v4, vcc
	v_add_co_u32_e32 v1, vcc, v3, v1
	v_addc_co_u32_e32 v2, vcc, v4, v2, vcc
	v_cndmask_b32_e64 v4, 0, v5, s[0:1]
	v_cndmask_b32_e64 v3, 0, v6, s[0:1]
	v_add_co_u32_e32 v1, vcc, v1, v4
	v_addc_co_u32_e32 v2, vcc, v2, v3, vcc
	v_cndmask_b32_e64 v4, 0, v7, s[2:3]
	v_cndmask_b32_e64 v3, 0, v8, s[2:3]
	;; [unrolled: 4-line block ×6, first 2 shown]
	v_add_co_u32_e32 v1, vcc, v1, v4
	v_addc_co_u32_e32 v2, vcc, v2, v3, vcc
	v_mbcnt_lo_u32_b32 v3, -1, 0
	v_mbcnt_hi_u32_b32 v3, -1, v3
	v_and_b32_e32 v4, 63, v3
	v_cmp_ne_u32_e32 vcc, 63, v4
	v_addc_co_u32_e32 v6, vcc, 0, v3, vcc
	v_lshlrev_b32_e32 v6, 2, v6
	ds_bpermute_b32 v8, v6, v1
	ds_bpermute_b32 v7, v6, v2
	s_min_u32 s2, s27, 0x80
	v_and_b32_e32 v5, 64, v0
	v_sub_u32_e64 v5, s2, v5 clamp
	v_add_u32_e32 v6, 1, v4
	v_cmp_lt_u32_e32 vcc, v6, v5
	v_mov_b32_e32 v6, v1
	s_and_saveexec_b64 s[0:1], vcc
	s_cbranch_execz .LBB180_624
; %bb.623:
	s_waitcnt lgkmcnt(1)
	v_add_co_u32_e32 v6, vcc, v1, v8
	v_addc_co_u32_e32 v2, vcc, 0, v2, vcc
	v_add_co_u32_e32 v1, vcc, 0, v6
	s_waitcnt lgkmcnt(0)
	v_addc_co_u32_e32 v2, vcc, v2, v7, vcc
.LBB180_624:
	s_or_b64 exec, exec, s[0:1]
	v_cmp_gt_u32_e32 vcc, 62, v4
	s_waitcnt lgkmcnt(0)
	v_cndmask_b32_e64 v7, 0, 2, vcc
	v_add_lshl_u32 v7, v7, v3, 2
	ds_bpermute_b32 v8, v7, v6
	ds_bpermute_b32 v7, v7, v2
	v_add_u32_e32 v9, 2, v4
	v_cmp_lt_u32_e32 vcc, v9, v5
	s_and_saveexec_b64 s[0:1], vcc
	s_cbranch_execz .LBB180_626
; %bb.625:
	s_waitcnt lgkmcnt(1)
	v_add_co_u32_e32 v6, vcc, v1, v8
	v_addc_co_u32_e32 v2, vcc, 0, v2, vcc
	v_add_co_u32_e32 v1, vcc, 0, v6
	s_waitcnt lgkmcnt(0)
	v_addc_co_u32_e32 v2, vcc, v7, v2, vcc
.LBB180_626:
	s_or_b64 exec, exec, s[0:1]
	v_cmp_gt_u32_e32 vcc, 60, v4
	s_waitcnt lgkmcnt(0)
	v_cndmask_b32_e64 v7, 0, 4, vcc
	v_add_lshl_u32 v7, v7, v3, 2
	ds_bpermute_b32 v8, v7, v6
	ds_bpermute_b32 v7, v7, v2
	v_add_u32_e32 v9, 4, v4
	v_cmp_lt_u32_e32 vcc, v9, v5
	;; [unrolled: 19-line block ×4, first 2 shown]
	s_and_saveexec_b64 s[0:1], vcc
	s_cbranch_execz .LBB180_632
; %bb.631:
	s_waitcnt lgkmcnt(1)
	v_add_co_u32_e32 v6, vcc, v1, v8
	v_addc_co_u32_e32 v2, vcc, 0, v2, vcc
	v_add_co_u32_e32 v1, vcc, 0, v6
	s_waitcnt lgkmcnt(0)
	v_addc_co_u32_e32 v2, vcc, v7, v2, vcc
.LBB180_632:
	s_or_b64 exec, exec, s[0:1]
	s_waitcnt lgkmcnt(0)
	v_lshlrev_b32_e32 v7, 2, v3
	v_or_b32_e32 v8, 0x80, v7
	ds_bpermute_b32 v6, v8, v6
	ds_bpermute_b32 v8, v8, v2
	v_add_u32_e32 v4, 32, v4
	s_waitcnt lgkmcnt(1)
	v_add_co_u32_e32 v6, vcc, v1, v6
	v_addc_co_u32_e32 v9, vcc, 0, v2, vcc
	v_add_co_u32_e32 v6, vcc, 0, v6
	s_waitcnt lgkmcnt(0)
	v_addc_co_u32_e32 v8, vcc, v9, v8, vcc
	v_cmp_lt_u32_e32 vcc, v4, v5
	v_cndmask_b32_e32 v2, v2, v8, vcc
	v_cndmask_b32_e32 v1, v1, v6, vcc
	v_cmp_eq_u32_e32 vcc, 0, v3
	s_and_saveexec_b64 s[0:1], vcc
; %bb.633:
	v_lshrrev_b32_e32 v4, 3, v0
	v_and_b32_e32 v4, 8, v4
	ds_write_b64 v4, v[1:2] offset:128
; %bb.634:
	s_or_b64 exec, exec, s[0:1]
	v_cmp_gt_u32_e32 vcc, 2, v0
	s_waitcnt lgkmcnt(0)
	s_barrier
	s_and_saveexec_b64 s[0:1], vcc
	s_cbranch_execz .LBB180_636
; %bb.635:
	v_lshlrev_b32_e32 v1, 3, v3
	ds_read_b64 v[1:2], v1 offset:128
	v_or_b32_e32 v4, 4, v7
	s_add_i32 s2, s2, 63
	v_and_b32_e32 v3, 1, v3
	s_lshr_b32 s2, s2, 6
	s_waitcnt lgkmcnt(0)
	ds_bpermute_b32 v5, v4, v2
	ds_bpermute_b32 v4, v4, v1
	v_add_u32_e32 v3, 1, v3
	v_cmp_gt_u32_e32 vcc, s2, v3
	s_waitcnt lgkmcnt(1)
	v_cndmask_b32_e32 v3, 0, v5, vcc
	s_waitcnt lgkmcnt(0)
	v_cndmask_b32_e32 v4, 0, v4, vcc
	v_add_co_u32_e32 v1, vcc, v4, v1
	v_addc_co_u32_e32 v2, vcc, v3, v2, vcc
.LBB180_636:
	s_or_b64 exec, exec, s[0:1]
.LBB180_637:
	v_mov_b32_e32 v3, s6
	v_cmp_eq_u32_e64 s[2:3], 0, v0
	v_mov_b32_e32 v4, s7
	s_branch .LBB180_671
.LBB180_638:
	s_cmp_eq_u32 s26, 4
                                        ; implicit-def: $vgpr1_vgpr2
                                        ; implicit-def: $vgpr3_vgpr4
	s_cbranch_scc0 .LBB180_671
; %bb.639:
	s_mov_b32 s7, 0
	s_lshl_b32 s0, s6, 9
	s_mov_b32 s1, s7
	s_lshr_b64 s[2:3], s[20:21], 9
	s_lshl_b64 s[8:9], s[0:1], 2
	s_add_u32 s8, s18, s8
	s_addc_u32 s9, s19, s9
	s_cmp_lg_u64 s[2:3], s[6:7]
	s_cbranch_scc0 .LBB180_645
; %bb.640:
	v_lshlrev_b32_e32 v1, 2, v0
	global_load_dword v2, v1, s[8:9] offset:1536
	global_load_dword v5, v1, s[8:9] offset:512
	global_load_dword v6, v1, s[8:9]
	global_load_dword v7, v1, s[8:9] offset:1024
	v_mov_b32_e32 v1, 0
	v_mbcnt_lo_u32_b32 v3, -1, 0
	v_mbcnt_hi_u32_b32 v3, -1, v3
	v_mov_b32_dpp v1, v1 quad_perm:[1,0,3,2] row_mask:0xf bank_mask:0xf bound_ctrl:1
	v_lshlrev_b32_e32 v4, 2, v3
	v_or_b32_e32 v8, 0xfc, v4
	s_waitcnt vmcnt(3)
	v_cmp_ne_u32_e32 vcc, 0, v2
	v_cndmask_b32_e64 v2, 0, 1, vcc
	s_waitcnt vmcnt(2)
	v_cmp_ne_u32_e32 vcc, 0, v5
	v_cndmask_b32_e64 v5, 0, 1, vcc
	s_waitcnt vmcnt(1)
	v_cmp_ne_u32_e32 vcc, 0, v6
	v_cndmask_b32_e64 v6, 0, 1, vcc
	s_waitcnt vmcnt(0)
	v_cmp_ne_u32_e32 vcc, 0, v7
	v_addc_co_u32_e32 v5, vcc, v5, v6, vcc
	v_add_co_u32_e32 v2, vcc, v5, v2
	v_addc_co_u32_e64 v5, s[2:3], 0, 0, vcc
	s_nop 0
	v_mov_b32_dpp v6, v2 quad_perm:[1,0,3,2] row_mask:0xf bank_mask:0xf bound_ctrl:1
	v_add_co_u32_e32 v2, vcc, v2, v6
	v_addc_co_u32_e32 v5, vcc, 0, v5, vcc
	v_add_co_u32_e32 v6, vcc, 0, v2
	v_addc_co_u32_e32 v1, vcc, v1, v5, vcc
	v_mov_b32_dpp v2, v2 quad_perm:[2,3,0,1] row_mask:0xf bank_mask:0xf bound_ctrl:1
	v_add_co_u32_e32 v2, vcc, v6, v2
	v_mov_b32_dpp v5, v1 quad_perm:[2,3,0,1] row_mask:0xf bank_mask:0xf bound_ctrl:1
	v_addc_co_u32_e32 v1, vcc, 0, v1, vcc
	v_add_co_u32_e32 v6, vcc, 0, v2
	v_addc_co_u32_e32 v1, vcc, v1, v5, vcc
	v_mov_b32_dpp v2, v2 row_ror:4 row_mask:0xf bank_mask:0xf bound_ctrl:1
	v_add_co_u32_e32 v2, vcc, v6, v2
	v_mov_b32_dpp v5, v1 row_ror:4 row_mask:0xf bank_mask:0xf bound_ctrl:1
	v_addc_co_u32_e32 v1, vcc, 0, v1, vcc
	v_add_co_u32_e32 v6, vcc, 0, v2
	v_addc_co_u32_e32 v1, vcc, v1, v5, vcc
	v_mov_b32_dpp v2, v2 row_ror:8 row_mask:0xf bank_mask:0xf bound_ctrl:1
	v_add_co_u32_e32 v2, vcc, v6, v2
	v_mov_b32_dpp v5, v1 row_ror:8 row_mask:0xf bank_mask:0xf bound_ctrl:1
	v_addc_co_u32_e32 v1, vcc, 0, v1, vcc
	v_add_co_u32_e32 v6, vcc, 0, v2
	v_addc_co_u32_e32 v1, vcc, v1, v5, vcc
	v_mov_b32_dpp v2, v2 row_bcast:15 row_mask:0xf bank_mask:0xf bound_ctrl:1
	v_add_co_u32_e32 v2, vcc, v6, v2
	v_mov_b32_dpp v5, v1 row_bcast:15 row_mask:0xf bank_mask:0xf bound_ctrl:1
	v_addc_co_u32_e32 v1, vcc, 0, v1, vcc
	v_add_co_u32_e32 v6, vcc, 0, v2
	v_addc_co_u32_e32 v1, vcc, v1, v5, vcc
	v_mov_b32_dpp v2, v2 row_bcast:31 row_mask:0xf bank_mask:0xf bound_ctrl:1
	v_add_co_u32_e32 v2, vcc, v6, v2
	v_addc_co_u32_e32 v5, vcc, 0, v1, vcc
	v_cmp_eq_u32_e32 vcc, 0, v3
	s_nop 0
	v_add_u32_dpp v5, v1, v5 row_bcast:31 row_mask:0xf bank_mask:0xf bound_ctrl:1
	ds_bpermute_b32 v1, v8, v2
	ds_bpermute_b32 v2, v8, v5
	s_and_saveexec_b64 s[2:3], vcc
	s_cbranch_execz .LBB180_642
; %bb.641:
	v_lshrrev_b32_e32 v5, 3, v0
	v_and_b32_e32 v5, 8, v5
	s_waitcnt lgkmcnt(0)
	ds_write_b64 v5, v[1:2] offset:80
.LBB180_642:
	s_or_b64 exec, exec, s[2:3]
	v_cmp_gt_u32_e32 vcc, 64, v0
	s_waitcnt lgkmcnt(0)
	s_barrier
	s_and_saveexec_b64 s[2:3], vcc
	s_cbranch_execz .LBB180_644
; %bb.643:
	v_and_b32_e32 v1, 1, v3
	v_lshlrev_b32_e32 v1, 3, v1
	ds_read_b64 v[1:2], v1 offset:80
	v_or_b32_e32 v3, 4, v4
	s_waitcnt lgkmcnt(0)
	ds_bpermute_b32 v4, v3, v1
	ds_bpermute_b32 v3, v3, v2
	s_waitcnt lgkmcnt(1)
	v_add_co_u32_e32 v1, vcc, v1, v4
	v_addc_co_u32_e32 v2, vcc, 0, v2, vcc
	v_add_co_u32_e32 v1, vcc, 0, v1
	s_waitcnt lgkmcnt(0)
	v_addc_co_u32_e32 v2, vcc, v2, v3, vcc
.LBB180_644:
	s_or_b64 exec, exec, s[2:3]
	s_mov_b64 s[2:3], 0
	s_branch .LBB180_646
.LBB180_645:
	s_mov_b64 s[2:3], -1
                                        ; implicit-def: $vgpr1_vgpr2
.LBB180_646:
	s_and_b64 vcc, exec, s[2:3]
	s_cbranch_vccz .LBB180_670
; %bb.647:
	s_sub_i32 s12, s20, s0
	v_mov_b32_e32 v1, 0
	v_cmp_gt_u32_e32 vcc, s12, v0
	v_mov_b32_e32 v2, v1
	v_mov_b32_e32 v3, v1
	;; [unrolled: 1-line block ×7, first 2 shown]
	s_and_saveexec_b64 s[0:1], vcc
	s_cbranch_execz .LBB180_649
; %bb.648:
	v_lshlrev_b32_e32 v2, 2, v0
	global_load_dword v2, v2, s[8:9]
	v_mov_b32_e32 v3, v1
	v_mov_b32_e32 v4, v1
	;; [unrolled: 1-line block ×7, first 2 shown]
	s_waitcnt vmcnt(0)
	v_cmp_ne_u32_e32 vcc, 0, v2
	v_cndmask_b32_e64 v2, 0, 1, vcc
	v_and_b32_e32 v2, 0xffff, v2
	v_mov_b32_e32 v1, v2
	v_mov_b32_e32 v2, v3
	;; [unrolled: 1-line block ×8, first 2 shown]
.LBB180_649:
	s_or_b64 exec, exec, s[0:1]
	v_or_b32_e32 v9, 0x80, v0
	v_cmp_gt_u32_e32 vcc, s12, v9
	s_and_saveexec_b64 s[2:3], vcc
	s_cbranch_execz .LBB180_651
; %bb.650:
	v_lshlrev_b32_e32 v3, 2, v0
	global_load_dword v3, v3, s[8:9] offset:512
	s_mov_b32 s10, 0
	v_mov_b32_e32 v4, s10
	s_waitcnt vmcnt(0)
	v_cmp_ne_u32_e64 s[0:1], 0, v3
	v_cndmask_b32_e64 v3, 0, 1, s[0:1]
.LBB180_651:
	s_or_b64 exec, exec, s[2:3]
	v_or_b32_e32 v9, 0x100, v0
	v_cmp_gt_u32_e64 s[0:1], s12, v9
	s_and_saveexec_b64 s[10:11], s[0:1]
	s_cbranch_execz .LBB180_653
; %bb.652:
	v_lshlrev_b32_e32 v5, 2, v0
	global_load_dword v5, v5, s[8:9] offset:1024
	s_mov_b32 s13, 0
	v_mov_b32_e32 v6, s13
	s_waitcnt vmcnt(0)
	v_cmp_ne_u32_e64 s[2:3], 0, v5
	v_cndmask_b32_e64 v5, 0, 1, s[2:3]
.LBB180_653:
	s_or_b64 exec, exec, s[10:11]
	v_or_b32_e32 v9, 0x180, v0
	v_cmp_gt_u32_e64 s[2:3], s12, v9
	s_and_saveexec_b64 s[10:11], s[2:3]
	s_cbranch_execz .LBB180_655
; %bb.654:
	v_lshlrev_b32_e32 v7, 2, v0
	global_load_dword v7, v7, s[8:9] offset:1536
	s_mov_b32 s13, 0
	v_mov_b32_e32 v8, s13
	s_waitcnt vmcnt(0)
	v_cmp_ne_u32_e64 s[8:9], 0, v7
	v_cndmask_b32_e64 v7, 0, 1, s[8:9]
.LBB180_655:
	s_or_b64 exec, exec, s[10:11]
	v_cndmask_b32_e32 v3, 0, v3, vcc
	v_cndmask_b32_e32 v4, 0, v4, vcc
	v_add_co_u32_e32 v1, vcc, v3, v1
	v_addc_co_u32_e32 v2, vcc, v4, v2, vcc
	v_cndmask_b32_e64 v4, 0, v5, s[0:1]
	v_cndmask_b32_e64 v3, 0, v6, s[0:1]
	v_add_co_u32_e32 v1, vcc, v1, v4
	v_addc_co_u32_e32 v2, vcc, v2, v3, vcc
	v_cndmask_b32_e64 v4, 0, v7, s[2:3]
	v_cndmask_b32_e64 v3, 0, v8, s[2:3]
	v_add_co_u32_e32 v1, vcc, v1, v4
	v_addc_co_u32_e32 v2, vcc, v2, v3, vcc
	v_mbcnt_lo_u32_b32 v3, -1, 0
	v_mbcnt_hi_u32_b32 v3, -1, v3
	v_and_b32_e32 v4, 63, v3
	v_cmp_ne_u32_e32 vcc, 63, v4
	v_addc_co_u32_e32 v6, vcc, 0, v3, vcc
	v_lshlrev_b32_e32 v6, 2, v6
	ds_bpermute_b32 v8, v6, v1
	ds_bpermute_b32 v7, v6, v2
	s_min_u32 s2, s12, 0x80
	v_and_b32_e32 v5, 64, v0
	v_sub_u32_e64 v5, s2, v5 clamp
	v_add_u32_e32 v6, 1, v4
	v_cmp_lt_u32_e32 vcc, v6, v5
	v_mov_b32_e32 v6, v1
	s_and_saveexec_b64 s[0:1], vcc
	s_cbranch_execz .LBB180_657
; %bb.656:
	s_waitcnt lgkmcnt(1)
	v_add_co_u32_e32 v6, vcc, v1, v8
	v_addc_co_u32_e32 v2, vcc, 0, v2, vcc
	v_add_co_u32_e32 v1, vcc, 0, v6
	s_waitcnt lgkmcnt(0)
	v_addc_co_u32_e32 v2, vcc, v7, v2, vcc
.LBB180_657:
	s_or_b64 exec, exec, s[0:1]
	v_cmp_gt_u32_e32 vcc, 62, v4
	s_waitcnt lgkmcnt(0)
	v_cndmask_b32_e64 v7, 0, 2, vcc
	v_add_lshl_u32 v7, v7, v3, 2
	ds_bpermute_b32 v8, v7, v6
	ds_bpermute_b32 v7, v7, v2
	v_add_u32_e32 v9, 2, v4
	v_cmp_lt_u32_e32 vcc, v9, v5
	s_and_saveexec_b64 s[0:1], vcc
	s_cbranch_execz .LBB180_659
; %bb.658:
	s_waitcnt lgkmcnt(1)
	v_add_co_u32_e32 v6, vcc, v1, v8
	v_addc_co_u32_e32 v2, vcc, 0, v2, vcc
	v_add_co_u32_e32 v1, vcc, 0, v6
	s_waitcnt lgkmcnt(0)
	v_addc_co_u32_e32 v2, vcc, v7, v2, vcc
.LBB180_659:
	s_or_b64 exec, exec, s[0:1]
	v_cmp_gt_u32_e32 vcc, 60, v4
	s_waitcnt lgkmcnt(0)
	v_cndmask_b32_e64 v7, 0, 4, vcc
	v_add_lshl_u32 v7, v7, v3, 2
	ds_bpermute_b32 v8, v7, v6
	ds_bpermute_b32 v7, v7, v2
	v_add_u32_e32 v9, 4, v4
	v_cmp_lt_u32_e32 vcc, v9, v5
	;; [unrolled: 19-line block ×4, first 2 shown]
	s_and_saveexec_b64 s[0:1], vcc
	s_cbranch_execz .LBB180_665
; %bb.664:
	s_waitcnt lgkmcnt(1)
	v_add_co_u32_e32 v6, vcc, v1, v8
	v_addc_co_u32_e32 v2, vcc, 0, v2, vcc
	v_add_co_u32_e32 v1, vcc, 0, v6
	s_waitcnt lgkmcnt(0)
	v_addc_co_u32_e32 v2, vcc, v7, v2, vcc
.LBB180_665:
	s_or_b64 exec, exec, s[0:1]
	s_waitcnt lgkmcnt(0)
	v_lshlrev_b32_e32 v7, 2, v3
	v_or_b32_e32 v8, 0x80, v7
	ds_bpermute_b32 v6, v8, v6
	ds_bpermute_b32 v8, v8, v2
	v_add_u32_e32 v4, 32, v4
	s_waitcnt lgkmcnt(1)
	v_add_co_u32_e32 v6, vcc, v1, v6
	v_addc_co_u32_e32 v9, vcc, 0, v2, vcc
	v_add_co_u32_e32 v6, vcc, 0, v6
	s_waitcnt lgkmcnt(0)
	v_addc_co_u32_e32 v8, vcc, v9, v8, vcc
	v_cmp_lt_u32_e32 vcc, v4, v5
	v_cndmask_b32_e32 v2, v2, v8, vcc
	v_cndmask_b32_e32 v1, v1, v6, vcc
	v_cmp_eq_u32_e32 vcc, 0, v3
	s_and_saveexec_b64 s[0:1], vcc
; %bb.666:
	v_lshrrev_b32_e32 v4, 3, v0
	v_and_b32_e32 v4, 8, v4
	ds_write_b64 v4, v[1:2] offset:128
; %bb.667:
	s_or_b64 exec, exec, s[0:1]
	v_cmp_gt_u32_e32 vcc, 2, v0
	s_waitcnt lgkmcnt(0)
	s_barrier
	s_and_saveexec_b64 s[0:1], vcc
	s_cbranch_execz .LBB180_669
; %bb.668:
	v_lshlrev_b32_e32 v1, 3, v3
	ds_read_b64 v[1:2], v1 offset:128
	v_or_b32_e32 v4, 4, v7
	s_add_i32 s2, s2, 63
	v_and_b32_e32 v3, 1, v3
	s_lshr_b32 s2, s2, 6
	s_waitcnt lgkmcnt(0)
	ds_bpermute_b32 v5, v4, v2
	ds_bpermute_b32 v4, v4, v1
	v_add_u32_e32 v3, 1, v3
	v_cmp_gt_u32_e32 vcc, s2, v3
	s_waitcnt lgkmcnt(1)
	v_cndmask_b32_e32 v3, 0, v5, vcc
	s_waitcnt lgkmcnt(0)
	v_cndmask_b32_e32 v4, 0, v4, vcc
	v_add_co_u32_e32 v1, vcc, v4, v1
	v_addc_co_u32_e32 v2, vcc, v3, v2, vcc
.LBB180_669:
	s_or_b64 exec, exec, s[0:1]
.LBB180_670:
	v_mov_b32_e32 v3, s6
	v_cmp_eq_u32_e64 s[2:3], 0, v0
	v_mov_b32_e32 v4, s7
.LBB180_671:
	s_branch .LBB180_731
.LBB180_672:
	s_cmp_gt_i32 s26, 1
	s_cbranch_scc0 .LBB180_680
; %bb.673:
	s_cmp_eq_u32 s26, 2
                                        ; implicit-def: $vgpr1_vgpr2
                                        ; implicit-def: $vgpr3_vgpr4
	s_cbranch_scc0 .LBB180_681
; %bb.674:
	s_mov_b32 s7, 0
	s_lshl_b32 s2, s6, 8
	s_mov_b32 s3, s7
	s_lshr_b64 s[8:9], s[20:21], 8
	s_lshl_b64 s[0:1], s[2:3], 2
	s_add_u32 s0, s18, s0
	s_addc_u32 s1, s19, s1
	s_cmp_lg_u64 s[8:9], s[6:7]
	s_cbranch_scc0 .LBB180_682
; %bb.675:
	v_lshlrev_b32_e32 v1, 2, v0
	global_load_dword v2, v1, s[0:1]
	global_load_dword v5, v1, s[0:1] offset:512
	v_mov_b32_e32 v1, 0
	v_mbcnt_lo_u32_b32 v3, -1, 0
	v_mbcnt_hi_u32_b32 v3, -1, v3
	v_mov_b32_dpp v1, v1 quad_perm:[1,0,3,2] row_mask:0xf bank_mask:0xf bound_ctrl:1
	v_lshlrev_b32_e32 v4, 2, v3
	v_or_b32_e32 v6, 0xfc, v4
	s_waitcnt vmcnt(1)
	v_cmp_ne_u32_e32 vcc, 0, v2
	v_cndmask_b32_e64 v2, 0, 1, vcc
	s_waitcnt vmcnt(0)
	v_cmp_ne_u32_e32 vcc, 0, v5
	v_addc_co_u32_e32 v2, vcc, 0, v2, vcc
	s_nop 1
	v_mov_b32_dpp v5, v2 quad_perm:[1,0,3,2] row_mask:0xf bank_mask:0xf bound_ctrl:1
	v_add_co_u32_e32 v2, vcc, v2, v5
	v_addc_co_u32_e64 v5, s[8:9], 0, 0, vcc
	v_add_co_u32_e32 v7, vcc, 0, v2
	v_addc_co_u32_e32 v1, vcc, v1, v5, vcc
	v_mov_b32_dpp v2, v2 quad_perm:[2,3,0,1] row_mask:0xf bank_mask:0xf bound_ctrl:1
	v_add_co_u32_e32 v2, vcc, v7, v2
	v_mov_b32_dpp v5, v1 quad_perm:[2,3,0,1] row_mask:0xf bank_mask:0xf bound_ctrl:1
	v_addc_co_u32_e32 v1, vcc, 0, v1, vcc
	v_add_co_u32_e32 v7, vcc, 0, v2
	v_addc_co_u32_e32 v1, vcc, v1, v5, vcc
	v_mov_b32_dpp v2, v2 row_ror:4 row_mask:0xf bank_mask:0xf bound_ctrl:1
	v_add_co_u32_e32 v2, vcc, v7, v2
	v_mov_b32_dpp v5, v1 row_ror:4 row_mask:0xf bank_mask:0xf bound_ctrl:1
	v_addc_co_u32_e32 v1, vcc, 0, v1, vcc
	v_add_co_u32_e32 v7, vcc, 0, v2
	v_addc_co_u32_e32 v1, vcc, v1, v5, vcc
	v_mov_b32_dpp v2, v2 row_ror:8 row_mask:0xf bank_mask:0xf bound_ctrl:1
	v_add_co_u32_e32 v2, vcc, v7, v2
	v_mov_b32_dpp v5, v1 row_ror:8 row_mask:0xf bank_mask:0xf bound_ctrl:1
	v_addc_co_u32_e32 v1, vcc, 0, v1, vcc
	v_add_co_u32_e32 v7, vcc, 0, v2
	v_addc_co_u32_e32 v1, vcc, v1, v5, vcc
	v_mov_b32_dpp v2, v2 row_bcast:15 row_mask:0xf bank_mask:0xf bound_ctrl:1
	v_add_co_u32_e32 v2, vcc, v7, v2
	v_mov_b32_dpp v5, v1 row_bcast:15 row_mask:0xf bank_mask:0xf bound_ctrl:1
	v_addc_co_u32_e32 v1, vcc, 0, v1, vcc
	v_add_co_u32_e32 v7, vcc, 0, v2
	v_addc_co_u32_e32 v1, vcc, v1, v5, vcc
	v_mov_b32_dpp v2, v2 row_bcast:31 row_mask:0xf bank_mask:0xf bound_ctrl:1
	v_add_co_u32_e32 v2, vcc, v7, v2
	v_addc_co_u32_e32 v5, vcc, 0, v1, vcc
	v_cmp_eq_u32_e32 vcc, 0, v3
	s_nop 0
	v_add_u32_dpp v5, v1, v5 row_bcast:31 row_mask:0xf bank_mask:0xf bound_ctrl:1
	ds_bpermute_b32 v1, v6, v2
	ds_bpermute_b32 v2, v6, v5
	s_and_saveexec_b64 s[8:9], vcc
	s_cbranch_execz .LBB180_677
; %bb.676:
	v_lshrrev_b32_e32 v5, 3, v0
	v_and_b32_e32 v5, 8, v5
	s_waitcnt lgkmcnt(0)
	ds_write_b64 v5, v[1:2] offset:48
.LBB180_677:
	s_or_b64 exec, exec, s[8:9]
	v_cmp_gt_u32_e32 vcc, 64, v0
	s_waitcnt lgkmcnt(0)
	s_barrier
	s_and_saveexec_b64 s[8:9], vcc
	s_cbranch_execz .LBB180_679
; %bb.678:
	v_and_b32_e32 v1, 1, v3
	v_lshlrev_b32_e32 v1, 3, v1
	ds_read_b64 v[1:2], v1 offset:48
	v_or_b32_e32 v3, 4, v4
	s_waitcnt lgkmcnt(0)
	ds_bpermute_b32 v4, v3, v1
	ds_bpermute_b32 v3, v3, v2
	s_waitcnt lgkmcnt(1)
	v_add_co_u32_e32 v1, vcc, v1, v4
	v_addc_co_u32_e32 v2, vcc, 0, v2, vcc
	v_add_co_u32_e32 v1, vcc, 0, v1
	s_waitcnt lgkmcnt(0)
	v_addc_co_u32_e32 v2, vcc, v2, v3, vcc
.LBB180_679:
	s_or_b64 exec, exec, s[8:9]
	s_mov_b64 s[8:9], 0
	s_branch .LBB180_683
.LBB180_680:
                                        ; implicit-def: $vgpr1_vgpr2
                                        ; implicit-def: $vgpr3_vgpr4
	s_cbranch_execnz .LBB180_704
	s_branch .LBB180_731
.LBB180_681:
	s_branch .LBB180_731
.LBB180_682:
	s_mov_b64 s[8:9], -1
                                        ; implicit-def: $vgpr1_vgpr2
.LBB180_683:
	s_and_b64 vcc, exec, s[8:9]
	s_cbranch_vccz .LBB180_703
; %bb.684:
	s_sub_i32 s8, s20, s2
	v_mov_b32_e32 v1, 0
	v_cmp_gt_u32_e32 vcc, s8, v0
	v_mov_b32_e32 v2, v1
	v_mov_b32_e32 v3, v1
	;; [unrolled: 1-line block ×3, first 2 shown]
	s_and_saveexec_b64 s[2:3], vcc
	s_cbranch_execz .LBB180_686
; %bb.685:
	v_lshlrev_b32_e32 v2, 2, v0
	global_load_dword v2, v2, s[0:1]
	v_mov_b32_e32 v3, v1
	v_mov_b32_e32 v4, v1
	;; [unrolled: 1-line block ×3, first 2 shown]
	s_waitcnt vmcnt(0)
	v_cmp_ne_u32_e32 vcc, 0, v2
	v_cndmask_b32_e64 v2, 0, 1, vcc
	v_and_b32_e32 v2, 0xffff, v2
	v_mov_b32_e32 v1, v2
	v_mov_b32_e32 v2, v3
	;; [unrolled: 1-line block ×4, first 2 shown]
.LBB180_686:
	s_or_b64 exec, exec, s[2:3]
	v_or_b32_e32 v5, 0x80, v0
	v_cmp_gt_u32_e32 vcc, s8, v5
	s_and_saveexec_b64 s[2:3], vcc
	s_cbranch_execz .LBB180_688
; %bb.687:
	v_lshlrev_b32_e32 v3, 2, v0
	global_load_dword v3, v3, s[0:1] offset:512
	s_mov_b32 s9, 0
	v_mov_b32_e32 v4, s9
	s_waitcnt vmcnt(0)
	v_cmp_ne_u32_e64 s[0:1], 0, v3
	v_cndmask_b32_e64 v3, 0, 1, s[0:1]
.LBB180_688:
	s_or_b64 exec, exec, s[2:3]
	v_cndmask_b32_e32 v3, 0, v3, vcc
	v_cndmask_b32_e32 v4, 0, v4, vcc
	v_add_co_u32_e32 v1, vcc, v3, v1
	v_mbcnt_lo_u32_b32 v3, -1, 0
	v_mbcnt_hi_u32_b32 v3, -1, v3
	v_addc_co_u32_e32 v2, vcc, v4, v2, vcc
	v_and_b32_e32 v4, 63, v3
	v_cmp_ne_u32_e32 vcc, 63, v4
	v_addc_co_u32_e32 v6, vcc, 0, v3, vcc
	v_lshlrev_b32_e32 v6, 2, v6
	ds_bpermute_b32 v8, v6, v1
	ds_bpermute_b32 v7, v6, v2
	s_min_u32 s2, s8, 0x80
	v_and_b32_e32 v5, 64, v0
	v_sub_u32_e64 v5, s2, v5 clamp
	v_add_u32_e32 v6, 1, v4
	v_cmp_lt_u32_e32 vcc, v6, v5
	v_mov_b32_e32 v6, v1
	s_and_saveexec_b64 s[0:1], vcc
	s_cbranch_execz .LBB180_690
; %bb.689:
	s_waitcnt lgkmcnt(1)
	v_add_co_u32_e32 v6, vcc, v1, v8
	v_addc_co_u32_e32 v2, vcc, 0, v2, vcc
	v_add_co_u32_e32 v1, vcc, 0, v6
	s_waitcnt lgkmcnt(0)
	v_addc_co_u32_e32 v2, vcc, v7, v2, vcc
.LBB180_690:
	s_or_b64 exec, exec, s[0:1]
	v_cmp_gt_u32_e32 vcc, 62, v4
	s_waitcnt lgkmcnt(0)
	v_cndmask_b32_e64 v7, 0, 2, vcc
	v_add_lshl_u32 v7, v7, v3, 2
	ds_bpermute_b32 v8, v7, v6
	ds_bpermute_b32 v7, v7, v2
	v_add_u32_e32 v9, 2, v4
	v_cmp_lt_u32_e32 vcc, v9, v5
	s_and_saveexec_b64 s[0:1], vcc
	s_cbranch_execz .LBB180_692
; %bb.691:
	s_waitcnt lgkmcnt(1)
	v_add_co_u32_e32 v6, vcc, v1, v8
	v_addc_co_u32_e32 v2, vcc, 0, v2, vcc
	v_add_co_u32_e32 v1, vcc, 0, v6
	s_waitcnt lgkmcnt(0)
	v_addc_co_u32_e32 v2, vcc, v7, v2, vcc
.LBB180_692:
	s_or_b64 exec, exec, s[0:1]
	v_cmp_gt_u32_e32 vcc, 60, v4
	s_waitcnt lgkmcnt(0)
	v_cndmask_b32_e64 v7, 0, 4, vcc
	v_add_lshl_u32 v7, v7, v3, 2
	ds_bpermute_b32 v8, v7, v6
	ds_bpermute_b32 v7, v7, v2
	v_add_u32_e32 v9, 4, v4
	v_cmp_lt_u32_e32 vcc, v9, v5
	;; [unrolled: 19-line block ×4, first 2 shown]
	s_and_saveexec_b64 s[0:1], vcc
	s_cbranch_execz .LBB180_698
; %bb.697:
	s_waitcnt lgkmcnt(1)
	v_add_co_u32_e32 v6, vcc, v1, v8
	v_addc_co_u32_e32 v2, vcc, 0, v2, vcc
	v_add_co_u32_e32 v1, vcc, 0, v6
	s_waitcnt lgkmcnt(0)
	v_addc_co_u32_e32 v2, vcc, v7, v2, vcc
.LBB180_698:
	s_or_b64 exec, exec, s[0:1]
	s_waitcnt lgkmcnt(0)
	v_lshlrev_b32_e32 v7, 2, v3
	v_or_b32_e32 v8, 0x80, v7
	ds_bpermute_b32 v6, v8, v6
	ds_bpermute_b32 v8, v8, v2
	v_add_u32_e32 v4, 32, v4
	s_waitcnt lgkmcnt(1)
	v_add_co_u32_e32 v6, vcc, v1, v6
	v_addc_co_u32_e32 v9, vcc, 0, v2, vcc
	v_add_co_u32_e32 v6, vcc, 0, v6
	s_waitcnt lgkmcnt(0)
	v_addc_co_u32_e32 v8, vcc, v9, v8, vcc
	v_cmp_lt_u32_e32 vcc, v4, v5
	v_cndmask_b32_e32 v2, v2, v8, vcc
	v_cndmask_b32_e32 v1, v1, v6, vcc
	v_cmp_eq_u32_e32 vcc, 0, v3
	s_and_saveexec_b64 s[0:1], vcc
; %bb.699:
	v_lshrrev_b32_e32 v4, 3, v0
	v_and_b32_e32 v4, 8, v4
	ds_write_b64 v4, v[1:2] offset:128
; %bb.700:
	s_or_b64 exec, exec, s[0:1]
	v_cmp_gt_u32_e32 vcc, 2, v0
	s_waitcnt lgkmcnt(0)
	s_barrier
	s_and_saveexec_b64 s[0:1], vcc
	s_cbranch_execz .LBB180_702
; %bb.701:
	v_lshlrev_b32_e32 v1, 3, v3
	ds_read_b64 v[1:2], v1 offset:128
	v_or_b32_e32 v4, 4, v7
	s_add_i32 s2, s2, 63
	v_and_b32_e32 v3, 1, v3
	s_lshr_b32 s2, s2, 6
	s_waitcnt lgkmcnt(0)
	ds_bpermute_b32 v5, v4, v2
	ds_bpermute_b32 v4, v4, v1
	v_add_u32_e32 v3, 1, v3
	v_cmp_gt_u32_e32 vcc, s2, v3
	s_waitcnt lgkmcnt(1)
	v_cndmask_b32_e32 v3, 0, v5, vcc
	s_waitcnt lgkmcnt(0)
	v_cndmask_b32_e32 v4, 0, v4, vcc
	v_add_co_u32_e32 v1, vcc, v4, v1
	v_addc_co_u32_e32 v2, vcc, v3, v2, vcc
.LBB180_702:
	s_or_b64 exec, exec, s[0:1]
.LBB180_703:
	v_mov_b32_e32 v3, s6
	v_cmp_eq_u32_e64 s[2:3], 0, v0
	v_mov_b32_e32 v4, s7
	s_branch .LBB180_731
.LBB180_704:
	s_cmp_eq_u32 s26, 1
                                        ; implicit-def: $vgpr1_vgpr2
                                        ; implicit-def: $vgpr3_vgpr4
	s_cbranch_scc0 .LBB180_731
; %bb.705:
	s_mov_b32 s1, 0
	s_lshl_b32 s0, s6, 7
	s_mov_b32 s7, s1
	s_lshr_b64 s[2:3], s[20:21], 7
	s_cmp_lg_u64 s[2:3], s[6:7]
	v_mbcnt_lo_u32_b32 v3, -1, 0
	s_cbranch_scc0 .LBB180_711
; %bb.706:
	s_lshl_b64 s[2:3], s[0:1], 2
	s_add_u32 s2, s18, s2
	s_addc_u32 s3, s19, s3
	v_lshlrev_b32_e32 v1, 2, v0
	global_load_dword v1, v1, s[2:3]
	v_mov_b32_e32 v2, 0
	v_mbcnt_hi_u32_b32 v4, -1, v3
	v_lshlrev_b32_e32 v5, 2, v4
	v_mov_b32_dpp v2, v2 quad_perm:[1,0,3,2] row_mask:0xf bank_mask:0xf bound_ctrl:1
	v_or_b32_e32 v6, 0xfc, v5
	s_waitcnt vmcnt(0)
	v_cmp_ne_u32_e32 vcc, 0, v1
	v_cndmask_b32_e64 v1, 0, 1, vcc
	s_nop 1
	v_mov_b32_dpp v7, v1 quad_perm:[1,0,3,2] row_mask:0xf bank_mask:0xf bound_ctrl:1
	v_add_co_u32_e32 v1, vcc, v7, v1
	v_addc_co_u32_e64 v7, s[2:3], 0, 0, vcc
	v_add_co_u32_e32 v8, vcc, 0, v1
	v_addc_co_u32_e32 v2, vcc, v2, v7, vcc
	v_mov_b32_dpp v1, v1 quad_perm:[2,3,0,1] row_mask:0xf bank_mask:0xf bound_ctrl:1
	v_add_co_u32_e32 v1, vcc, v8, v1
	v_mov_b32_dpp v7, v2 quad_perm:[2,3,0,1] row_mask:0xf bank_mask:0xf bound_ctrl:1
	v_addc_co_u32_e32 v2, vcc, 0, v2, vcc
	v_add_co_u32_e32 v8, vcc, 0, v1
	v_addc_co_u32_e32 v2, vcc, v2, v7, vcc
	v_mov_b32_dpp v1, v1 row_ror:4 row_mask:0xf bank_mask:0xf bound_ctrl:1
	v_add_co_u32_e32 v1, vcc, v8, v1
	v_mov_b32_dpp v7, v2 row_ror:4 row_mask:0xf bank_mask:0xf bound_ctrl:1
	v_addc_co_u32_e32 v2, vcc, 0, v2, vcc
	v_add_co_u32_e32 v8, vcc, 0, v1
	v_addc_co_u32_e32 v2, vcc, v2, v7, vcc
	v_mov_b32_dpp v1, v1 row_ror:8 row_mask:0xf bank_mask:0xf bound_ctrl:1
	v_add_co_u32_e32 v1, vcc, v8, v1
	v_mov_b32_dpp v7, v2 row_ror:8 row_mask:0xf bank_mask:0xf bound_ctrl:1
	v_addc_co_u32_e32 v2, vcc, 0, v2, vcc
	v_add_co_u32_e32 v8, vcc, 0, v1
	v_addc_co_u32_e32 v2, vcc, v2, v7, vcc
	v_mov_b32_dpp v1, v1 row_bcast:15 row_mask:0xf bank_mask:0xf bound_ctrl:1
	v_add_co_u32_e32 v1, vcc, v8, v1
	v_mov_b32_dpp v7, v2 row_bcast:15 row_mask:0xf bank_mask:0xf bound_ctrl:1
	v_addc_co_u32_e32 v2, vcc, 0, v2, vcc
	v_add_co_u32_e32 v8, vcc, 0, v1
	v_addc_co_u32_e32 v2, vcc, v2, v7, vcc
	v_mov_b32_dpp v1, v1 row_bcast:31 row_mask:0xf bank_mask:0xf bound_ctrl:1
	v_add_co_u32_e32 v1, vcc, v8, v1
	v_addc_co_u32_e32 v7, vcc, 0, v2, vcc
	ds_bpermute_b32 v1, v6, v1
	s_nop 0
	v_add_u32_dpp v2, v2, v7 row_bcast:31 row_mask:0xf bank_mask:0xf bound_ctrl:1
	ds_bpermute_b32 v2, v6, v2
	v_cmp_eq_u32_e32 vcc, 0, v4
	s_and_saveexec_b64 s[2:3], vcc
	s_cbranch_execz .LBB180_708
; %bb.707:
	v_lshrrev_b32_e32 v6, 3, v0
	v_and_b32_e32 v6, 8, v6
	s_waitcnt lgkmcnt(0)
	ds_write_b64 v6, v[1:2] offset:32
.LBB180_708:
	s_or_b64 exec, exec, s[2:3]
	v_cmp_gt_u32_e32 vcc, 64, v0
	s_waitcnt lgkmcnt(0)
	s_barrier
	s_and_saveexec_b64 s[2:3], vcc
	s_cbranch_execz .LBB180_710
; %bb.709:
	v_and_b32_e32 v1, 1, v4
	v_lshlrev_b32_e32 v1, 3, v1
	ds_read_b64 v[1:2], v1 offset:32
	v_or_b32_e32 v4, 4, v5
	s_waitcnt lgkmcnt(0)
	ds_bpermute_b32 v5, v4, v1
	ds_bpermute_b32 v4, v4, v2
	s_waitcnt lgkmcnt(1)
	v_add_co_u32_e32 v1, vcc, v1, v5
	v_addc_co_u32_e32 v2, vcc, 0, v2, vcc
	v_add_co_u32_e32 v1, vcc, 0, v1
	s_waitcnt lgkmcnt(0)
	v_addc_co_u32_e32 v2, vcc, v2, v4, vcc
.LBB180_710:
	s_or_b64 exec, exec, s[2:3]
	s_mov_b64 s[2:3], 0
	s_branch .LBB180_712
.LBB180_711:
	s_mov_b64 s[2:3], -1
                                        ; implicit-def: $vgpr1_vgpr2
.LBB180_712:
	s_and_b64 vcc, exec, s[2:3]
	s_cbranch_vccz .LBB180_730
; %bb.713:
	s_sub_i32 s8, s20, s0
	v_cmp_gt_u32_e32 vcc, s8, v0
                                        ; implicit-def: $vgpr1_vgpr2
	s_and_saveexec_b64 s[2:3], vcc
	s_cbranch_execz .LBB180_715
; %bb.714:
	s_lshl_b64 s[0:1], s[0:1], 2
	s_add_u32 s0, s18, s0
	s_addc_u32 s1, s19, s1
	v_lshlrev_b32_e32 v1, 2, v0
	global_load_dword v1, v1, s[0:1]
	s_mov_b32 s0, 0
	v_mov_b32_e32 v2, s0
	s_waitcnt vmcnt(0)
	v_cmp_ne_u32_e32 vcc, 0, v1
	v_cndmask_b32_e64 v1, 0, 1, vcc
.LBB180_715:
	s_or_b64 exec, exec, s[2:3]
	v_mbcnt_hi_u32_b32 v3, -1, v3
	v_and_b32_e32 v4, 63, v3
	v_cmp_ne_u32_e32 vcc, 63, v4
	v_addc_co_u32_e32 v6, vcc, 0, v3, vcc
	v_lshlrev_b32_e32 v6, 2, v6
	ds_bpermute_b32 v8, v6, v1
	ds_bpermute_b32 v7, v6, v2
	s_min_u32 s2, s8, 0x80
	v_and_b32_e32 v5, 64, v0
	v_sub_u32_e64 v5, s2, v5 clamp
	v_add_u32_e32 v6, 1, v4
	v_cmp_lt_u32_e32 vcc, v6, v5
	v_mov_b32_e32 v6, v1
	s_and_saveexec_b64 s[0:1], vcc
	s_cbranch_execz .LBB180_717
; %bb.716:
	s_waitcnt lgkmcnt(1)
	v_add_co_u32_e32 v6, vcc, v1, v8
	v_addc_co_u32_e32 v2, vcc, 0, v2, vcc
	v_add_co_u32_e32 v1, vcc, 0, v6
	s_waitcnt lgkmcnt(0)
	v_addc_co_u32_e32 v2, vcc, v7, v2, vcc
.LBB180_717:
	s_or_b64 exec, exec, s[0:1]
	v_cmp_gt_u32_e32 vcc, 62, v4
	s_waitcnt lgkmcnt(0)
	v_cndmask_b32_e64 v7, 0, 2, vcc
	v_add_lshl_u32 v7, v7, v3, 2
	ds_bpermute_b32 v8, v7, v6
	ds_bpermute_b32 v7, v7, v2
	v_add_u32_e32 v9, 2, v4
	v_cmp_lt_u32_e32 vcc, v9, v5
	s_and_saveexec_b64 s[0:1], vcc
	s_cbranch_execz .LBB180_719
; %bb.718:
	s_waitcnt lgkmcnt(1)
	v_add_co_u32_e32 v6, vcc, v1, v8
	v_addc_co_u32_e32 v2, vcc, 0, v2, vcc
	v_add_co_u32_e32 v1, vcc, 0, v6
	s_waitcnt lgkmcnt(0)
	v_addc_co_u32_e32 v2, vcc, v7, v2, vcc
.LBB180_719:
	s_or_b64 exec, exec, s[0:1]
	v_cmp_gt_u32_e32 vcc, 60, v4
	s_waitcnt lgkmcnt(0)
	v_cndmask_b32_e64 v7, 0, 4, vcc
	v_add_lshl_u32 v7, v7, v3, 2
	ds_bpermute_b32 v8, v7, v6
	ds_bpermute_b32 v7, v7, v2
	v_add_u32_e32 v9, 4, v4
	v_cmp_lt_u32_e32 vcc, v9, v5
	;; [unrolled: 19-line block ×4, first 2 shown]
	s_and_saveexec_b64 s[0:1], vcc
	s_cbranch_execz .LBB180_725
; %bb.724:
	s_waitcnt lgkmcnt(1)
	v_add_co_u32_e32 v6, vcc, v1, v8
	v_addc_co_u32_e32 v2, vcc, 0, v2, vcc
	v_add_co_u32_e32 v1, vcc, 0, v6
	s_waitcnt lgkmcnt(0)
	v_addc_co_u32_e32 v2, vcc, v7, v2, vcc
.LBB180_725:
	s_or_b64 exec, exec, s[0:1]
	s_waitcnt lgkmcnt(0)
	v_lshlrev_b32_e32 v7, 2, v3
	v_or_b32_e32 v8, 0x80, v7
	ds_bpermute_b32 v6, v8, v6
	ds_bpermute_b32 v8, v8, v2
	v_add_u32_e32 v4, 32, v4
	s_waitcnt lgkmcnt(1)
	v_add_co_u32_e32 v6, vcc, v1, v6
	v_addc_co_u32_e32 v9, vcc, 0, v2, vcc
	v_add_co_u32_e32 v6, vcc, 0, v6
	s_waitcnt lgkmcnt(0)
	v_addc_co_u32_e32 v8, vcc, v9, v8, vcc
	v_cmp_lt_u32_e32 vcc, v4, v5
	v_cndmask_b32_e32 v2, v2, v8, vcc
	v_cndmask_b32_e32 v1, v1, v6, vcc
	v_cmp_eq_u32_e32 vcc, 0, v3
	s_and_saveexec_b64 s[0:1], vcc
; %bb.726:
	v_lshrrev_b32_e32 v4, 3, v0
	v_and_b32_e32 v4, 8, v4
	ds_write_b64 v4, v[1:2] offset:128
; %bb.727:
	s_or_b64 exec, exec, s[0:1]
	v_cmp_gt_u32_e32 vcc, 2, v0
	s_waitcnt lgkmcnt(0)
	s_barrier
	s_and_saveexec_b64 s[0:1], vcc
	s_cbranch_execz .LBB180_729
; %bb.728:
	v_lshlrev_b32_e32 v1, 3, v3
	ds_read_b64 v[1:2], v1 offset:128
	v_or_b32_e32 v4, 4, v7
	s_add_i32 s2, s2, 63
	v_and_b32_e32 v3, 1, v3
	s_lshr_b32 s2, s2, 6
	s_waitcnt lgkmcnt(0)
	ds_bpermute_b32 v5, v4, v2
	ds_bpermute_b32 v4, v4, v1
	v_add_u32_e32 v3, 1, v3
	v_cmp_gt_u32_e32 vcc, s2, v3
	s_waitcnt lgkmcnt(1)
	v_cndmask_b32_e32 v3, 0, v5, vcc
	s_waitcnt lgkmcnt(0)
	v_cndmask_b32_e32 v4, 0, v4, vcc
	v_add_co_u32_e32 v1, vcc, v4, v1
	v_addc_co_u32_e32 v2, vcc, v3, v2, vcc
.LBB180_729:
	s_or_b64 exec, exec, s[0:1]
.LBB180_730:
	v_mov_b32_e32 v3, s6
	v_cmp_eq_u32_e64 s[2:3], 0, v0
	v_mov_b32_e32 v4, s7
.LBB180_731:
	s_and_saveexec_b64 s[0:1], s[2:3]
	s_cbranch_execz .LBB180_733
; %bb.732:
	v_lshlrev_b64 v[3:4], 3, v[3:4]
	s_load_dwordx2 s[0:1], s[4:5], 0x28
	v_mov_b32_e32 v0, s23
	v_add_co_u32_e32 v3, vcc, s22, v3
	v_addc_co_u32_e32 v4, vcc, v0, v4, vcc
	s_cmp_lg_u64 s[20:21], 0
	s_cselect_b64 vcc, -1, 0
	v_cndmask_b32_e32 v0, 0, v1, vcc
	v_cndmask_b32_e32 v2, 0, v2, vcc
	s_waitcnt lgkmcnt(0)
	v_mov_b32_e32 v1, s1
	v_add_co_u32_e32 v0, vcc, s0, v0
	v_addc_co_u32_e32 v1, vcc, v2, v1, vcc
	global_store_dwordx2 v[3:4], v[0:1], off
.LBB180_733:
	s_endpgm
	.section	.rodata,"a",@progbits
	.p2align	6, 0x0
	.amdhsa_kernel _ZN7rocprim17ROCPRIM_400000_NS6detail17trampoline_kernelINS0_14default_configENS1_22reduce_config_selectorIbEEZNS1_11reduce_implILb1ES3_N6hipcub16HIPCUB_304000_NS22TransformInputIteratorIb7NonZeroIiEPilEEPllNS8_6detail34convert_binary_result_type_wrapperINS8_3SumESD_lEEEE10hipError_tPvRmT1_T2_T3_mT4_P12ihipStream_tbEUlT_E1_NS1_11comp_targetILNS1_3genE2ELNS1_11target_archE906ELNS1_3gpuE6ELNS1_3repE0EEENS1_30default_config_static_selectorELNS0_4arch9wavefront6targetE1EEEvSM_
		.amdhsa_group_segment_fixed_size 144
		.amdhsa_private_segment_fixed_size 20
		.amdhsa_kernarg_size 56
		.amdhsa_user_sgpr_count 6
		.amdhsa_user_sgpr_private_segment_buffer 1
		.amdhsa_user_sgpr_dispatch_ptr 0
		.amdhsa_user_sgpr_queue_ptr 0
		.amdhsa_user_sgpr_kernarg_segment_ptr 1
		.amdhsa_user_sgpr_dispatch_id 0
		.amdhsa_user_sgpr_flat_scratch_init 0
		.amdhsa_user_sgpr_private_segment_size 0
		.amdhsa_uses_dynamic_stack 0
		.amdhsa_system_sgpr_private_segment_wavefront_offset 1
		.amdhsa_system_sgpr_workgroup_id_x 1
		.amdhsa_system_sgpr_workgroup_id_y 0
		.amdhsa_system_sgpr_workgroup_id_z 0
		.amdhsa_system_sgpr_workgroup_info 0
		.amdhsa_system_vgpr_workitem_id 0
		.amdhsa_next_free_vgpr 256
		.amdhsa_next_free_sgpr 40
		.amdhsa_reserve_vcc 1
		.amdhsa_reserve_flat_scratch 0
		.amdhsa_float_round_mode_32 0
		.amdhsa_float_round_mode_16_64 0
		.amdhsa_float_denorm_mode_32 3
		.amdhsa_float_denorm_mode_16_64 3
		.amdhsa_dx10_clamp 1
		.amdhsa_ieee_mode 1
		.amdhsa_fp16_overflow 0
		.amdhsa_exception_fp_ieee_invalid_op 0
		.amdhsa_exception_fp_denorm_src 0
		.amdhsa_exception_fp_ieee_div_zero 0
		.amdhsa_exception_fp_ieee_overflow 0
		.amdhsa_exception_fp_ieee_underflow 0
		.amdhsa_exception_fp_ieee_inexact 0
		.amdhsa_exception_int_div_zero 0
	.end_amdhsa_kernel
	.section	.text._ZN7rocprim17ROCPRIM_400000_NS6detail17trampoline_kernelINS0_14default_configENS1_22reduce_config_selectorIbEEZNS1_11reduce_implILb1ES3_N6hipcub16HIPCUB_304000_NS22TransformInputIteratorIb7NonZeroIiEPilEEPllNS8_6detail34convert_binary_result_type_wrapperINS8_3SumESD_lEEEE10hipError_tPvRmT1_T2_T3_mT4_P12ihipStream_tbEUlT_E1_NS1_11comp_targetILNS1_3genE2ELNS1_11target_archE906ELNS1_3gpuE6ELNS1_3repE0EEENS1_30default_config_static_selectorELNS0_4arch9wavefront6targetE1EEEvSM_,"axG",@progbits,_ZN7rocprim17ROCPRIM_400000_NS6detail17trampoline_kernelINS0_14default_configENS1_22reduce_config_selectorIbEEZNS1_11reduce_implILb1ES3_N6hipcub16HIPCUB_304000_NS22TransformInputIteratorIb7NonZeroIiEPilEEPllNS8_6detail34convert_binary_result_type_wrapperINS8_3SumESD_lEEEE10hipError_tPvRmT1_T2_T3_mT4_P12ihipStream_tbEUlT_E1_NS1_11comp_targetILNS1_3genE2ELNS1_11target_archE906ELNS1_3gpuE6ELNS1_3repE0EEENS1_30default_config_static_selectorELNS0_4arch9wavefront6targetE1EEEvSM_,comdat
.Lfunc_end180:
	.size	_ZN7rocprim17ROCPRIM_400000_NS6detail17trampoline_kernelINS0_14default_configENS1_22reduce_config_selectorIbEEZNS1_11reduce_implILb1ES3_N6hipcub16HIPCUB_304000_NS22TransformInputIteratorIb7NonZeroIiEPilEEPllNS8_6detail34convert_binary_result_type_wrapperINS8_3SumESD_lEEEE10hipError_tPvRmT1_T2_T3_mT4_P12ihipStream_tbEUlT_E1_NS1_11comp_targetILNS1_3genE2ELNS1_11target_archE906ELNS1_3gpuE6ELNS1_3repE0EEENS1_30default_config_static_selectorELNS0_4arch9wavefront6targetE1EEEvSM_, .Lfunc_end180-_ZN7rocprim17ROCPRIM_400000_NS6detail17trampoline_kernelINS0_14default_configENS1_22reduce_config_selectorIbEEZNS1_11reduce_implILb1ES3_N6hipcub16HIPCUB_304000_NS22TransformInputIteratorIb7NonZeroIiEPilEEPllNS8_6detail34convert_binary_result_type_wrapperINS8_3SumESD_lEEEE10hipError_tPvRmT1_T2_T3_mT4_P12ihipStream_tbEUlT_E1_NS1_11comp_targetILNS1_3genE2ELNS1_11target_archE906ELNS1_3gpuE6ELNS1_3repE0EEENS1_30default_config_static_selectorELNS0_4arch9wavefront6targetE1EEEvSM_
                                        ; -- End function
	.set _ZN7rocprim17ROCPRIM_400000_NS6detail17trampoline_kernelINS0_14default_configENS1_22reduce_config_selectorIbEEZNS1_11reduce_implILb1ES3_N6hipcub16HIPCUB_304000_NS22TransformInputIteratorIb7NonZeroIiEPilEEPllNS8_6detail34convert_binary_result_type_wrapperINS8_3SumESD_lEEEE10hipError_tPvRmT1_T2_T3_mT4_P12ihipStream_tbEUlT_E1_NS1_11comp_targetILNS1_3genE2ELNS1_11target_archE906ELNS1_3gpuE6ELNS1_3repE0EEENS1_30default_config_static_selectorELNS0_4arch9wavefront6targetE1EEEvSM_.num_vgpr, 256
	.set _ZN7rocprim17ROCPRIM_400000_NS6detail17trampoline_kernelINS0_14default_configENS1_22reduce_config_selectorIbEEZNS1_11reduce_implILb1ES3_N6hipcub16HIPCUB_304000_NS22TransformInputIteratorIb7NonZeroIiEPilEEPllNS8_6detail34convert_binary_result_type_wrapperINS8_3SumESD_lEEEE10hipError_tPvRmT1_T2_T3_mT4_P12ihipStream_tbEUlT_E1_NS1_11comp_targetILNS1_3genE2ELNS1_11target_archE906ELNS1_3gpuE6ELNS1_3repE0EEENS1_30default_config_static_selectorELNS0_4arch9wavefront6targetE1EEEvSM_.num_agpr, 0
	.set _ZN7rocprim17ROCPRIM_400000_NS6detail17trampoline_kernelINS0_14default_configENS1_22reduce_config_selectorIbEEZNS1_11reduce_implILb1ES3_N6hipcub16HIPCUB_304000_NS22TransformInputIteratorIb7NonZeroIiEPilEEPllNS8_6detail34convert_binary_result_type_wrapperINS8_3SumESD_lEEEE10hipError_tPvRmT1_T2_T3_mT4_P12ihipStream_tbEUlT_E1_NS1_11comp_targetILNS1_3genE2ELNS1_11target_archE906ELNS1_3gpuE6ELNS1_3repE0EEENS1_30default_config_static_selectorELNS0_4arch9wavefront6targetE1EEEvSM_.numbered_sgpr, 40
	.set _ZN7rocprim17ROCPRIM_400000_NS6detail17trampoline_kernelINS0_14default_configENS1_22reduce_config_selectorIbEEZNS1_11reduce_implILb1ES3_N6hipcub16HIPCUB_304000_NS22TransformInputIteratorIb7NonZeroIiEPilEEPllNS8_6detail34convert_binary_result_type_wrapperINS8_3SumESD_lEEEE10hipError_tPvRmT1_T2_T3_mT4_P12ihipStream_tbEUlT_E1_NS1_11comp_targetILNS1_3genE2ELNS1_11target_archE906ELNS1_3gpuE6ELNS1_3repE0EEENS1_30default_config_static_selectorELNS0_4arch9wavefront6targetE1EEEvSM_.num_named_barrier, 0
	.set _ZN7rocprim17ROCPRIM_400000_NS6detail17trampoline_kernelINS0_14default_configENS1_22reduce_config_selectorIbEEZNS1_11reduce_implILb1ES3_N6hipcub16HIPCUB_304000_NS22TransformInputIteratorIb7NonZeroIiEPilEEPllNS8_6detail34convert_binary_result_type_wrapperINS8_3SumESD_lEEEE10hipError_tPvRmT1_T2_T3_mT4_P12ihipStream_tbEUlT_E1_NS1_11comp_targetILNS1_3genE2ELNS1_11target_archE906ELNS1_3gpuE6ELNS1_3repE0EEENS1_30default_config_static_selectorELNS0_4arch9wavefront6targetE1EEEvSM_.private_seg_size, 20
	.set _ZN7rocprim17ROCPRIM_400000_NS6detail17trampoline_kernelINS0_14default_configENS1_22reduce_config_selectorIbEEZNS1_11reduce_implILb1ES3_N6hipcub16HIPCUB_304000_NS22TransformInputIteratorIb7NonZeroIiEPilEEPllNS8_6detail34convert_binary_result_type_wrapperINS8_3SumESD_lEEEE10hipError_tPvRmT1_T2_T3_mT4_P12ihipStream_tbEUlT_E1_NS1_11comp_targetILNS1_3genE2ELNS1_11target_archE906ELNS1_3gpuE6ELNS1_3repE0EEENS1_30default_config_static_selectorELNS0_4arch9wavefront6targetE1EEEvSM_.uses_vcc, 1
	.set _ZN7rocprim17ROCPRIM_400000_NS6detail17trampoline_kernelINS0_14default_configENS1_22reduce_config_selectorIbEEZNS1_11reduce_implILb1ES3_N6hipcub16HIPCUB_304000_NS22TransformInputIteratorIb7NonZeroIiEPilEEPllNS8_6detail34convert_binary_result_type_wrapperINS8_3SumESD_lEEEE10hipError_tPvRmT1_T2_T3_mT4_P12ihipStream_tbEUlT_E1_NS1_11comp_targetILNS1_3genE2ELNS1_11target_archE906ELNS1_3gpuE6ELNS1_3repE0EEENS1_30default_config_static_selectorELNS0_4arch9wavefront6targetE1EEEvSM_.uses_flat_scratch, 0
	.set _ZN7rocprim17ROCPRIM_400000_NS6detail17trampoline_kernelINS0_14default_configENS1_22reduce_config_selectorIbEEZNS1_11reduce_implILb1ES3_N6hipcub16HIPCUB_304000_NS22TransformInputIteratorIb7NonZeroIiEPilEEPllNS8_6detail34convert_binary_result_type_wrapperINS8_3SumESD_lEEEE10hipError_tPvRmT1_T2_T3_mT4_P12ihipStream_tbEUlT_E1_NS1_11comp_targetILNS1_3genE2ELNS1_11target_archE906ELNS1_3gpuE6ELNS1_3repE0EEENS1_30default_config_static_selectorELNS0_4arch9wavefront6targetE1EEEvSM_.has_dyn_sized_stack, 0
	.set _ZN7rocprim17ROCPRIM_400000_NS6detail17trampoline_kernelINS0_14default_configENS1_22reduce_config_selectorIbEEZNS1_11reduce_implILb1ES3_N6hipcub16HIPCUB_304000_NS22TransformInputIteratorIb7NonZeroIiEPilEEPllNS8_6detail34convert_binary_result_type_wrapperINS8_3SumESD_lEEEE10hipError_tPvRmT1_T2_T3_mT4_P12ihipStream_tbEUlT_E1_NS1_11comp_targetILNS1_3genE2ELNS1_11target_archE906ELNS1_3gpuE6ELNS1_3repE0EEENS1_30default_config_static_selectorELNS0_4arch9wavefront6targetE1EEEvSM_.has_recursion, 0
	.set _ZN7rocprim17ROCPRIM_400000_NS6detail17trampoline_kernelINS0_14default_configENS1_22reduce_config_selectorIbEEZNS1_11reduce_implILb1ES3_N6hipcub16HIPCUB_304000_NS22TransformInputIteratorIb7NonZeroIiEPilEEPllNS8_6detail34convert_binary_result_type_wrapperINS8_3SumESD_lEEEE10hipError_tPvRmT1_T2_T3_mT4_P12ihipStream_tbEUlT_E1_NS1_11comp_targetILNS1_3genE2ELNS1_11target_archE906ELNS1_3gpuE6ELNS1_3repE0EEENS1_30default_config_static_selectorELNS0_4arch9wavefront6targetE1EEEvSM_.has_indirect_call, 0
	.section	.AMDGPU.csdata,"",@progbits
; Kernel info:
; codeLenInByte = 37192
; TotalNumSgprs: 44
; NumVgprs: 256
; ScratchSize: 20
; MemoryBound: 0
; FloatMode: 240
; IeeeMode: 1
; LDSByteSize: 144 bytes/workgroup (compile time only)
; SGPRBlocks: 5
; VGPRBlocks: 63
; NumSGPRsForWavesPerEU: 44
; NumVGPRsForWavesPerEU: 256
; Occupancy: 1
; WaveLimiterHint : 1
; COMPUTE_PGM_RSRC2:SCRATCH_EN: 1
; COMPUTE_PGM_RSRC2:USER_SGPR: 6
; COMPUTE_PGM_RSRC2:TRAP_HANDLER: 0
; COMPUTE_PGM_RSRC2:TGID_X_EN: 1
; COMPUTE_PGM_RSRC2:TGID_Y_EN: 0
; COMPUTE_PGM_RSRC2:TGID_Z_EN: 0
; COMPUTE_PGM_RSRC2:TIDIG_COMP_CNT: 0
	.section	.text._ZN7rocprim17ROCPRIM_400000_NS6detail17trampoline_kernelINS0_14default_configENS1_22reduce_config_selectorIbEEZNS1_11reduce_implILb1ES3_N6hipcub16HIPCUB_304000_NS22TransformInputIteratorIb7NonZeroIiEPilEEPllNS8_6detail34convert_binary_result_type_wrapperINS8_3SumESD_lEEEE10hipError_tPvRmT1_T2_T3_mT4_P12ihipStream_tbEUlT_E1_NS1_11comp_targetILNS1_3genE10ELNS1_11target_archE1201ELNS1_3gpuE5ELNS1_3repE0EEENS1_30default_config_static_selectorELNS0_4arch9wavefront6targetE1EEEvSM_,"axG",@progbits,_ZN7rocprim17ROCPRIM_400000_NS6detail17trampoline_kernelINS0_14default_configENS1_22reduce_config_selectorIbEEZNS1_11reduce_implILb1ES3_N6hipcub16HIPCUB_304000_NS22TransformInputIteratorIb7NonZeroIiEPilEEPllNS8_6detail34convert_binary_result_type_wrapperINS8_3SumESD_lEEEE10hipError_tPvRmT1_T2_T3_mT4_P12ihipStream_tbEUlT_E1_NS1_11comp_targetILNS1_3genE10ELNS1_11target_archE1201ELNS1_3gpuE5ELNS1_3repE0EEENS1_30default_config_static_selectorELNS0_4arch9wavefront6targetE1EEEvSM_,comdat
	.protected	_ZN7rocprim17ROCPRIM_400000_NS6detail17trampoline_kernelINS0_14default_configENS1_22reduce_config_selectorIbEEZNS1_11reduce_implILb1ES3_N6hipcub16HIPCUB_304000_NS22TransformInputIteratorIb7NonZeroIiEPilEEPllNS8_6detail34convert_binary_result_type_wrapperINS8_3SumESD_lEEEE10hipError_tPvRmT1_T2_T3_mT4_P12ihipStream_tbEUlT_E1_NS1_11comp_targetILNS1_3genE10ELNS1_11target_archE1201ELNS1_3gpuE5ELNS1_3repE0EEENS1_30default_config_static_selectorELNS0_4arch9wavefront6targetE1EEEvSM_ ; -- Begin function _ZN7rocprim17ROCPRIM_400000_NS6detail17trampoline_kernelINS0_14default_configENS1_22reduce_config_selectorIbEEZNS1_11reduce_implILb1ES3_N6hipcub16HIPCUB_304000_NS22TransformInputIteratorIb7NonZeroIiEPilEEPllNS8_6detail34convert_binary_result_type_wrapperINS8_3SumESD_lEEEE10hipError_tPvRmT1_T2_T3_mT4_P12ihipStream_tbEUlT_E1_NS1_11comp_targetILNS1_3genE10ELNS1_11target_archE1201ELNS1_3gpuE5ELNS1_3repE0EEENS1_30default_config_static_selectorELNS0_4arch9wavefront6targetE1EEEvSM_
	.globl	_ZN7rocprim17ROCPRIM_400000_NS6detail17trampoline_kernelINS0_14default_configENS1_22reduce_config_selectorIbEEZNS1_11reduce_implILb1ES3_N6hipcub16HIPCUB_304000_NS22TransformInputIteratorIb7NonZeroIiEPilEEPllNS8_6detail34convert_binary_result_type_wrapperINS8_3SumESD_lEEEE10hipError_tPvRmT1_T2_T3_mT4_P12ihipStream_tbEUlT_E1_NS1_11comp_targetILNS1_3genE10ELNS1_11target_archE1201ELNS1_3gpuE5ELNS1_3repE0EEENS1_30default_config_static_selectorELNS0_4arch9wavefront6targetE1EEEvSM_
	.p2align	8
	.type	_ZN7rocprim17ROCPRIM_400000_NS6detail17trampoline_kernelINS0_14default_configENS1_22reduce_config_selectorIbEEZNS1_11reduce_implILb1ES3_N6hipcub16HIPCUB_304000_NS22TransformInputIteratorIb7NonZeroIiEPilEEPllNS8_6detail34convert_binary_result_type_wrapperINS8_3SumESD_lEEEE10hipError_tPvRmT1_T2_T3_mT4_P12ihipStream_tbEUlT_E1_NS1_11comp_targetILNS1_3genE10ELNS1_11target_archE1201ELNS1_3gpuE5ELNS1_3repE0EEENS1_30default_config_static_selectorELNS0_4arch9wavefront6targetE1EEEvSM_,@function
_ZN7rocprim17ROCPRIM_400000_NS6detail17trampoline_kernelINS0_14default_configENS1_22reduce_config_selectorIbEEZNS1_11reduce_implILb1ES3_N6hipcub16HIPCUB_304000_NS22TransformInputIteratorIb7NonZeroIiEPilEEPllNS8_6detail34convert_binary_result_type_wrapperINS8_3SumESD_lEEEE10hipError_tPvRmT1_T2_T3_mT4_P12ihipStream_tbEUlT_E1_NS1_11comp_targetILNS1_3genE10ELNS1_11target_archE1201ELNS1_3gpuE5ELNS1_3repE0EEENS1_30default_config_static_selectorELNS0_4arch9wavefront6targetE1EEEvSM_: ; @_ZN7rocprim17ROCPRIM_400000_NS6detail17trampoline_kernelINS0_14default_configENS1_22reduce_config_selectorIbEEZNS1_11reduce_implILb1ES3_N6hipcub16HIPCUB_304000_NS22TransformInputIteratorIb7NonZeroIiEPilEEPllNS8_6detail34convert_binary_result_type_wrapperINS8_3SumESD_lEEEE10hipError_tPvRmT1_T2_T3_mT4_P12ihipStream_tbEUlT_E1_NS1_11comp_targetILNS1_3genE10ELNS1_11target_archE1201ELNS1_3gpuE5ELNS1_3repE0EEENS1_30default_config_static_selectorELNS0_4arch9wavefront6targetE1EEEvSM_
; %bb.0:
	.section	.rodata,"a",@progbits
	.p2align	6, 0x0
	.amdhsa_kernel _ZN7rocprim17ROCPRIM_400000_NS6detail17trampoline_kernelINS0_14default_configENS1_22reduce_config_selectorIbEEZNS1_11reduce_implILb1ES3_N6hipcub16HIPCUB_304000_NS22TransformInputIteratorIb7NonZeroIiEPilEEPllNS8_6detail34convert_binary_result_type_wrapperINS8_3SumESD_lEEEE10hipError_tPvRmT1_T2_T3_mT4_P12ihipStream_tbEUlT_E1_NS1_11comp_targetILNS1_3genE10ELNS1_11target_archE1201ELNS1_3gpuE5ELNS1_3repE0EEENS1_30default_config_static_selectorELNS0_4arch9wavefront6targetE1EEEvSM_
		.amdhsa_group_segment_fixed_size 0
		.amdhsa_private_segment_fixed_size 0
		.amdhsa_kernarg_size 56
		.amdhsa_user_sgpr_count 6
		.amdhsa_user_sgpr_private_segment_buffer 1
		.amdhsa_user_sgpr_dispatch_ptr 0
		.amdhsa_user_sgpr_queue_ptr 0
		.amdhsa_user_sgpr_kernarg_segment_ptr 1
		.amdhsa_user_sgpr_dispatch_id 0
		.amdhsa_user_sgpr_flat_scratch_init 0
		.amdhsa_user_sgpr_private_segment_size 0
		.amdhsa_uses_dynamic_stack 0
		.amdhsa_system_sgpr_private_segment_wavefront_offset 0
		.amdhsa_system_sgpr_workgroup_id_x 1
		.amdhsa_system_sgpr_workgroup_id_y 0
		.amdhsa_system_sgpr_workgroup_id_z 0
		.amdhsa_system_sgpr_workgroup_info 0
		.amdhsa_system_vgpr_workitem_id 0
		.amdhsa_next_free_vgpr 1
		.amdhsa_next_free_sgpr 0
		.amdhsa_reserve_vcc 0
		.amdhsa_reserve_flat_scratch 0
		.amdhsa_float_round_mode_32 0
		.amdhsa_float_round_mode_16_64 0
		.amdhsa_float_denorm_mode_32 3
		.amdhsa_float_denorm_mode_16_64 3
		.amdhsa_dx10_clamp 1
		.amdhsa_ieee_mode 1
		.amdhsa_fp16_overflow 0
		.amdhsa_exception_fp_ieee_invalid_op 0
		.amdhsa_exception_fp_denorm_src 0
		.amdhsa_exception_fp_ieee_div_zero 0
		.amdhsa_exception_fp_ieee_overflow 0
		.amdhsa_exception_fp_ieee_underflow 0
		.amdhsa_exception_fp_ieee_inexact 0
		.amdhsa_exception_int_div_zero 0
	.end_amdhsa_kernel
	.section	.text._ZN7rocprim17ROCPRIM_400000_NS6detail17trampoline_kernelINS0_14default_configENS1_22reduce_config_selectorIbEEZNS1_11reduce_implILb1ES3_N6hipcub16HIPCUB_304000_NS22TransformInputIteratorIb7NonZeroIiEPilEEPllNS8_6detail34convert_binary_result_type_wrapperINS8_3SumESD_lEEEE10hipError_tPvRmT1_T2_T3_mT4_P12ihipStream_tbEUlT_E1_NS1_11comp_targetILNS1_3genE10ELNS1_11target_archE1201ELNS1_3gpuE5ELNS1_3repE0EEENS1_30default_config_static_selectorELNS0_4arch9wavefront6targetE1EEEvSM_,"axG",@progbits,_ZN7rocprim17ROCPRIM_400000_NS6detail17trampoline_kernelINS0_14default_configENS1_22reduce_config_selectorIbEEZNS1_11reduce_implILb1ES3_N6hipcub16HIPCUB_304000_NS22TransformInputIteratorIb7NonZeroIiEPilEEPllNS8_6detail34convert_binary_result_type_wrapperINS8_3SumESD_lEEEE10hipError_tPvRmT1_T2_T3_mT4_P12ihipStream_tbEUlT_E1_NS1_11comp_targetILNS1_3genE10ELNS1_11target_archE1201ELNS1_3gpuE5ELNS1_3repE0EEENS1_30default_config_static_selectorELNS0_4arch9wavefront6targetE1EEEvSM_,comdat
.Lfunc_end181:
	.size	_ZN7rocprim17ROCPRIM_400000_NS6detail17trampoline_kernelINS0_14default_configENS1_22reduce_config_selectorIbEEZNS1_11reduce_implILb1ES3_N6hipcub16HIPCUB_304000_NS22TransformInputIteratorIb7NonZeroIiEPilEEPllNS8_6detail34convert_binary_result_type_wrapperINS8_3SumESD_lEEEE10hipError_tPvRmT1_T2_T3_mT4_P12ihipStream_tbEUlT_E1_NS1_11comp_targetILNS1_3genE10ELNS1_11target_archE1201ELNS1_3gpuE5ELNS1_3repE0EEENS1_30default_config_static_selectorELNS0_4arch9wavefront6targetE1EEEvSM_, .Lfunc_end181-_ZN7rocprim17ROCPRIM_400000_NS6detail17trampoline_kernelINS0_14default_configENS1_22reduce_config_selectorIbEEZNS1_11reduce_implILb1ES3_N6hipcub16HIPCUB_304000_NS22TransformInputIteratorIb7NonZeroIiEPilEEPllNS8_6detail34convert_binary_result_type_wrapperINS8_3SumESD_lEEEE10hipError_tPvRmT1_T2_T3_mT4_P12ihipStream_tbEUlT_E1_NS1_11comp_targetILNS1_3genE10ELNS1_11target_archE1201ELNS1_3gpuE5ELNS1_3repE0EEENS1_30default_config_static_selectorELNS0_4arch9wavefront6targetE1EEEvSM_
                                        ; -- End function
	.set _ZN7rocprim17ROCPRIM_400000_NS6detail17trampoline_kernelINS0_14default_configENS1_22reduce_config_selectorIbEEZNS1_11reduce_implILb1ES3_N6hipcub16HIPCUB_304000_NS22TransformInputIteratorIb7NonZeroIiEPilEEPllNS8_6detail34convert_binary_result_type_wrapperINS8_3SumESD_lEEEE10hipError_tPvRmT1_T2_T3_mT4_P12ihipStream_tbEUlT_E1_NS1_11comp_targetILNS1_3genE10ELNS1_11target_archE1201ELNS1_3gpuE5ELNS1_3repE0EEENS1_30default_config_static_selectorELNS0_4arch9wavefront6targetE1EEEvSM_.num_vgpr, 0
	.set _ZN7rocprim17ROCPRIM_400000_NS6detail17trampoline_kernelINS0_14default_configENS1_22reduce_config_selectorIbEEZNS1_11reduce_implILb1ES3_N6hipcub16HIPCUB_304000_NS22TransformInputIteratorIb7NonZeroIiEPilEEPllNS8_6detail34convert_binary_result_type_wrapperINS8_3SumESD_lEEEE10hipError_tPvRmT1_T2_T3_mT4_P12ihipStream_tbEUlT_E1_NS1_11comp_targetILNS1_3genE10ELNS1_11target_archE1201ELNS1_3gpuE5ELNS1_3repE0EEENS1_30default_config_static_selectorELNS0_4arch9wavefront6targetE1EEEvSM_.num_agpr, 0
	.set _ZN7rocprim17ROCPRIM_400000_NS6detail17trampoline_kernelINS0_14default_configENS1_22reduce_config_selectorIbEEZNS1_11reduce_implILb1ES3_N6hipcub16HIPCUB_304000_NS22TransformInputIteratorIb7NonZeroIiEPilEEPllNS8_6detail34convert_binary_result_type_wrapperINS8_3SumESD_lEEEE10hipError_tPvRmT1_T2_T3_mT4_P12ihipStream_tbEUlT_E1_NS1_11comp_targetILNS1_3genE10ELNS1_11target_archE1201ELNS1_3gpuE5ELNS1_3repE0EEENS1_30default_config_static_selectorELNS0_4arch9wavefront6targetE1EEEvSM_.numbered_sgpr, 0
	.set _ZN7rocprim17ROCPRIM_400000_NS6detail17trampoline_kernelINS0_14default_configENS1_22reduce_config_selectorIbEEZNS1_11reduce_implILb1ES3_N6hipcub16HIPCUB_304000_NS22TransformInputIteratorIb7NonZeroIiEPilEEPllNS8_6detail34convert_binary_result_type_wrapperINS8_3SumESD_lEEEE10hipError_tPvRmT1_T2_T3_mT4_P12ihipStream_tbEUlT_E1_NS1_11comp_targetILNS1_3genE10ELNS1_11target_archE1201ELNS1_3gpuE5ELNS1_3repE0EEENS1_30default_config_static_selectorELNS0_4arch9wavefront6targetE1EEEvSM_.num_named_barrier, 0
	.set _ZN7rocprim17ROCPRIM_400000_NS6detail17trampoline_kernelINS0_14default_configENS1_22reduce_config_selectorIbEEZNS1_11reduce_implILb1ES3_N6hipcub16HIPCUB_304000_NS22TransformInputIteratorIb7NonZeroIiEPilEEPllNS8_6detail34convert_binary_result_type_wrapperINS8_3SumESD_lEEEE10hipError_tPvRmT1_T2_T3_mT4_P12ihipStream_tbEUlT_E1_NS1_11comp_targetILNS1_3genE10ELNS1_11target_archE1201ELNS1_3gpuE5ELNS1_3repE0EEENS1_30default_config_static_selectorELNS0_4arch9wavefront6targetE1EEEvSM_.private_seg_size, 0
	.set _ZN7rocprim17ROCPRIM_400000_NS6detail17trampoline_kernelINS0_14default_configENS1_22reduce_config_selectorIbEEZNS1_11reduce_implILb1ES3_N6hipcub16HIPCUB_304000_NS22TransformInputIteratorIb7NonZeroIiEPilEEPllNS8_6detail34convert_binary_result_type_wrapperINS8_3SumESD_lEEEE10hipError_tPvRmT1_T2_T3_mT4_P12ihipStream_tbEUlT_E1_NS1_11comp_targetILNS1_3genE10ELNS1_11target_archE1201ELNS1_3gpuE5ELNS1_3repE0EEENS1_30default_config_static_selectorELNS0_4arch9wavefront6targetE1EEEvSM_.uses_vcc, 0
	.set _ZN7rocprim17ROCPRIM_400000_NS6detail17trampoline_kernelINS0_14default_configENS1_22reduce_config_selectorIbEEZNS1_11reduce_implILb1ES3_N6hipcub16HIPCUB_304000_NS22TransformInputIteratorIb7NonZeroIiEPilEEPllNS8_6detail34convert_binary_result_type_wrapperINS8_3SumESD_lEEEE10hipError_tPvRmT1_T2_T3_mT4_P12ihipStream_tbEUlT_E1_NS1_11comp_targetILNS1_3genE10ELNS1_11target_archE1201ELNS1_3gpuE5ELNS1_3repE0EEENS1_30default_config_static_selectorELNS0_4arch9wavefront6targetE1EEEvSM_.uses_flat_scratch, 0
	.set _ZN7rocprim17ROCPRIM_400000_NS6detail17trampoline_kernelINS0_14default_configENS1_22reduce_config_selectorIbEEZNS1_11reduce_implILb1ES3_N6hipcub16HIPCUB_304000_NS22TransformInputIteratorIb7NonZeroIiEPilEEPllNS8_6detail34convert_binary_result_type_wrapperINS8_3SumESD_lEEEE10hipError_tPvRmT1_T2_T3_mT4_P12ihipStream_tbEUlT_E1_NS1_11comp_targetILNS1_3genE10ELNS1_11target_archE1201ELNS1_3gpuE5ELNS1_3repE0EEENS1_30default_config_static_selectorELNS0_4arch9wavefront6targetE1EEEvSM_.has_dyn_sized_stack, 0
	.set _ZN7rocprim17ROCPRIM_400000_NS6detail17trampoline_kernelINS0_14default_configENS1_22reduce_config_selectorIbEEZNS1_11reduce_implILb1ES3_N6hipcub16HIPCUB_304000_NS22TransformInputIteratorIb7NonZeroIiEPilEEPllNS8_6detail34convert_binary_result_type_wrapperINS8_3SumESD_lEEEE10hipError_tPvRmT1_T2_T3_mT4_P12ihipStream_tbEUlT_E1_NS1_11comp_targetILNS1_3genE10ELNS1_11target_archE1201ELNS1_3gpuE5ELNS1_3repE0EEENS1_30default_config_static_selectorELNS0_4arch9wavefront6targetE1EEEvSM_.has_recursion, 0
	.set _ZN7rocprim17ROCPRIM_400000_NS6detail17trampoline_kernelINS0_14default_configENS1_22reduce_config_selectorIbEEZNS1_11reduce_implILb1ES3_N6hipcub16HIPCUB_304000_NS22TransformInputIteratorIb7NonZeroIiEPilEEPllNS8_6detail34convert_binary_result_type_wrapperINS8_3SumESD_lEEEE10hipError_tPvRmT1_T2_T3_mT4_P12ihipStream_tbEUlT_E1_NS1_11comp_targetILNS1_3genE10ELNS1_11target_archE1201ELNS1_3gpuE5ELNS1_3repE0EEENS1_30default_config_static_selectorELNS0_4arch9wavefront6targetE1EEEvSM_.has_indirect_call, 0
	.section	.AMDGPU.csdata,"",@progbits
; Kernel info:
; codeLenInByte = 0
; TotalNumSgprs: 4
; NumVgprs: 0
; ScratchSize: 0
; MemoryBound: 0
; FloatMode: 240
; IeeeMode: 1
; LDSByteSize: 0 bytes/workgroup (compile time only)
; SGPRBlocks: 0
; VGPRBlocks: 0
; NumSGPRsForWavesPerEU: 4
; NumVGPRsForWavesPerEU: 1
; Occupancy: 10
; WaveLimiterHint : 0
; COMPUTE_PGM_RSRC2:SCRATCH_EN: 0
; COMPUTE_PGM_RSRC2:USER_SGPR: 6
; COMPUTE_PGM_RSRC2:TRAP_HANDLER: 0
; COMPUTE_PGM_RSRC2:TGID_X_EN: 1
; COMPUTE_PGM_RSRC2:TGID_Y_EN: 0
; COMPUTE_PGM_RSRC2:TGID_Z_EN: 0
; COMPUTE_PGM_RSRC2:TIDIG_COMP_CNT: 0
	.section	.text._ZN7rocprim17ROCPRIM_400000_NS6detail17trampoline_kernelINS0_14default_configENS1_22reduce_config_selectorIbEEZNS1_11reduce_implILb1ES3_N6hipcub16HIPCUB_304000_NS22TransformInputIteratorIb7NonZeroIiEPilEEPllNS8_6detail34convert_binary_result_type_wrapperINS8_3SumESD_lEEEE10hipError_tPvRmT1_T2_T3_mT4_P12ihipStream_tbEUlT_E1_NS1_11comp_targetILNS1_3genE10ELNS1_11target_archE1200ELNS1_3gpuE4ELNS1_3repE0EEENS1_30default_config_static_selectorELNS0_4arch9wavefront6targetE1EEEvSM_,"axG",@progbits,_ZN7rocprim17ROCPRIM_400000_NS6detail17trampoline_kernelINS0_14default_configENS1_22reduce_config_selectorIbEEZNS1_11reduce_implILb1ES3_N6hipcub16HIPCUB_304000_NS22TransformInputIteratorIb7NonZeroIiEPilEEPllNS8_6detail34convert_binary_result_type_wrapperINS8_3SumESD_lEEEE10hipError_tPvRmT1_T2_T3_mT4_P12ihipStream_tbEUlT_E1_NS1_11comp_targetILNS1_3genE10ELNS1_11target_archE1200ELNS1_3gpuE4ELNS1_3repE0EEENS1_30default_config_static_selectorELNS0_4arch9wavefront6targetE1EEEvSM_,comdat
	.protected	_ZN7rocprim17ROCPRIM_400000_NS6detail17trampoline_kernelINS0_14default_configENS1_22reduce_config_selectorIbEEZNS1_11reduce_implILb1ES3_N6hipcub16HIPCUB_304000_NS22TransformInputIteratorIb7NonZeroIiEPilEEPllNS8_6detail34convert_binary_result_type_wrapperINS8_3SumESD_lEEEE10hipError_tPvRmT1_T2_T3_mT4_P12ihipStream_tbEUlT_E1_NS1_11comp_targetILNS1_3genE10ELNS1_11target_archE1200ELNS1_3gpuE4ELNS1_3repE0EEENS1_30default_config_static_selectorELNS0_4arch9wavefront6targetE1EEEvSM_ ; -- Begin function _ZN7rocprim17ROCPRIM_400000_NS6detail17trampoline_kernelINS0_14default_configENS1_22reduce_config_selectorIbEEZNS1_11reduce_implILb1ES3_N6hipcub16HIPCUB_304000_NS22TransformInputIteratorIb7NonZeroIiEPilEEPllNS8_6detail34convert_binary_result_type_wrapperINS8_3SumESD_lEEEE10hipError_tPvRmT1_T2_T3_mT4_P12ihipStream_tbEUlT_E1_NS1_11comp_targetILNS1_3genE10ELNS1_11target_archE1200ELNS1_3gpuE4ELNS1_3repE0EEENS1_30default_config_static_selectorELNS0_4arch9wavefront6targetE1EEEvSM_
	.globl	_ZN7rocprim17ROCPRIM_400000_NS6detail17trampoline_kernelINS0_14default_configENS1_22reduce_config_selectorIbEEZNS1_11reduce_implILb1ES3_N6hipcub16HIPCUB_304000_NS22TransformInputIteratorIb7NonZeroIiEPilEEPllNS8_6detail34convert_binary_result_type_wrapperINS8_3SumESD_lEEEE10hipError_tPvRmT1_T2_T3_mT4_P12ihipStream_tbEUlT_E1_NS1_11comp_targetILNS1_3genE10ELNS1_11target_archE1200ELNS1_3gpuE4ELNS1_3repE0EEENS1_30default_config_static_selectorELNS0_4arch9wavefront6targetE1EEEvSM_
	.p2align	8
	.type	_ZN7rocprim17ROCPRIM_400000_NS6detail17trampoline_kernelINS0_14default_configENS1_22reduce_config_selectorIbEEZNS1_11reduce_implILb1ES3_N6hipcub16HIPCUB_304000_NS22TransformInputIteratorIb7NonZeroIiEPilEEPllNS8_6detail34convert_binary_result_type_wrapperINS8_3SumESD_lEEEE10hipError_tPvRmT1_T2_T3_mT4_P12ihipStream_tbEUlT_E1_NS1_11comp_targetILNS1_3genE10ELNS1_11target_archE1200ELNS1_3gpuE4ELNS1_3repE0EEENS1_30default_config_static_selectorELNS0_4arch9wavefront6targetE1EEEvSM_,@function
_ZN7rocprim17ROCPRIM_400000_NS6detail17trampoline_kernelINS0_14default_configENS1_22reduce_config_selectorIbEEZNS1_11reduce_implILb1ES3_N6hipcub16HIPCUB_304000_NS22TransformInputIteratorIb7NonZeroIiEPilEEPllNS8_6detail34convert_binary_result_type_wrapperINS8_3SumESD_lEEEE10hipError_tPvRmT1_T2_T3_mT4_P12ihipStream_tbEUlT_E1_NS1_11comp_targetILNS1_3genE10ELNS1_11target_archE1200ELNS1_3gpuE4ELNS1_3repE0EEENS1_30default_config_static_selectorELNS0_4arch9wavefront6targetE1EEEvSM_: ; @_ZN7rocprim17ROCPRIM_400000_NS6detail17trampoline_kernelINS0_14default_configENS1_22reduce_config_selectorIbEEZNS1_11reduce_implILb1ES3_N6hipcub16HIPCUB_304000_NS22TransformInputIteratorIb7NonZeroIiEPilEEPllNS8_6detail34convert_binary_result_type_wrapperINS8_3SumESD_lEEEE10hipError_tPvRmT1_T2_T3_mT4_P12ihipStream_tbEUlT_E1_NS1_11comp_targetILNS1_3genE10ELNS1_11target_archE1200ELNS1_3gpuE4ELNS1_3repE0EEENS1_30default_config_static_selectorELNS0_4arch9wavefront6targetE1EEEvSM_
; %bb.0:
	.section	.rodata,"a",@progbits
	.p2align	6, 0x0
	.amdhsa_kernel _ZN7rocprim17ROCPRIM_400000_NS6detail17trampoline_kernelINS0_14default_configENS1_22reduce_config_selectorIbEEZNS1_11reduce_implILb1ES3_N6hipcub16HIPCUB_304000_NS22TransformInputIteratorIb7NonZeroIiEPilEEPllNS8_6detail34convert_binary_result_type_wrapperINS8_3SumESD_lEEEE10hipError_tPvRmT1_T2_T3_mT4_P12ihipStream_tbEUlT_E1_NS1_11comp_targetILNS1_3genE10ELNS1_11target_archE1200ELNS1_3gpuE4ELNS1_3repE0EEENS1_30default_config_static_selectorELNS0_4arch9wavefront6targetE1EEEvSM_
		.amdhsa_group_segment_fixed_size 0
		.amdhsa_private_segment_fixed_size 0
		.amdhsa_kernarg_size 56
		.amdhsa_user_sgpr_count 6
		.amdhsa_user_sgpr_private_segment_buffer 1
		.amdhsa_user_sgpr_dispatch_ptr 0
		.amdhsa_user_sgpr_queue_ptr 0
		.amdhsa_user_sgpr_kernarg_segment_ptr 1
		.amdhsa_user_sgpr_dispatch_id 0
		.amdhsa_user_sgpr_flat_scratch_init 0
		.amdhsa_user_sgpr_private_segment_size 0
		.amdhsa_uses_dynamic_stack 0
		.amdhsa_system_sgpr_private_segment_wavefront_offset 0
		.amdhsa_system_sgpr_workgroup_id_x 1
		.amdhsa_system_sgpr_workgroup_id_y 0
		.amdhsa_system_sgpr_workgroup_id_z 0
		.amdhsa_system_sgpr_workgroup_info 0
		.amdhsa_system_vgpr_workitem_id 0
		.amdhsa_next_free_vgpr 1
		.amdhsa_next_free_sgpr 0
		.amdhsa_reserve_vcc 0
		.amdhsa_reserve_flat_scratch 0
		.amdhsa_float_round_mode_32 0
		.amdhsa_float_round_mode_16_64 0
		.amdhsa_float_denorm_mode_32 3
		.amdhsa_float_denorm_mode_16_64 3
		.amdhsa_dx10_clamp 1
		.amdhsa_ieee_mode 1
		.amdhsa_fp16_overflow 0
		.amdhsa_exception_fp_ieee_invalid_op 0
		.amdhsa_exception_fp_denorm_src 0
		.amdhsa_exception_fp_ieee_div_zero 0
		.amdhsa_exception_fp_ieee_overflow 0
		.amdhsa_exception_fp_ieee_underflow 0
		.amdhsa_exception_fp_ieee_inexact 0
		.amdhsa_exception_int_div_zero 0
	.end_amdhsa_kernel
	.section	.text._ZN7rocprim17ROCPRIM_400000_NS6detail17trampoline_kernelINS0_14default_configENS1_22reduce_config_selectorIbEEZNS1_11reduce_implILb1ES3_N6hipcub16HIPCUB_304000_NS22TransformInputIteratorIb7NonZeroIiEPilEEPllNS8_6detail34convert_binary_result_type_wrapperINS8_3SumESD_lEEEE10hipError_tPvRmT1_T2_T3_mT4_P12ihipStream_tbEUlT_E1_NS1_11comp_targetILNS1_3genE10ELNS1_11target_archE1200ELNS1_3gpuE4ELNS1_3repE0EEENS1_30default_config_static_selectorELNS0_4arch9wavefront6targetE1EEEvSM_,"axG",@progbits,_ZN7rocprim17ROCPRIM_400000_NS6detail17trampoline_kernelINS0_14default_configENS1_22reduce_config_selectorIbEEZNS1_11reduce_implILb1ES3_N6hipcub16HIPCUB_304000_NS22TransformInputIteratorIb7NonZeroIiEPilEEPllNS8_6detail34convert_binary_result_type_wrapperINS8_3SumESD_lEEEE10hipError_tPvRmT1_T2_T3_mT4_P12ihipStream_tbEUlT_E1_NS1_11comp_targetILNS1_3genE10ELNS1_11target_archE1200ELNS1_3gpuE4ELNS1_3repE0EEENS1_30default_config_static_selectorELNS0_4arch9wavefront6targetE1EEEvSM_,comdat
.Lfunc_end182:
	.size	_ZN7rocprim17ROCPRIM_400000_NS6detail17trampoline_kernelINS0_14default_configENS1_22reduce_config_selectorIbEEZNS1_11reduce_implILb1ES3_N6hipcub16HIPCUB_304000_NS22TransformInputIteratorIb7NonZeroIiEPilEEPllNS8_6detail34convert_binary_result_type_wrapperINS8_3SumESD_lEEEE10hipError_tPvRmT1_T2_T3_mT4_P12ihipStream_tbEUlT_E1_NS1_11comp_targetILNS1_3genE10ELNS1_11target_archE1200ELNS1_3gpuE4ELNS1_3repE0EEENS1_30default_config_static_selectorELNS0_4arch9wavefront6targetE1EEEvSM_, .Lfunc_end182-_ZN7rocprim17ROCPRIM_400000_NS6detail17trampoline_kernelINS0_14default_configENS1_22reduce_config_selectorIbEEZNS1_11reduce_implILb1ES3_N6hipcub16HIPCUB_304000_NS22TransformInputIteratorIb7NonZeroIiEPilEEPllNS8_6detail34convert_binary_result_type_wrapperINS8_3SumESD_lEEEE10hipError_tPvRmT1_T2_T3_mT4_P12ihipStream_tbEUlT_E1_NS1_11comp_targetILNS1_3genE10ELNS1_11target_archE1200ELNS1_3gpuE4ELNS1_3repE0EEENS1_30default_config_static_selectorELNS0_4arch9wavefront6targetE1EEEvSM_
                                        ; -- End function
	.set _ZN7rocprim17ROCPRIM_400000_NS6detail17trampoline_kernelINS0_14default_configENS1_22reduce_config_selectorIbEEZNS1_11reduce_implILb1ES3_N6hipcub16HIPCUB_304000_NS22TransformInputIteratorIb7NonZeroIiEPilEEPllNS8_6detail34convert_binary_result_type_wrapperINS8_3SumESD_lEEEE10hipError_tPvRmT1_T2_T3_mT4_P12ihipStream_tbEUlT_E1_NS1_11comp_targetILNS1_3genE10ELNS1_11target_archE1200ELNS1_3gpuE4ELNS1_3repE0EEENS1_30default_config_static_selectorELNS0_4arch9wavefront6targetE1EEEvSM_.num_vgpr, 0
	.set _ZN7rocprim17ROCPRIM_400000_NS6detail17trampoline_kernelINS0_14default_configENS1_22reduce_config_selectorIbEEZNS1_11reduce_implILb1ES3_N6hipcub16HIPCUB_304000_NS22TransformInputIteratorIb7NonZeroIiEPilEEPllNS8_6detail34convert_binary_result_type_wrapperINS8_3SumESD_lEEEE10hipError_tPvRmT1_T2_T3_mT4_P12ihipStream_tbEUlT_E1_NS1_11comp_targetILNS1_3genE10ELNS1_11target_archE1200ELNS1_3gpuE4ELNS1_3repE0EEENS1_30default_config_static_selectorELNS0_4arch9wavefront6targetE1EEEvSM_.num_agpr, 0
	.set _ZN7rocprim17ROCPRIM_400000_NS6detail17trampoline_kernelINS0_14default_configENS1_22reduce_config_selectorIbEEZNS1_11reduce_implILb1ES3_N6hipcub16HIPCUB_304000_NS22TransformInputIteratorIb7NonZeroIiEPilEEPllNS8_6detail34convert_binary_result_type_wrapperINS8_3SumESD_lEEEE10hipError_tPvRmT1_T2_T3_mT4_P12ihipStream_tbEUlT_E1_NS1_11comp_targetILNS1_3genE10ELNS1_11target_archE1200ELNS1_3gpuE4ELNS1_3repE0EEENS1_30default_config_static_selectorELNS0_4arch9wavefront6targetE1EEEvSM_.numbered_sgpr, 0
	.set _ZN7rocprim17ROCPRIM_400000_NS6detail17trampoline_kernelINS0_14default_configENS1_22reduce_config_selectorIbEEZNS1_11reduce_implILb1ES3_N6hipcub16HIPCUB_304000_NS22TransformInputIteratorIb7NonZeroIiEPilEEPllNS8_6detail34convert_binary_result_type_wrapperINS8_3SumESD_lEEEE10hipError_tPvRmT1_T2_T3_mT4_P12ihipStream_tbEUlT_E1_NS1_11comp_targetILNS1_3genE10ELNS1_11target_archE1200ELNS1_3gpuE4ELNS1_3repE0EEENS1_30default_config_static_selectorELNS0_4arch9wavefront6targetE1EEEvSM_.num_named_barrier, 0
	.set _ZN7rocprim17ROCPRIM_400000_NS6detail17trampoline_kernelINS0_14default_configENS1_22reduce_config_selectorIbEEZNS1_11reduce_implILb1ES3_N6hipcub16HIPCUB_304000_NS22TransformInputIteratorIb7NonZeroIiEPilEEPllNS8_6detail34convert_binary_result_type_wrapperINS8_3SumESD_lEEEE10hipError_tPvRmT1_T2_T3_mT4_P12ihipStream_tbEUlT_E1_NS1_11comp_targetILNS1_3genE10ELNS1_11target_archE1200ELNS1_3gpuE4ELNS1_3repE0EEENS1_30default_config_static_selectorELNS0_4arch9wavefront6targetE1EEEvSM_.private_seg_size, 0
	.set _ZN7rocprim17ROCPRIM_400000_NS6detail17trampoline_kernelINS0_14default_configENS1_22reduce_config_selectorIbEEZNS1_11reduce_implILb1ES3_N6hipcub16HIPCUB_304000_NS22TransformInputIteratorIb7NonZeroIiEPilEEPllNS8_6detail34convert_binary_result_type_wrapperINS8_3SumESD_lEEEE10hipError_tPvRmT1_T2_T3_mT4_P12ihipStream_tbEUlT_E1_NS1_11comp_targetILNS1_3genE10ELNS1_11target_archE1200ELNS1_3gpuE4ELNS1_3repE0EEENS1_30default_config_static_selectorELNS0_4arch9wavefront6targetE1EEEvSM_.uses_vcc, 0
	.set _ZN7rocprim17ROCPRIM_400000_NS6detail17trampoline_kernelINS0_14default_configENS1_22reduce_config_selectorIbEEZNS1_11reduce_implILb1ES3_N6hipcub16HIPCUB_304000_NS22TransformInputIteratorIb7NonZeroIiEPilEEPllNS8_6detail34convert_binary_result_type_wrapperINS8_3SumESD_lEEEE10hipError_tPvRmT1_T2_T3_mT4_P12ihipStream_tbEUlT_E1_NS1_11comp_targetILNS1_3genE10ELNS1_11target_archE1200ELNS1_3gpuE4ELNS1_3repE0EEENS1_30default_config_static_selectorELNS0_4arch9wavefront6targetE1EEEvSM_.uses_flat_scratch, 0
	.set _ZN7rocprim17ROCPRIM_400000_NS6detail17trampoline_kernelINS0_14default_configENS1_22reduce_config_selectorIbEEZNS1_11reduce_implILb1ES3_N6hipcub16HIPCUB_304000_NS22TransformInputIteratorIb7NonZeroIiEPilEEPllNS8_6detail34convert_binary_result_type_wrapperINS8_3SumESD_lEEEE10hipError_tPvRmT1_T2_T3_mT4_P12ihipStream_tbEUlT_E1_NS1_11comp_targetILNS1_3genE10ELNS1_11target_archE1200ELNS1_3gpuE4ELNS1_3repE0EEENS1_30default_config_static_selectorELNS0_4arch9wavefront6targetE1EEEvSM_.has_dyn_sized_stack, 0
	.set _ZN7rocprim17ROCPRIM_400000_NS6detail17trampoline_kernelINS0_14default_configENS1_22reduce_config_selectorIbEEZNS1_11reduce_implILb1ES3_N6hipcub16HIPCUB_304000_NS22TransformInputIteratorIb7NonZeroIiEPilEEPllNS8_6detail34convert_binary_result_type_wrapperINS8_3SumESD_lEEEE10hipError_tPvRmT1_T2_T3_mT4_P12ihipStream_tbEUlT_E1_NS1_11comp_targetILNS1_3genE10ELNS1_11target_archE1200ELNS1_3gpuE4ELNS1_3repE0EEENS1_30default_config_static_selectorELNS0_4arch9wavefront6targetE1EEEvSM_.has_recursion, 0
	.set _ZN7rocprim17ROCPRIM_400000_NS6detail17trampoline_kernelINS0_14default_configENS1_22reduce_config_selectorIbEEZNS1_11reduce_implILb1ES3_N6hipcub16HIPCUB_304000_NS22TransformInputIteratorIb7NonZeroIiEPilEEPllNS8_6detail34convert_binary_result_type_wrapperINS8_3SumESD_lEEEE10hipError_tPvRmT1_T2_T3_mT4_P12ihipStream_tbEUlT_E1_NS1_11comp_targetILNS1_3genE10ELNS1_11target_archE1200ELNS1_3gpuE4ELNS1_3repE0EEENS1_30default_config_static_selectorELNS0_4arch9wavefront6targetE1EEEvSM_.has_indirect_call, 0
	.section	.AMDGPU.csdata,"",@progbits
; Kernel info:
; codeLenInByte = 0
; TotalNumSgprs: 4
; NumVgprs: 0
; ScratchSize: 0
; MemoryBound: 0
; FloatMode: 240
; IeeeMode: 1
; LDSByteSize: 0 bytes/workgroup (compile time only)
; SGPRBlocks: 0
; VGPRBlocks: 0
; NumSGPRsForWavesPerEU: 4
; NumVGPRsForWavesPerEU: 1
; Occupancy: 10
; WaveLimiterHint : 0
; COMPUTE_PGM_RSRC2:SCRATCH_EN: 0
; COMPUTE_PGM_RSRC2:USER_SGPR: 6
; COMPUTE_PGM_RSRC2:TRAP_HANDLER: 0
; COMPUTE_PGM_RSRC2:TGID_X_EN: 1
; COMPUTE_PGM_RSRC2:TGID_Y_EN: 0
; COMPUTE_PGM_RSRC2:TGID_Z_EN: 0
; COMPUTE_PGM_RSRC2:TIDIG_COMP_CNT: 0
	.section	.text._ZN7rocprim17ROCPRIM_400000_NS6detail17trampoline_kernelINS0_14default_configENS1_22reduce_config_selectorIbEEZNS1_11reduce_implILb1ES3_N6hipcub16HIPCUB_304000_NS22TransformInputIteratorIb7NonZeroIiEPilEEPllNS8_6detail34convert_binary_result_type_wrapperINS8_3SumESD_lEEEE10hipError_tPvRmT1_T2_T3_mT4_P12ihipStream_tbEUlT_E1_NS1_11comp_targetILNS1_3genE9ELNS1_11target_archE1100ELNS1_3gpuE3ELNS1_3repE0EEENS1_30default_config_static_selectorELNS0_4arch9wavefront6targetE1EEEvSM_,"axG",@progbits,_ZN7rocprim17ROCPRIM_400000_NS6detail17trampoline_kernelINS0_14default_configENS1_22reduce_config_selectorIbEEZNS1_11reduce_implILb1ES3_N6hipcub16HIPCUB_304000_NS22TransformInputIteratorIb7NonZeroIiEPilEEPllNS8_6detail34convert_binary_result_type_wrapperINS8_3SumESD_lEEEE10hipError_tPvRmT1_T2_T3_mT4_P12ihipStream_tbEUlT_E1_NS1_11comp_targetILNS1_3genE9ELNS1_11target_archE1100ELNS1_3gpuE3ELNS1_3repE0EEENS1_30default_config_static_selectorELNS0_4arch9wavefront6targetE1EEEvSM_,comdat
	.protected	_ZN7rocprim17ROCPRIM_400000_NS6detail17trampoline_kernelINS0_14default_configENS1_22reduce_config_selectorIbEEZNS1_11reduce_implILb1ES3_N6hipcub16HIPCUB_304000_NS22TransformInputIteratorIb7NonZeroIiEPilEEPllNS8_6detail34convert_binary_result_type_wrapperINS8_3SumESD_lEEEE10hipError_tPvRmT1_T2_T3_mT4_P12ihipStream_tbEUlT_E1_NS1_11comp_targetILNS1_3genE9ELNS1_11target_archE1100ELNS1_3gpuE3ELNS1_3repE0EEENS1_30default_config_static_selectorELNS0_4arch9wavefront6targetE1EEEvSM_ ; -- Begin function _ZN7rocprim17ROCPRIM_400000_NS6detail17trampoline_kernelINS0_14default_configENS1_22reduce_config_selectorIbEEZNS1_11reduce_implILb1ES3_N6hipcub16HIPCUB_304000_NS22TransformInputIteratorIb7NonZeroIiEPilEEPllNS8_6detail34convert_binary_result_type_wrapperINS8_3SumESD_lEEEE10hipError_tPvRmT1_T2_T3_mT4_P12ihipStream_tbEUlT_E1_NS1_11comp_targetILNS1_3genE9ELNS1_11target_archE1100ELNS1_3gpuE3ELNS1_3repE0EEENS1_30default_config_static_selectorELNS0_4arch9wavefront6targetE1EEEvSM_
	.globl	_ZN7rocprim17ROCPRIM_400000_NS6detail17trampoline_kernelINS0_14default_configENS1_22reduce_config_selectorIbEEZNS1_11reduce_implILb1ES3_N6hipcub16HIPCUB_304000_NS22TransformInputIteratorIb7NonZeroIiEPilEEPllNS8_6detail34convert_binary_result_type_wrapperINS8_3SumESD_lEEEE10hipError_tPvRmT1_T2_T3_mT4_P12ihipStream_tbEUlT_E1_NS1_11comp_targetILNS1_3genE9ELNS1_11target_archE1100ELNS1_3gpuE3ELNS1_3repE0EEENS1_30default_config_static_selectorELNS0_4arch9wavefront6targetE1EEEvSM_
	.p2align	8
	.type	_ZN7rocprim17ROCPRIM_400000_NS6detail17trampoline_kernelINS0_14default_configENS1_22reduce_config_selectorIbEEZNS1_11reduce_implILb1ES3_N6hipcub16HIPCUB_304000_NS22TransformInputIteratorIb7NonZeroIiEPilEEPllNS8_6detail34convert_binary_result_type_wrapperINS8_3SumESD_lEEEE10hipError_tPvRmT1_T2_T3_mT4_P12ihipStream_tbEUlT_E1_NS1_11comp_targetILNS1_3genE9ELNS1_11target_archE1100ELNS1_3gpuE3ELNS1_3repE0EEENS1_30default_config_static_selectorELNS0_4arch9wavefront6targetE1EEEvSM_,@function
_ZN7rocprim17ROCPRIM_400000_NS6detail17trampoline_kernelINS0_14default_configENS1_22reduce_config_selectorIbEEZNS1_11reduce_implILb1ES3_N6hipcub16HIPCUB_304000_NS22TransformInputIteratorIb7NonZeroIiEPilEEPllNS8_6detail34convert_binary_result_type_wrapperINS8_3SumESD_lEEEE10hipError_tPvRmT1_T2_T3_mT4_P12ihipStream_tbEUlT_E1_NS1_11comp_targetILNS1_3genE9ELNS1_11target_archE1100ELNS1_3gpuE3ELNS1_3repE0EEENS1_30default_config_static_selectorELNS0_4arch9wavefront6targetE1EEEvSM_: ; @_ZN7rocprim17ROCPRIM_400000_NS6detail17trampoline_kernelINS0_14default_configENS1_22reduce_config_selectorIbEEZNS1_11reduce_implILb1ES3_N6hipcub16HIPCUB_304000_NS22TransformInputIteratorIb7NonZeroIiEPilEEPllNS8_6detail34convert_binary_result_type_wrapperINS8_3SumESD_lEEEE10hipError_tPvRmT1_T2_T3_mT4_P12ihipStream_tbEUlT_E1_NS1_11comp_targetILNS1_3genE9ELNS1_11target_archE1100ELNS1_3gpuE3ELNS1_3repE0EEENS1_30default_config_static_selectorELNS0_4arch9wavefront6targetE1EEEvSM_
; %bb.0:
	.section	.rodata,"a",@progbits
	.p2align	6, 0x0
	.amdhsa_kernel _ZN7rocprim17ROCPRIM_400000_NS6detail17trampoline_kernelINS0_14default_configENS1_22reduce_config_selectorIbEEZNS1_11reduce_implILb1ES3_N6hipcub16HIPCUB_304000_NS22TransformInputIteratorIb7NonZeroIiEPilEEPllNS8_6detail34convert_binary_result_type_wrapperINS8_3SumESD_lEEEE10hipError_tPvRmT1_T2_T3_mT4_P12ihipStream_tbEUlT_E1_NS1_11comp_targetILNS1_3genE9ELNS1_11target_archE1100ELNS1_3gpuE3ELNS1_3repE0EEENS1_30default_config_static_selectorELNS0_4arch9wavefront6targetE1EEEvSM_
		.amdhsa_group_segment_fixed_size 0
		.amdhsa_private_segment_fixed_size 0
		.amdhsa_kernarg_size 56
		.amdhsa_user_sgpr_count 6
		.amdhsa_user_sgpr_private_segment_buffer 1
		.amdhsa_user_sgpr_dispatch_ptr 0
		.amdhsa_user_sgpr_queue_ptr 0
		.amdhsa_user_sgpr_kernarg_segment_ptr 1
		.amdhsa_user_sgpr_dispatch_id 0
		.amdhsa_user_sgpr_flat_scratch_init 0
		.amdhsa_user_sgpr_private_segment_size 0
		.amdhsa_uses_dynamic_stack 0
		.amdhsa_system_sgpr_private_segment_wavefront_offset 0
		.amdhsa_system_sgpr_workgroup_id_x 1
		.amdhsa_system_sgpr_workgroup_id_y 0
		.amdhsa_system_sgpr_workgroup_id_z 0
		.amdhsa_system_sgpr_workgroup_info 0
		.amdhsa_system_vgpr_workitem_id 0
		.amdhsa_next_free_vgpr 1
		.amdhsa_next_free_sgpr 0
		.amdhsa_reserve_vcc 0
		.amdhsa_reserve_flat_scratch 0
		.amdhsa_float_round_mode_32 0
		.amdhsa_float_round_mode_16_64 0
		.amdhsa_float_denorm_mode_32 3
		.amdhsa_float_denorm_mode_16_64 3
		.amdhsa_dx10_clamp 1
		.amdhsa_ieee_mode 1
		.amdhsa_fp16_overflow 0
		.amdhsa_exception_fp_ieee_invalid_op 0
		.amdhsa_exception_fp_denorm_src 0
		.amdhsa_exception_fp_ieee_div_zero 0
		.amdhsa_exception_fp_ieee_overflow 0
		.amdhsa_exception_fp_ieee_underflow 0
		.amdhsa_exception_fp_ieee_inexact 0
		.amdhsa_exception_int_div_zero 0
	.end_amdhsa_kernel
	.section	.text._ZN7rocprim17ROCPRIM_400000_NS6detail17trampoline_kernelINS0_14default_configENS1_22reduce_config_selectorIbEEZNS1_11reduce_implILb1ES3_N6hipcub16HIPCUB_304000_NS22TransformInputIteratorIb7NonZeroIiEPilEEPllNS8_6detail34convert_binary_result_type_wrapperINS8_3SumESD_lEEEE10hipError_tPvRmT1_T2_T3_mT4_P12ihipStream_tbEUlT_E1_NS1_11comp_targetILNS1_3genE9ELNS1_11target_archE1100ELNS1_3gpuE3ELNS1_3repE0EEENS1_30default_config_static_selectorELNS0_4arch9wavefront6targetE1EEEvSM_,"axG",@progbits,_ZN7rocprim17ROCPRIM_400000_NS6detail17trampoline_kernelINS0_14default_configENS1_22reduce_config_selectorIbEEZNS1_11reduce_implILb1ES3_N6hipcub16HIPCUB_304000_NS22TransformInputIteratorIb7NonZeroIiEPilEEPllNS8_6detail34convert_binary_result_type_wrapperINS8_3SumESD_lEEEE10hipError_tPvRmT1_T2_T3_mT4_P12ihipStream_tbEUlT_E1_NS1_11comp_targetILNS1_3genE9ELNS1_11target_archE1100ELNS1_3gpuE3ELNS1_3repE0EEENS1_30default_config_static_selectorELNS0_4arch9wavefront6targetE1EEEvSM_,comdat
.Lfunc_end183:
	.size	_ZN7rocprim17ROCPRIM_400000_NS6detail17trampoline_kernelINS0_14default_configENS1_22reduce_config_selectorIbEEZNS1_11reduce_implILb1ES3_N6hipcub16HIPCUB_304000_NS22TransformInputIteratorIb7NonZeroIiEPilEEPllNS8_6detail34convert_binary_result_type_wrapperINS8_3SumESD_lEEEE10hipError_tPvRmT1_T2_T3_mT4_P12ihipStream_tbEUlT_E1_NS1_11comp_targetILNS1_3genE9ELNS1_11target_archE1100ELNS1_3gpuE3ELNS1_3repE0EEENS1_30default_config_static_selectorELNS0_4arch9wavefront6targetE1EEEvSM_, .Lfunc_end183-_ZN7rocprim17ROCPRIM_400000_NS6detail17trampoline_kernelINS0_14default_configENS1_22reduce_config_selectorIbEEZNS1_11reduce_implILb1ES3_N6hipcub16HIPCUB_304000_NS22TransformInputIteratorIb7NonZeroIiEPilEEPllNS8_6detail34convert_binary_result_type_wrapperINS8_3SumESD_lEEEE10hipError_tPvRmT1_T2_T3_mT4_P12ihipStream_tbEUlT_E1_NS1_11comp_targetILNS1_3genE9ELNS1_11target_archE1100ELNS1_3gpuE3ELNS1_3repE0EEENS1_30default_config_static_selectorELNS0_4arch9wavefront6targetE1EEEvSM_
                                        ; -- End function
	.set _ZN7rocprim17ROCPRIM_400000_NS6detail17trampoline_kernelINS0_14default_configENS1_22reduce_config_selectorIbEEZNS1_11reduce_implILb1ES3_N6hipcub16HIPCUB_304000_NS22TransformInputIteratorIb7NonZeroIiEPilEEPllNS8_6detail34convert_binary_result_type_wrapperINS8_3SumESD_lEEEE10hipError_tPvRmT1_T2_T3_mT4_P12ihipStream_tbEUlT_E1_NS1_11comp_targetILNS1_3genE9ELNS1_11target_archE1100ELNS1_3gpuE3ELNS1_3repE0EEENS1_30default_config_static_selectorELNS0_4arch9wavefront6targetE1EEEvSM_.num_vgpr, 0
	.set _ZN7rocprim17ROCPRIM_400000_NS6detail17trampoline_kernelINS0_14default_configENS1_22reduce_config_selectorIbEEZNS1_11reduce_implILb1ES3_N6hipcub16HIPCUB_304000_NS22TransformInputIteratorIb7NonZeroIiEPilEEPllNS8_6detail34convert_binary_result_type_wrapperINS8_3SumESD_lEEEE10hipError_tPvRmT1_T2_T3_mT4_P12ihipStream_tbEUlT_E1_NS1_11comp_targetILNS1_3genE9ELNS1_11target_archE1100ELNS1_3gpuE3ELNS1_3repE0EEENS1_30default_config_static_selectorELNS0_4arch9wavefront6targetE1EEEvSM_.num_agpr, 0
	.set _ZN7rocprim17ROCPRIM_400000_NS6detail17trampoline_kernelINS0_14default_configENS1_22reduce_config_selectorIbEEZNS1_11reduce_implILb1ES3_N6hipcub16HIPCUB_304000_NS22TransformInputIteratorIb7NonZeroIiEPilEEPllNS8_6detail34convert_binary_result_type_wrapperINS8_3SumESD_lEEEE10hipError_tPvRmT1_T2_T3_mT4_P12ihipStream_tbEUlT_E1_NS1_11comp_targetILNS1_3genE9ELNS1_11target_archE1100ELNS1_3gpuE3ELNS1_3repE0EEENS1_30default_config_static_selectorELNS0_4arch9wavefront6targetE1EEEvSM_.numbered_sgpr, 0
	.set _ZN7rocprim17ROCPRIM_400000_NS6detail17trampoline_kernelINS0_14default_configENS1_22reduce_config_selectorIbEEZNS1_11reduce_implILb1ES3_N6hipcub16HIPCUB_304000_NS22TransformInputIteratorIb7NonZeroIiEPilEEPllNS8_6detail34convert_binary_result_type_wrapperINS8_3SumESD_lEEEE10hipError_tPvRmT1_T2_T3_mT4_P12ihipStream_tbEUlT_E1_NS1_11comp_targetILNS1_3genE9ELNS1_11target_archE1100ELNS1_3gpuE3ELNS1_3repE0EEENS1_30default_config_static_selectorELNS0_4arch9wavefront6targetE1EEEvSM_.num_named_barrier, 0
	.set _ZN7rocprim17ROCPRIM_400000_NS6detail17trampoline_kernelINS0_14default_configENS1_22reduce_config_selectorIbEEZNS1_11reduce_implILb1ES3_N6hipcub16HIPCUB_304000_NS22TransformInputIteratorIb7NonZeroIiEPilEEPllNS8_6detail34convert_binary_result_type_wrapperINS8_3SumESD_lEEEE10hipError_tPvRmT1_T2_T3_mT4_P12ihipStream_tbEUlT_E1_NS1_11comp_targetILNS1_3genE9ELNS1_11target_archE1100ELNS1_3gpuE3ELNS1_3repE0EEENS1_30default_config_static_selectorELNS0_4arch9wavefront6targetE1EEEvSM_.private_seg_size, 0
	.set _ZN7rocprim17ROCPRIM_400000_NS6detail17trampoline_kernelINS0_14default_configENS1_22reduce_config_selectorIbEEZNS1_11reduce_implILb1ES3_N6hipcub16HIPCUB_304000_NS22TransformInputIteratorIb7NonZeroIiEPilEEPllNS8_6detail34convert_binary_result_type_wrapperINS8_3SumESD_lEEEE10hipError_tPvRmT1_T2_T3_mT4_P12ihipStream_tbEUlT_E1_NS1_11comp_targetILNS1_3genE9ELNS1_11target_archE1100ELNS1_3gpuE3ELNS1_3repE0EEENS1_30default_config_static_selectorELNS0_4arch9wavefront6targetE1EEEvSM_.uses_vcc, 0
	.set _ZN7rocprim17ROCPRIM_400000_NS6detail17trampoline_kernelINS0_14default_configENS1_22reduce_config_selectorIbEEZNS1_11reduce_implILb1ES3_N6hipcub16HIPCUB_304000_NS22TransformInputIteratorIb7NonZeroIiEPilEEPllNS8_6detail34convert_binary_result_type_wrapperINS8_3SumESD_lEEEE10hipError_tPvRmT1_T2_T3_mT4_P12ihipStream_tbEUlT_E1_NS1_11comp_targetILNS1_3genE9ELNS1_11target_archE1100ELNS1_3gpuE3ELNS1_3repE0EEENS1_30default_config_static_selectorELNS0_4arch9wavefront6targetE1EEEvSM_.uses_flat_scratch, 0
	.set _ZN7rocprim17ROCPRIM_400000_NS6detail17trampoline_kernelINS0_14default_configENS1_22reduce_config_selectorIbEEZNS1_11reduce_implILb1ES3_N6hipcub16HIPCUB_304000_NS22TransformInputIteratorIb7NonZeroIiEPilEEPllNS8_6detail34convert_binary_result_type_wrapperINS8_3SumESD_lEEEE10hipError_tPvRmT1_T2_T3_mT4_P12ihipStream_tbEUlT_E1_NS1_11comp_targetILNS1_3genE9ELNS1_11target_archE1100ELNS1_3gpuE3ELNS1_3repE0EEENS1_30default_config_static_selectorELNS0_4arch9wavefront6targetE1EEEvSM_.has_dyn_sized_stack, 0
	.set _ZN7rocprim17ROCPRIM_400000_NS6detail17trampoline_kernelINS0_14default_configENS1_22reduce_config_selectorIbEEZNS1_11reduce_implILb1ES3_N6hipcub16HIPCUB_304000_NS22TransformInputIteratorIb7NonZeroIiEPilEEPllNS8_6detail34convert_binary_result_type_wrapperINS8_3SumESD_lEEEE10hipError_tPvRmT1_T2_T3_mT4_P12ihipStream_tbEUlT_E1_NS1_11comp_targetILNS1_3genE9ELNS1_11target_archE1100ELNS1_3gpuE3ELNS1_3repE0EEENS1_30default_config_static_selectorELNS0_4arch9wavefront6targetE1EEEvSM_.has_recursion, 0
	.set _ZN7rocprim17ROCPRIM_400000_NS6detail17trampoline_kernelINS0_14default_configENS1_22reduce_config_selectorIbEEZNS1_11reduce_implILb1ES3_N6hipcub16HIPCUB_304000_NS22TransformInputIteratorIb7NonZeroIiEPilEEPllNS8_6detail34convert_binary_result_type_wrapperINS8_3SumESD_lEEEE10hipError_tPvRmT1_T2_T3_mT4_P12ihipStream_tbEUlT_E1_NS1_11comp_targetILNS1_3genE9ELNS1_11target_archE1100ELNS1_3gpuE3ELNS1_3repE0EEENS1_30default_config_static_selectorELNS0_4arch9wavefront6targetE1EEEvSM_.has_indirect_call, 0
	.section	.AMDGPU.csdata,"",@progbits
; Kernel info:
; codeLenInByte = 0
; TotalNumSgprs: 4
; NumVgprs: 0
; ScratchSize: 0
; MemoryBound: 0
; FloatMode: 240
; IeeeMode: 1
; LDSByteSize: 0 bytes/workgroup (compile time only)
; SGPRBlocks: 0
; VGPRBlocks: 0
; NumSGPRsForWavesPerEU: 4
; NumVGPRsForWavesPerEU: 1
; Occupancy: 10
; WaveLimiterHint : 0
; COMPUTE_PGM_RSRC2:SCRATCH_EN: 0
; COMPUTE_PGM_RSRC2:USER_SGPR: 6
; COMPUTE_PGM_RSRC2:TRAP_HANDLER: 0
; COMPUTE_PGM_RSRC2:TGID_X_EN: 1
; COMPUTE_PGM_RSRC2:TGID_Y_EN: 0
; COMPUTE_PGM_RSRC2:TGID_Z_EN: 0
; COMPUTE_PGM_RSRC2:TIDIG_COMP_CNT: 0
	.section	.text._ZN7rocprim17ROCPRIM_400000_NS6detail17trampoline_kernelINS0_14default_configENS1_22reduce_config_selectorIbEEZNS1_11reduce_implILb1ES3_N6hipcub16HIPCUB_304000_NS22TransformInputIteratorIb7NonZeroIiEPilEEPllNS8_6detail34convert_binary_result_type_wrapperINS8_3SumESD_lEEEE10hipError_tPvRmT1_T2_T3_mT4_P12ihipStream_tbEUlT_E1_NS1_11comp_targetILNS1_3genE8ELNS1_11target_archE1030ELNS1_3gpuE2ELNS1_3repE0EEENS1_30default_config_static_selectorELNS0_4arch9wavefront6targetE1EEEvSM_,"axG",@progbits,_ZN7rocprim17ROCPRIM_400000_NS6detail17trampoline_kernelINS0_14default_configENS1_22reduce_config_selectorIbEEZNS1_11reduce_implILb1ES3_N6hipcub16HIPCUB_304000_NS22TransformInputIteratorIb7NonZeroIiEPilEEPllNS8_6detail34convert_binary_result_type_wrapperINS8_3SumESD_lEEEE10hipError_tPvRmT1_T2_T3_mT4_P12ihipStream_tbEUlT_E1_NS1_11comp_targetILNS1_3genE8ELNS1_11target_archE1030ELNS1_3gpuE2ELNS1_3repE0EEENS1_30default_config_static_selectorELNS0_4arch9wavefront6targetE1EEEvSM_,comdat
	.protected	_ZN7rocprim17ROCPRIM_400000_NS6detail17trampoline_kernelINS0_14default_configENS1_22reduce_config_selectorIbEEZNS1_11reduce_implILb1ES3_N6hipcub16HIPCUB_304000_NS22TransformInputIteratorIb7NonZeroIiEPilEEPllNS8_6detail34convert_binary_result_type_wrapperINS8_3SumESD_lEEEE10hipError_tPvRmT1_T2_T3_mT4_P12ihipStream_tbEUlT_E1_NS1_11comp_targetILNS1_3genE8ELNS1_11target_archE1030ELNS1_3gpuE2ELNS1_3repE0EEENS1_30default_config_static_selectorELNS0_4arch9wavefront6targetE1EEEvSM_ ; -- Begin function _ZN7rocprim17ROCPRIM_400000_NS6detail17trampoline_kernelINS0_14default_configENS1_22reduce_config_selectorIbEEZNS1_11reduce_implILb1ES3_N6hipcub16HIPCUB_304000_NS22TransformInputIteratorIb7NonZeroIiEPilEEPllNS8_6detail34convert_binary_result_type_wrapperINS8_3SumESD_lEEEE10hipError_tPvRmT1_T2_T3_mT4_P12ihipStream_tbEUlT_E1_NS1_11comp_targetILNS1_3genE8ELNS1_11target_archE1030ELNS1_3gpuE2ELNS1_3repE0EEENS1_30default_config_static_selectorELNS0_4arch9wavefront6targetE1EEEvSM_
	.globl	_ZN7rocprim17ROCPRIM_400000_NS6detail17trampoline_kernelINS0_14default_configENS1_22reduce_config_selectorIbEEZNS1_11reduce_implILb1ES3_N6hipcub16HIPCUB_304000_NS22TransformInputIteratorIb7NonZeroIiEPilEEPllNS8_6detail34convert_binary_result_type_wrapperINS8_3SumESD_lEEEE10hipError_tPvRmT1_T2_T3_mT4_P12ihipStream_tbEUlT_E1_NS1_11comp_targetILNS1_3genE8ELNS1_11target_archE1030ELNS1_3gpuE2ELNS1_3repE0EEENS1_30default_config_static_selectorELNS0_4arch9wavefront6targetE1EEEvSM_
	.p2align	8
	.type	_ZN7rocprim17ROCPRIM_400000_NS6detail17trampoline_kernelINS0_14default_configENS1_22reduce_config_selectorIbEEZNS1_11reduce_implILb1ES3_N6hipcub16HIPCUB_304000_NS22TransformInputIteratorIb7NonZeroIiEPilEEPllNS8_6detail34convert_binary_result_type_wrapperINS8_3SumESD_lEEEE10hipError_tPvRmT1_T2_T3_mT4_P12ihipStream_tbEUlT_E1_NS1_11comp_targetILNS1_3genE8ELNS1_11target_archE1030ELNS1_3gpuE2ELNS1_3repE0EEENS1_30default_config_static_selectorELNS0_4arch9wavefront6targetE1EEEvSM_,@function
_ZN7rocprim17ROCPRIM_400000_NS6detail17trampoline_kernelINS0_14default_configENS1_22reduce_config_selectorIbEEZNS1_11reduce_implILb1ES3_N6hipcub16HIPCUB_304000_NS22TransformInputIteratorIb7NonZeroIiEPilEEPllNS8_6detail34convert_binary_result_type_wrapperINS8_3SumESD_lEEEE10hipError_tPvRmT1_T2_T3_mT4_P12ihipStream_tbEUlT_E1_NS1_11comp_targetILNS1_3genE8ELNS1_11target_archE1030ELNS1_3gpuE2ELNS1_3repE0EEENS1_30default_config_static_selectorELNS0_4arch9wavefront6targetE1EEEvSM_: ; @_ZN7rocprim17ROCPRIM_400000_NS6detail17trampoline_kernelINS0_14default_configENS1_22reduce_config_selectorIbEEZNS1_11reduce_implILb1ES3_N6hipcub16HIPCUB_304000_NS22TransformInputIteratorIb7NonZeroIiEPilEEPllNS8_6detail34convert_binary_result_type_wrapperINS8_3SumESD_lEEEE10hipError_tPvRmT1_T2_T3_mT4_P12ihipStream_tbEUlT_E1_NS1_11comp_targetILNS1_3genE8ELNS1_11target_archE1030ELNS1_3gpuE2ELNS1_3repE0EEENS1_30default_config_static_selectorELNS0_4arch9wavefront6targetE1EEEvSM_
; %bb.0:
	.section	.rodata,"a",@progbits
	.p2align	6, 0x0
	.amdhsa_kernel _ZN7rocprim17ROCPRIM_400000_NS6detail17trampoline_kernelINS0_14default_configENS1_22reduce_config_selectorIbEEZNS1_11reduce_implILb1ES3_N6hipcub16HIPCUB_304000_NS22TransformInputIteratorIb7NonZeroIiEPilEEPllNS8_6detail34convert_binary_result_type_wrapperINS8_3SumESD_lEEEE10hipError_tPvRmT1_T2_T3_mT4_P12ihipStream_tbEUlT_E1_NS1_11comp_targetILNS1_3genE8ELNS1_11target_archE1030ELNS1_3gpuE2ELNS1_3repE0EEENS1_30default_config_static_selectorELNS0_4arch9wavefront6targetE1EEEvSM_
		.amdhsa_group_segment_fixed_size 0
		.amdhsa_private_segment_fixed_size 0
		.amdhsa_kernarg_size 56
		.amdhsa_user_sgpr_count 6
		.amdhsa_user_sgpr_private_segment_buffer 1
		.amdhsa_user_sgpr_dispatch_ptr 0
		.amdhsa_user_sgpr_queue_ptr 0
		.amdhsa_user_sgpr_kernarg_segment_ptr 1
		.amdhsa_user_sgpr_dispatch_id 0
		.amdhsa_user_sgpr_flat_scratch_init 0
		.amdhsa_user_sgpr_private_segment_size 0
		.amdhsa_uses_dynamic_stack 0
		.amdhsa_system_sgpr_private_segment_wavefront_offset 0
		.amdhsa_system_sgpr_workgroup_id_x 1
		.amdhsa_system_sgpr_workgroup_id_y 0
		.amdhsa_system_sgpr_workgroup_id_z 0
		.amdhsa_system_sgpr_workgroup_info 0
		.amdhsa_system_vgpr_workitem_id 0
		.amdhsa_next_free_vgpr 1
		.amdhsa_next_free_sgpr 0
		.amdhsa_reserve_vcc 0
		.amdhsa_reserve_flat_scratch 0
		.amdhsa_float_round_mode_32 0
		.amdhsa_float_round_mode_16_64 0
		.amdhsa_float_denorm_mode_32 3
		.amdhsa_float_denorm_mode_16_64 3
		.amdhsa_dx10_clamp 1
		.amdhsa_ieee_mode 1
		.amdhsa_fp16_overflow 0
		.amdhsa_exception_fp_ieee_invalid_op 0
		.amdhsa_exception_fp_denorm_src 0
		.amdhsa_exception_fp_ieee_div_zero 0
		.amdhsa_exception_fp_ieee_overflow 0
		.amdhsa_exception_fp_ieee_underflow 0
		.amdhsa_exception_fp_ieee_inexact 0
		.amdhsa_exception_int_div_zero 0
	.end_amdhsa_kernel
	.section	.text._ZN7rocprim17ROCPRIM_400000_NS6detail17trampoline_kernelINS0_14default_configENS1_22reduce_config_selectorIbEEZNS1_11reduce_implILb1ES3_N6hipcub16HIPCUB_304000_NS22TransformInputIteratorIb7NonZeroIiEPilEEPllNS8_6detail34convert_binary_result_type_wrapperINS8_3SumESD_lEEEE10hipError_tPvRmT1_T2_T3_mT4_P12ihipStream_tbEUlT_E1_NS1_11comp_targetILNS1_3genE8ELNS1_11target_archE1030ELNS1_3gpuE2ELNS1_3repE0EEENS1_30default_config_static_selectorELNS0_4arch9wavefront6targetE1EEEvSM_,"axG",@progbits,_ZN7rocprim17ROCPRIM_400000_NS6detail17trampoline_kernelINS0_14default_configENS1_22reduce_config_selectorIbEEZNS1_11reduce_implILb1ES3_N6hipcub16HIPCUB_304000_NS22TransformInputIteratorIb7NonZeroIiEPilEEPllNS8_6detail34convert_binary_result_type_wrapperINS8_3SumESD_lEEEE10hipError_tPvRmT1_T2_T3_mT4_P12ihipStream_tbEUlT_E1_NS1_11comp_targetILNS1_3genE8ELNS1_11target_archE1030ELNS1_3gpuE2ELNS1_3repE0EEENS1_30default_config_static_selectorELNS0_4arch9wavefront6targetE1EEEvSM_,comdat
.Lfunc_end184:
	.size	_ZN7rocprim17ROCPRIM_400000_NS6detail17trampoline_kernelINS0_14default_configENS1_22reduce_config_selectorIbEEZNS1_11reduce_implILb1ES3_N6hipcub16HIPCUB_304000_NS22TransformInputIteratorIb7NonZeroIiEPilEEPllNS8_6detail34convert_binary_result_type_wrapperINS8_3SumESD_lEEEE10hipError_tPvRmT1_T2_T3_mT4_P12ihipStream_tbEUlT_E1_NS1_11comp_targetILNS1_3genE8ELNS1_11target_archE1030ELNS1_3gpuE2ELNS1_3repE0EEENS1_30default_config_static_selectorELNS0_4arch9wavefront6targetE1EEEvSM_, .Lfunc_end184-_ZN7rocprim17ROCPRIM_400000_NS6detail17trampoline_kernelINS0_14default_configENS1_22reduce_config_selectorIbEEZNS1_11reduce_implILb1ES3_N6hipcub16HIPCUB_304000_NS22TransformInputIteratorIb7NonZeroIiEPilEEPllNS8_6detail34convert_binary_result_type_wrapperINS8_3SumESD_lEEEE10hipError_tPvRmT1_T2_T3_mT4_P12ihipStream_tbEUlT_E1_NS1_11comp_targetILNS1_3genE8ELNS1_11target_archE1030ELNS1_3gpuE2ELNS1_3repE0EEENS1_30default_config_static_selectorELNS0_4arch9wavefront6targetE1EEEvSM_
                                        ; -- End function
	.set _ZN7rocprim17ROCPRIM_400000_NS6detail17trampoline_kernelINS0_14default_configENS1_22reduce_config_selectorIbEEZNS1_11reduce_implILb1ES3_N6hipcub16HIPCUB_304000_NS22TransformInputIteratorIb7NonZeroIiEPilEEPllNS8_6detail34convert_binary_result_type_wrapperINS8_3SumESD_lEEEE10hipError_tPvRmT1_T2_T3_mT4_P12ihipStream_tbEUlT_E1_NS1_11comp_targetILNS1_3genE8ELNS1_11target_archE1030ELNS1_3gpuE2ELNS1_3repE0EEENS1_30default_config_static_selectorELNS0_4arch9wavefront6targetE1EEEvSM_.num_vgpr, 0
	.set _ZN7rocprim17ROCPRIM_400000_NS6detail17trampoline_kernelINS0_14default_configENS1_22reduce_config_selectorIbEEZNS1_11reduce_implILb1ES3_N6hipcub16HIPCUB_304000_NS22TransformInputIteratorIb7NonZeroIiEPilEEPllNS8_6detail34convert_binary_result_type_wrapperINS8_3SumESD_lEEEE10hipError_tPvRmT1_T2_T3_mT4_P12ihipStream_tbEUlT_E1_NS1_11comp_targetILNS1_3genE8ELNS1_11target_archE1030ELNS1_3gpuE2ELNS1_3repE0EEENS1_30default_config_static_selectorELNS0_4arch9wavefront6targetE1EEEvSM_.num_agpr, 0
	.set _ZN7rocprim17ROCPRIM_400000_NS6detail17trampoline_kernelINS0_14default_configENS1_22reduce_config_selectorIbEEZNS1_11reduce_implILb1ES3_N6hipcub16HIPCUB_304000_NS22TransformInputIteratorIb7NonZeroIiEPilEEPllNS8_6detail34convert_binary_result_type_wrapperINS8_3SumESD_lEEEE10hipError_tPvRmT1_T2_T3_mT4_P12ihipStream_tbEUlT_E1_NS1_11comp_targetILNS1_3genE8ELNS1_11target_archE1030ELNS1_3gpuE2ELNS1_3repE0EEENS1_30default_config_static_selectorELNS0_4arch9wavefront6targetE1EEEvSM_.numbered_sgpr, 0
	.set _ZN7rocprim17ROCPRIM_400000_NS6detail17trampoline_kernelINS0_14default_configENS1_22reduce_config_selectorIbEEZNS1_11reduce_implILb1ES3_N6hipcub16HIPCUB_304000_NS22TransformInputIteratorIb7NonZeroIiEPilEEPllNS8_6detail34convert_binary_result_type_wrapperINS8_3SumESD_lEEEE10hipError_tPvRmT1_T2_T3_mT4_P12ihipStream_tbEUlT_E1_NS1_11comp_targetILNS1_3genE8ELNS1_11target_archE1030ELNS1_3gpuE2ELNS1_3repE0EEENS1_30default_config_static_selectorELNS0_4arch9wavefront6targetE1EEEvSM_.num_named_barrier, 0
	.set _ZN7rocprim17ROCPRIM_400000_NS6detail17trampoline_kernelINS0_14default_configENS1_22reduce_config_selectorIbEEZNS1_11reduce_implILb1ES3_N6hipcub16HIPCUB_304000_NS22TransformInputIteratorIb7NonZeroIiEPilEEPllNS8_6detail34convert_binary_result_type_wrapperINS8_3SumESD_lEEEE10hipError_tPvRmT1_T2_T3_mT4_P12ihipStream_tbEUlT_E1_NS1_11comp_targetILNS1_3genE8ELNS1_11target_archE1030ELNS1_3gpuE2ELNS1_3repE0EEENS1_30default_config_static_selectorELNS0_4arch9wavefront6targetE1EEEvSM_.private_seg_size, 0
	.set _ZN7rocprim17ROCPRIM_400000_NS6detail17trampoline_kernelINS0_14default_configENS1_22reduce_config_selectorIbEEZNS1_11reduce_implILb1ES3_N6hipcub16HIPCUB_304000_NS22TransformInputIteratorIb7NonZeroIiEPilEEPllNS8_6detail34convert_binary_result_type_wrapperINS8_3SumESD_lEEEE10hipError_tPvRmT1_T2_T3_mT4_P12ihipStream_tbEUlT_E1_NS1_11comp_targetILNS1_3genE8ELNS1_11target_archE1030ELNS1_3gpuE2ELNS1_3repE0EEENS1_30default_config_static_selectorELNS0_4arch9wavefront6targetE1EEEvSM_.uses_vcc, 0
	.set _ZN7rocprim17ROCPRIM_400000_NS6detail17trampoline_kernelINS0_14default_configENS1_22reduce_config_selectorIbEEZNS1_11reduce_implILb1ES3_N6hipcub16HIPCUB_304000_NS22TransformInputIteratorIb7NonZeroIiEPilEEPllNS8_6detail34convert_binary_result_type_wrapperINS8_3SumESD_lEEEE10hipError_tPvRmT1_T2_T3_mT4_P12ihipStream_tbEUlT_E1_NS1_11comp_targetILNS1_3genE8ELNS1_11target_archE1030ELNS1_3gpuE2ELNS1_3repE0EEENS1_30default_config_static_selectorELNS0_4arch9wavefront6targetE1EEEvSM_.uses_flat_scratch, 0
	.set _ZN7rocprim17ROCPRIM_400000_NS6detail17trampoline_kernelINS0_14default_configENS1_22reduce_config_selectorIbEEZNS1_11reduce_implILb1ES3_N6hipcub16HIPCUB_304000_NS22TransformInputIteratorIb7NonZeroIiEPilEEPllNS8_6detail34convert_binary_result_type_wrapperINS8_3SumESD_lEEEE10hipError_tPvRmT1_T2_T3_mT4_P12ihipStream_tbEUlT_E1_NS1_11comp_targetILNS1_3genE8ELNS1_11target_archE1030ELNS1_3gpuE2ELNS1_3repE0EEENS1_30default_config_static_selectorELNS0_4arch9wavefront6targetE1EEEvSM_.has_dyn_sized_stack, 0
	.set _ZN7rocprim17ROCPRIM_400000_NS6detail17trampoline_kernelINS0_14default_configENS1_22reduce_config_selectorIbEEZNS1_11reduce_implILb1ES3_N6hipcub16HIPCUB_304000_NS22TransformInputIteratorIb7NonZeroIiEPilEEPllNS8_6detail34convert_binary_result_type_wrapperINS8_3SumESD_lEEEE10hipError_tPvRmT1_T2_T3_mT4_P12ihipStream_tbEUlT_E1_NS1_11comp_targetILNS1_3genE8ELNS1_11target_archE1030ELNS1_3gpuE2ELNS1_3repE0EEENS1_30default_config_static_selectorELNS0_4arch9wavefront6targetE1EEEvSM_.has_recursion, 0
	.set _ZN7rocprim17ROCPRIM_400000_NS6detail17trampoline_kernelINS0_14default_configENS1_22reduce_config_selectorIbEEZNS1_11reduce_implILb1ES3_N6hipcub16HIPCUB_304000_NS22TransformInputIteratorIb7NonZeroIiEPilEEPllNS8_6detail34convert_binary_result_type_wrapperINS8_3SumESD_lEEEE10hipError_tPvRmT1_T2_T3_mT4_P12ihipStream_tbEUlT_E1_NS1_11comp_targetILNS1_3genE8ELNS1_11target_archE1030ELNS1_3gpuE2ELNS1_3repE0EEENS1_30default_config_static_selectorELNS0_4arch9wavefront6targetE1EEEvSM_.has_indirect_call, 0
	.section	.AMDGPU.csdata,"",@progbits
; Kernel info:
; codeLenInByte = 0
; TotalNumSgprs: 4
; NumVgprs: 0
; ScratchSize: 0
; MemoryBound: 0
; FloatMode: 240
; IeeeMode: 1
; LDSByteSize: 0 bytes/workgroup (compile time only)
; SGPRBlocks: 0
; VGPRBlocks: 0
; NumSGPRsForWavesPerEU: 4
; NumVGPRsForWavesPerEU: 1
; Occupancy: 10
; WaveLimiterHint : 0
; COMPUTE_PGM_RSRC2:SCRATCH_EN: 0
; COMPUTE_PGM_RSRC2:USER_SGPR: 6
; COMPUTE_PGM_RSRC2:TRAP_HANDLER: 0
; COMPUTE_PGM_RSRC2:TGID_X_EN: 1
; COMPUTE_PGM_RSRC2:TGID_Y_EN: 0
; COMPUTE_PGM_RSRC2:TGID_Z_EN: 0
; COMPUTE_PGM_RSRC2:TIDIG_COMP_CNT: 0
	.section	.text._ZN7rocprim17ROCPRIM_400000_NS6detail17trampoline_kernelINS0_14default_configENS1_25partition_config_selectorILNS1_17partition_subalgoE5ElNS0_10empty_typeEbEEZZNS1_14partition_implILS5_5ELb0ES3_mN6hipcub16HIPCUB_304000_NS21CountingInputIteratorIllEEPS6_NSA_22TransformInputIteratorIb7NonZeroIiEPilEENS0_5tupleIJPlS6_EEENSJ_IJSD_SD_EEES6_SK_JS6_EEE10hipError_tPvRmT3_T4_T5_T6_T7_T9_mT8_P12ihipStream_tbDpT10_ENKUlT_T0_E_clISt17integral_constantIbLb0EES16_EEDaS11_S12_EUlS11_E_NS1_11comp_targetILNS1_3genE0ELNS1_11target_archE4294967295ELNS1_3gpuE0ELNS1_3repE0EEENS1_30default_config_static_selectorELNS0_4arch9wavefront6targetE1EEEvT1_,"axG",@progbits,_ZN7rocprim17ROCPRIM_400000_NS6detail17trampoline_kernelINS0_14default_configENS1_25partition_config_selectorILNS1_17partition_subalgoE5ElNS0_10empty_typeEbEEZZNS1_14partition_implILS5_5ELb0ES3_mN6hipcub16HIPCUB_304000_NS21CountingInputIteratorIllEEPS6_NSA_22TransformInputIteratorIb7NonZeroIiEPilEENS0_5tupleIJPlS6_EEENSJ_IJSD_SD_EEES6_SK_JS6_EEE10hipError_tPvRmT3_T4_T5_T6_T7_T9_mT8_P12ihipStream_tbDpT10_ENKUlT_T0_E_clISt17integral_constantIbLb0EES16_EEDaS11_S12_EUlS11_E_NS1_11comp_targetILNS1_3genE0ELNS1_11target_archE4294967295ELNS1_3gpuE0ELNS1_3repE0EEENS1_30default_config_static_selectorELNS0_4arch9wavefront6targetE1EEEvT1_,comdat
	.protected	_ZN7rocprim17ROCPRIM_400000_NS6detail17trampoline_kernelINS0_14default_configENS1_25partition_config_selectorILNS1_17partition_subalgoE5ElNS0_10empty_typeEbEEZZNS1_14partition_implILS5_5ELb0ES3_mN6hipcub16HIPCUB_304000_NS21CountingInputIteratorIllEEPS6_NSA_22TransformInputIteratorIb7NonZeroIiEPilEENS0_5tupleIJPlS6_EEENSJ_IJSD_SD_EEES6_SK_JS6_EEE10hipError_tPvRmT3_T4_T5_T6_T7_T9_mT8_P12ihipStream_tbDpT10_ENKUlT_T0_E_clISt17integral_constantIbLb0EES16_EEDaS11_S12_EUlS11_E_NS1_11comp_targetILNS1_3genE0ELNS1_11target_archE4294967295ELNS1_3gpuE0ELNS1_3repE0EEENS1_30default_config_static_selectorELNS0_4arch9wavefront6targetE1EEEvT1_ ; -- Begin function _ZN7rocprim17ROCPRIM_400000_NS6detail17trampoline_kernelINS0_14default_configENS1_25partition_config_selectorILNS1_17partition_subalgoE5ElNS0_10empty_typeEbEEZZNS1_14partition_implILS5_5ELb0ES3_mN6hipcub16HIPCUB_304000_NS21CountingInputIteratorIllEEPS6_NSA_22TransformInputIteratorIb7NonZeroIiEPilEENS0_5tupleIJPlS6_EEENSJ_IJSD_SD_EEES6_SK_JS6_EEE10hipError_tPvRmT3_T4_T5_T6_T7_T9_mT8_P12ihipStream_tbDpT10_ENKUlT_T0_E_clISt17integral_constantIbLb0EES16_EEDaS11_S12_EUlS11_E_NS1_11comp_targetILNS1_3genE0ELNS1_11target_archE4294967295ELNS1_3gpuE0ELNS1_3repE0EEENS1_30default_config_static_selectorELNS0_4arch9wavefront6targetE1EEEvT1_
	.globl	_ZN7rocprim17ROCPRIM_400000_NS6detail17trampoline_kernelINS0_14default_configENS1_25partition_config_selectorILNS1_17partition_subalgoE5ElNS0_10empty_typeEbEEZZNS1_14partition_implILS5_5ELb0ES3_mN6hipcub16HIPCUB_304000_NS21CountingInputIteratorIllEEPS6_NSA_22TransformInputIteratorIb7NonZeroIiEPilEENS0_5tupleIJPlS6_EEENSJ_IJSD_SD_EEES6_SK_JS6_EEE10hipError_tPvRmT3_T4_T5_T6_T7_T9_mT8_P12ihipStream_tbDpT10_ENKUlT_T0_E_clISt17integral_constantIbLb0EES16_EEDaS11_S12_EUlS11_E_NS1_11comp_targetILNS1_3genE0ELNS1_11target_archE4294967295ELNS1_3gpuE0ELNS1_3repE0EEENS1_30default_config_static_selectorELNS0_4arch9wavefront6targetE1EEEvT1_
	.p2align	8
	.type	_ZN7rocprim17ROCPRIM_400000_NS6detail17trampoline_kernelINS0_14default_configENS1_25partition_config_selectorILNS1_17partition_subalgoE5ElNS0_10empty_typeEbEEZZNS1_14partition_implILS5_5ELb0ES3_mN6hipcub16HIPCUB_304000_NS21CountingInputIteratorIllEEPS6_NSA_22TransformInputIteratorIb7NonZeroIiEPilEENS0_5tupleIJPlS6_EEENSJ_IJSD_SD_EEES6_SK_JS6_EEE10hipError_tPvRmT3_T4_T5_T6_T7_T9_mT8_P12ihipStream_tbDpT10_ENKUlT_T0_E_clISt17integral_constantIbLb0EES16_EEDaS11_S12_EUlS11_E_NS1_11comp_targetILNS1_3genE0ELNS1_11target_archE4294967295ELNS1_3gpuE0ELNS1_3repE0EEENS1_30default_config_static_selectorELNS0_4arch9wavefront6targetE1EEEvT1_,@function
_ZN7rocprim17ROCPRIM_400000_NS6detail17trampoline_kernelINS0_14default_configENS1_25partition_config_selectorILNS1_17partition_subalgoE5ElNS0_10empty_typeEbEEZZNS1_14partition_implILS5_5ELb0ES3_mN6hipcub16HIPCUB_304000_NS21CountingInputIteratorIllEEPS6_NSA_22TransformInputIteratorIb7NonZeroIiEPilEENS0_5tupleIJPlS6_EEENSJ_IJSD_SD_EEES6_SK_JS6_EEE10hipError_tPvRmT3_T4_T5_T6_T7_T9_mT8_P12ihipStream_tbDpT10_ENKUlT_T0_E_clISt17integral_constantIbLb0EES16_EEDaS11_S12_EUlS11_E_NS1_11comp_targetILNS1_3genE0ELNS1_11target_archE4294967295ELNS1_3gpuE0ELNS1_3repE0EEENS1_30default_config_static_selectorELNS0_4arch9wavefront6targetE1EEEvT1_: ; @_ZN7rocprim17ROCPRIM_400000_NS6detail17trampoline_kernelINS0_14default_configENS1_25partition_config_selectorILNS1_17partition_subalgoE5ElNS0_10empty_typeEbEEZZNS1_14partition_implILS5_5ELb0ES3_mN6hipcub16HIPCUB_304000_NS21CountingInputIteratorIllEEPS6_NSA_22TransformInputIteratorIb7NonZeroIiEPilEENS0_5tupleIJPlS6_EEENSJ_IJSD_SD_EEES6_SK_JS6_EEE10hipError_tPvRmT3_T4_T5_T6_T7_T9_mT8_P12ihipStream_tbDpT10_ENKUlT_T0_E_clISt17integral_constantIbLb0EES16_EEDaS11_S12_EUlS11_E_NS1_11comp_targetILNS1_3genE0ELNS1_11target_archE4294967295ELNS1_3gpuE0ELNS1_3repE0EEENS1_30default_config_static_selectorELNS0_4arch9wavefront6targetE1EEEvT1_
; %bb.0:
	.section	.rodata,"a",@progbits
	.p2align	6, 0x0
	.amdhsa_kernel _ZN7rocprim17ROCPRIM_400000_NS6detail17trampoline_kernelINS0_14default_configENS1_25partition_config_selectorILNS1_17partition_subalgoE5ElNS0_10empty_typeEbEEZZNS1_14partition_implILS5_5ELb0ES3_mN6hipcub16HIPCUB_304000_NS21CountingInputIteratorIllEEPS6_NSA_22TransformInputIteratorIb7NonZeroIiEPilEENS0_5tupleIJPlS6_EEENSJ_IJSD_SD_EEES6_SK_JS6_EEE10hipError_tPvRmT3_T4_T5_T6_T7_T9_mT8_P12ihipStream_tbDpT10_ENKUlT_T0_E_clISt17integral_constantIbLb0EES16_EEDaS11_S12_EUlS11_E_NS1_11comp_targetILNS1_3genE0ELNS1_11target_archE4294967295ELNS1_3gpuE0ELNS1_3repE0EEENS1_30default_config_static_selectorELNS0_4arch9wavefront6targetE1EEEvT1_
		.amdhsa_group_segment_fixed_size 0
		.amdhsa_private_segment_fixed_size 0
		.amdhsa_kernarg_size 120
		.amdhsa_user_sgpr_count 6
		.amdhsa_user_sgpr_private_segment_buffer 1
		.amdhsa_user_sgpr_dispatch_ptr 0
		.amdhsa_user_sgpr_queue_ptr 0
		.amdhsa_user_sgpr_kernarg_segment_ptr 1
		.amdhsa_user_sgpr_dispatch_id 0
		.amdhsa_user_sgpr_flat_scratch_init 0
		.amdhsa_user_sgpr_private_segment_size 0
		.amdhsa_uses_dynamic_stack 0
		.amdhsa_system_sgpr_private_segment_wavefront_offset 0
		.amdhsa_system_sgpr_workgroup_id_x 1
		.amdhsa_system_sgpr_workgroup_id_y 0
		.amdhsa_system_sgpr_workgroup_id_z 0
		.amdhsa_system_sgpr_workgroup_info 0
		.amdhsa_system_vgpr_workitem_id 0
		.amdhsa_next_free_vgpr 1
		.amdhsa_next_free_sgpr 0
		.amdhsa_reserve_vcc 0
		.amdhsa_reserve_flat_scratch 0
		.amdhsa_float_round_mode_32 0
		.amdhsa_float_round_mode_16_64 0
		.amdhsa_float_denorm_mode_32 3
		.amdhsa_float_denorm_mode_16_64 3
		.amdhsa_dx10_clamp 1
		.amdhsa_ieee_mode 1
		.amdhsa_fp16_overflow 0
		.amdhsa_exception_fp_ieee_invalid_op 0
		.amdhsa_exception_fp_denorm_src 0
		.amdhsa_exception_fp_ieee_div_zero 0
		.amdhsa_exception_fp_ieee_overflow 0
		.amdhsa_exception_fp_ieee_underflow 0
		.amdhsa_exception_fp_ieee_inexact 0
		.amdhsa_exception_int_div_zero 0
	.end_amdhsa_kernel
	.section	.text._ZN7rocprim17ROCPRIM_400000_NS6detail17trampoline_kernelINS0_14default_configENS1_25partition_config_selectorILNS1_17partition_subalgoE5ElNS0_10empty_typeEbEEZZNS1_14partition_implILS5_5ELb0ES3_mN6hipcub16HIPCUB_304000_NS21CountingInputIteratorIllEEPS6_NSA_22TransformInputIteratorIb7NonZeroIiEPilEENS0_5tupleIJPlS6_EEENSJ_IJSD_SD_EEES6_SK_JS6_EEE10hipError_tPvRmT3_T4_T5_T6_T7_T9_mT8_P12ihipStream_tbDpT10_ENKUlT_T0_E_clISt17integral_constantIbLb0EES16_EEDaS11_S12_EUlS11_E_NS1_11comp_targetILNS1_3genE0ELNS1_11target_archE4294967295ELNS1_3gpuE0ELNS1_3repE0EEENS1_30default_config_static_selectorELNS0_4arch9wavefront6targetE1EEEvT1_,"axG",@progbits,_ZN7rocprim17ROCPRIM_400000_NS6detail17trampoline_kernelINS0_14default_configENS1_25partition_config_selectorILNS1_17partition_subalgoE5ElNS0_10empty_typeEbEEZZNS1_14partition_implILS5_5ELb0ES3_mN6hipcub16HIPCUB_304000_NS21CountingInputIteratorIllEEPS6_NSA_22TransformInputIteratorIb7NonZeroIiEPilEENS0_5tupleIJPlS6_EEENSJ_IJSD_SD_EEES6_SK_JS6_EEE10hipError_tPvRmT3_T4_T5_T6_T7_T9_mT8_P12ihipStream_tbDpT10_ENKUlT_T0_E_clISt17integral_constantIbLb0EES16_EEDaS11_S12_EUlS11_E_NS1_11comp_targetILNS1_3genE0ELNS1_11target_archE4294967295ELNS1_3gpuE0ELNS1_3repE0EEENS1_30default_config_static_selectorELNS0_4arch9wavefront6targetE1EEEvT1_,comdat
.Lfunc_end185:
	.size	_ZN7rocprim17ROCPRIM_400000_NS6detail17trampoline_kernelINS0_14default_configENS1_25partition_config_selectorILNS1_17partition_subalgoE5ElNS0_10empty_typeEbEEZZNS1_14partition_implILS5_5ELb0ES3_mN6hipcub16HIPCUB_304000_NS21CountingInputIteratorIllEEPS6_NSA_22TransformInputIteratorIb7NonZeroIiEPilEENS0_5tupleIJPlS6_EEENSJ_IJSD_SD_EEES6_SK_JS6_EEE10hipError_tPvRmT3_T4_T5_T6_T7_T9_mT8_P12ihipStream_tbDpT10_ENKUlT_T0_E_clISt17integral_constantIbLb0EES16_EEDaS11_S12_EUlS11_E_NS1_11comp_targetILNS1_3genE0ELNS1_11target_archE4294967295ELNS1_3gpuE0ELNS1_3repE0EEENS1_30default_config_static_selectorELNS0_4arch9wavefront6targetE1EEEvT1_, .Lfunc_end185-_ZN7rocprim17ROCPRIM_400000_NS6detail17trampoline_kernelINS0_14default_configENS1_25partition_config_selectorILNS1_17partition_subalgoE5ElNS0_10empty_typeEbEEZZNS1_14partition_implILS5_5ELb0ES3_mN6hipcub16HIPCUB_304000_NS21CountingInputIteratorIllEEPS6_NSA_22TransformInputIteratorIb7NonZeroIiEPilEENS0_5tupleIJPlS6_EEENSJ_IJSD_SD_EEES6_SK_JS6_EEE10hipError_tPvRmT3_T4_T5_T6_T7_T9_mT8_P12ihipStream_tbDpT10_ENKUlT_T0_E_clISt17integral_constantIbLb0EES16_EEDaS11_S12_EUlS11_E_NS1_11comp_targetILNS1_3genE0ELNS1_11target_archE4294967295ELNS1_3gpuE0ELNS1_3repE0EEENS1_30default_config_static_selectorELNS0_4arch9wavefront6targetE1EEEvT1_
                                        ; -- End function
	.set _ZN7rocprim17ROCPRIM_400000_NS6detail17trampoline_kernelINS0_14default_configENS1_25partition_config_selectorILNS1_17partition_subalgoE5ElNS0_10empty_typeEbEEZZNS1_14partition_implILS5_5ELb0ES3_mN6hipcub16HIPCUB_304000_NS21CountingInputIteratorIllEEPS6_NSA_22TransformInputIteratorIb7NonZeroIiEPilEENS0_5tupleIJPlS6_EEENSJ_IJSD_SD_EEES6_SK_JS6_EEE10hipError_tPvRmT3_T4_T5_T6_T7_T9_mT8_P12ihipStream_tbDpT10_ENKUlT_T0_E_clISt17integral_constantIbLb0EES16_EEDaS11_S12_EUlS11_E_NS1_11comp_targetILNS1_3genE0ELNS1_11target_archE4294967295ELNS1_3gpuE0ELNS1_3repE0EEENS1_30default_config_static_selectorELNS0_4arch9wavefront6targetE1EEEvT1_.num_vgpr, 0
	.set _ZN7rocprim17ROCPRIM_400000_NS6detail17trampoline_kernelINS0_14default_configENS1_25partition_config_selectorILNS1_17partition_subalgoE5ElNS0_10empty_typeEbEEZZNS1_14partition_implILS5_5ELb0ES3_mN6hipcub16HIPCUB_304000_NS21CountingInputIteratorIllEEPS6_NSA_22TransformInputIteratorIb7NonZeroIiEPilEENS0_5tupleIJPlS6_EEENSJ_IJSD_SD_EEES6_SK_JS6_EEE10hipError_tPvRmT3_T4_T5_T6_T7_T9_mT8_P12ihipStream_tbDpT10_ENKUlT_T0_E_clISt17integral_constantIbLb0EES16_EEDaS11_S12_EUlS11_E_NS1_11comp_targetILNS1_3genE0ELNS1_11target_archE4294967295ELNS1_3gpuE0ELNS1_3repE0EEENS1_30default_config_static_selectorELNS0_4arch9wavefront6targetE1EEEvT1_.num_agpr, 0
	.set _ZN7rocprim17ROCPRIM_400000_NS6detail17trampoline_kernelINS0_14default_configENS1_25partition_config_selectorILNS1_17partition_subalgoE5ElNS0_10empty_typeEbEEZZNS1_14partition_implILS5_5ELb0ES3_mN6hipcub16HIPCUB_304000_NS21CountingInputIteratorIllEEPS6_NSA_22TransformInputIteratorIb7NonZeroIiEPilEENS0_5tupleIJPlS6_EEENSJ_IJSD_SD_EEES6_SK_JS6_EEE10hipError_tPvRmT3_T4_T5_T6_T7_T9_mT8_P12ihipStream_tbDpT10_ENKUlT_T0_E_clISt17integral_constantIbLb0EES16_EEDaS11_S12_EUlS11_E_NS1_11comp_targetILNS1_3genE0ELNS1_11target_archE4294967295ELNS1_3gpuE0ELNS1_3repE0EEENS1_30default_config_static_selectorELNS0_4arch9wavefront6targetE1EEEvT1_.numbered_sgpr, 0
	.set _ZN7rocprim17ROCPRIM_400000_NS6detail17trampoline_kernelINS0_14default_configENS1_25partition_config_selectorILNS1_17partition_subalgoE5ElNS0_10empty_typeEbEEZZNS1_14partition_implILS5_5ELb0ES3_mN6hipcub16HIPCUB_304000_NS21CountingInputIteratorIllEEPS6_NSA_22TransformInputIteratorIb7NonZeroIiEPilEENS0_5tupleIJPlS6_EEENSJ_IJSD_SD_EEES6_SK_JS6_EEE10hipError_tPvRmT3_T4_T5_T6_T7_T9_mT8_P12ihipStream_tbDpT10_ENKUlT_T0_E_clISt17integral_constantIbLb0EES16_EEDaS11_S12_EUlS11_E_NS1_11comp_targetILNS1_3genE0ELNS1_11target_archE4294967295ELNS1_3gpuE0ELNS1_3repE0EEENS1_30default_config_static_selectorELNS0_4arch9wavefront6targetE1EEEvT1_.num_named_barrier, 0
	.set _ZN7rocprim17ROCPRIM_400000_NS6detail17trampoline_kernelINS0_14default_configENS1_25partition_config_selectorILNS1_17partition_subalgoE5ElNS0_10empty_typeEbEEZZNS1_14partition_implILS5_5ELb0ES3_mN6hipcub16HIPCUB_304000_NS21CountingInputIteratorIllEEPS6_NSA_22TransformInputIteratorIb7NonZeroIiEPilEENS0_5tupleIJPlS6_EEENSJ_IJSD_SD_EEES6_SK_JS6_EEE10hipError_tPvRmT3_T4_T5_T6_T7_T9_mT8_P12ihipStream_tbDpT10_ENKUlT_T0_E_clISt17integral_constantIbLb0EES16_EEDaS11_S12_EUlS11_E_NS1_11comp_targetILNS1_3genE0ELNS1_11target_archE4294967295ELNS1_3gpuE0ELNS1_3repE0EEENS1_30default_config_static_selectorELNS0_4arch9wavefront6targetE1EEEvT1_.private_seg_size, 0
	.set _ZN7rocprim17ROCPRIM_400000_NS6detail17trampoline_kernelINS0_14default_configENS1_25partition_config_selectorILNS1_17partition_subalgoE5ElNS0_10empty_typeEbEEZZNS1_14partition_implILS5_5ELb0ES3_mN6hipcub16HIPCUB_304000_NS21CountingInputIteratorIllEEPS6_NSA_22TransformInputIteratorIb7NonZeroIiEPilEENS0_5tupleIJPlS6_EEENSJ_IJSD_SD_EEES6_SK_JS6_EEE10hipError_tPvRmT3_T4_T5_T6_T7_T9_mT8_P12ihipStream_tbDpT10_ENKUlT_T0_E_clISt17integral_constantIbLb0EES16_EEDaS11_S12_EUlS11_E_NS1_11comp_targetILNS1_3genE0ELNS1_11target_archE4294967295ELNS1_3gpuE0ELNS1_3repE0EEENS1_30default_config_static_selectorELNS0_4arch9wavefront6targetE1EEEvT1_.uses_vcc, 0
	.set _ZN7rocprim17ROCPRIM_400000_NS6detail17trampoline_kernelINS0_14default_configENS1_25partition_config_selectorILNS1_17partition_subalgoE5ElNS0_10empty_typeEbEEZZNS1_14partition_implILS5_5ELb0ES3_mN6hipcub16HIPCUB_304000_NS21CountingInputIteratorIllEEPS6_NSA_22TransformInputIteratorIb7NonZeroIiEPilEENS0_5tupleIJPlS6_EEENSJ_IJSD_SD_EEES6_SK_JS6_EEE10hipError_tPvRmT3_T4_T5_T6_T7_T9_mT8_P12ihipStream_tbDpT10_ENKUlT_T0_E_clISt17integral_constantIbLb0EES16_EEDaS11_S12_EUlS11_E_NS1_11comp_targetILNS1_3genE0ELNS1_11target_archE4294967295ELNS1_3gpuE0ELNS1_3repE0EEENS1_30default_config_static_selectorELNS0_4arch9wavefront6targetE1EEEvT1_.uses_flat_scratch, 0
	.set _ZN7rocprim17ROCPRIM_400000_NS6detail17trampoline_kernelINS0_14default_configENS1_25partition_config_selectorILNS1_17partition_subalgoE5ElNS0_10empty_typeEbEEZZNS1_14partition_implILS5_5ELb0ES3_mN6hipcub16HIPCUB_304000_NS21CountingInputIteratorIllEEPS6_NSA_22TransformInputIteratorIb7NonZeroIiEPilEENS0_5tupleIJPlS6_EEENSJ_IJSD_SD_EEES6_SK_JS6_EEE10hipError_tPvRmT3_T4_T5_T6_T7_T9_mT8_P12ihipStream_tbDpT10_ENKUlT_T0_E_clISt17integral_constantIbLb0EES16_EEDaS11_S12_EUlS11_E_NS1_11comp_targetILNS1_3genE0ELNS1_11target_archE4294967295ELNS1_3gpuE0ELNS1_3repE0EEENS1_30default_config_static_selectorELNS0_4arch9wavefront6targetE1EEEvT1_.has_dyn_sized_stack, 0
	.set _ZN7rocprim17ROCPRIM_400000_NS6detail17trampoline_kernelINS0_14default_configENS1_25partition_config_selectorILNS1_17partition_subalgoE5ElNS0_10empty_typeEbEEZZNS1_14partition_implILS5_5ELb0ES3_mN6hipcub16HIPCUB_304000_NS21CountingInputIteratorIllEEPS6_NSA_22TransformInputIteratorIb7NonZeroIiEPilEENS0_5tupleIJPlS6_EEENSJ_IJSD_SD_EEES6_SK_JS6_EEE10hipError_tPvRmT3_T4_T5_T6_T7_T9_mT8_P12ihipStream_tbDpT10_ENKUlT_T0_E_clISt17integral_constantIbLb0EES16_EEDaS11_S12_EUlS11_E_NS1_11comp_targetILNS1_3genE0ELNS1_11target_archE4294967295ELNS1_3gpuE0ELNS1_3repE0EEENS1_30default_config_static_selectorELNS0_4arch9wavefront6targetE1EEEvT1_.has_recursion, 0
	.set _ZN7rocprim17ROCPRIM_400000_NS6detail17trampoline_kernelINS0_14default_configENS1_25partition_config_selectorILNS1_17partition_subalgoE5ElNS0_10empty_typeEbEEZZNS1_14partition_implILS5_5ELb0ES3_mN6hipcub16HIPCUB_304000_NS21CountingInputIteratorIllEEPS6_NSA_22TransformInputIteratorIb7NonZeroIiEPilEENS0_5tupleIJPlS6_EEENSJ_IJSD_SD_EEES6_SK_JS6_EEE10hipError_tPvRmT3_T4_T5_T6_T7_T9_mT8_P12ihipStream_tbDpT10_ENKUlT_T0_E_clISt17integral_constantIbLb0EES16_EEDaS11_S12_EUlS11_E_NS1_11comp_targetILNS1_3genE0ELNS1_11target_archE4294967295ELNS1_3gpuE0ELNS1_3repE0EEENS1_30default_config_static_selectorELNS0_4arch9wavefront6targetE1EEEvT1_.has_indirect_call, 0
	.section	.AMDGPU.csdata,"",@progbits
; Kernel info:
; codeLenInByte = 0
; TotalNumSgprs: 4
; NumVgprs: 0
; ScratchSize: 0
; MemoryBound: 0
; FloatMode: 240
; IeeeMode: 1
; LDSByteSize: 0 bytes/workgroup (compile time only)
; SGPRBlocks: 0
; VGPRBlocks: 0
; NumSGPRsForWavesPerEU: 4
; NumVGPRsForWavesPerEU: 1
; Occupancy: 10
; WaveLimiterHint : 0
; COMPUTE_PGM_RSRC2:SCRATCH_EN: 0
; COMPUTE_PGM_RSRC2:USER_SGPR: 6
; COMPUTE_PGM_RSRC2:TRAP_HANDLER: 0
; COMPUTE_PGM_RSRC2:TGID_X_EN: 1
; COMPUTE_PGM_RSRC2:TGID_Y_EN: 0
; COMPUTE_PGM_RSRC2:TGID_Z_EN: 0
; COMPUTE_PGM_RSRC2:TIDIG_COMP_CNT: 0
	.section	.text._ZN7rocprim17ROCPRIM_400000_NS6detail17trampoline_kernelINS0_14default_configENS1_25partition_config_selectorILNS1_17partition_subalgoE5ElNS0_10empty_typeEbEEZZNS1_14partition_implILS5_5ELb0ES3_mN6hipcub16HIPCUB_304000_NS21CountingInputIteratorIllEEPS6_NSA_22TransformInputIteratorIb7NonZeroIiEPilEENS0_5tupleIJPlS6_EEENSJ_IJSD_SD_EEES6_SK_JS6_EEE10hipError_tPvRmT3_T4_T5_T6_T7_T9_mT8_P12ihipStream_tbDpT10_ENKUlT_T0_E_clISt17integral_constantIbLb0EES16_EEDaS11_S12_EUlS11_E_NS1_11comp_targetILNS1_3genE5ELNS1_11target_archE942ELNS1_3gpuE9ELNS1_3repE0EEENS1_30default_config_static_selectorELNS0_4arch9wavefront6targetE1EEEvT1_,"axG",@progbits,_ZN7rocprim17ROCPRIM_400000_NS6detail17trampoline_kernelINS0_14default_configENS1_25partition_config_selectorILNS1_17partition_subalgoE5ElNS0_10empty_typeEbEEZZNS1_14partition_implILS5_5ELb0ES3_mN6hipcub16HIPCUB_304000_NS21CountingInputIteratorIllEEPS6_NSA_22TransformInputIteratorIb7NonZeroIiEPilEENS0_5tupleIJPlS6_EEENSJ_IJSD_SD_EEES6_SK_JS6_EEE10hipError_tPvRmT3_T4_T5_T6_T7_T9_mT8_P12ihipStream_tbDpT10_ENKUlT_T0_E_clISt17integral_constantIbLb0EES16_EEDaS11_S12_EUlS11_E_NS1_11comp_targetILNS1_3genE5ELNS1_11target_archE942ELNS1_3gpuE9ELNS1_3repE0EEENS1_30default_config_static_selectorELNS0_4arch9wavefront6targetE1EEEvT1_,comdat
	.protected	_ZN7rocprim17ROCPRIM_400000_NS6detail17trampoline_kernelINS0_14default_configENS1_25partition_config_selectorILNS1_17partition_subalgoE5ElNS0_10empty_typeEbEEZZNS1_14partition_implILS5_5ELb0ES3_mN6hipcub16HIPCUB_304000_NS21CountingInputIteratorIllEEPS6_NSA_22TransformInputIteratorIb7NonZeroIiEPilEENS0_5tupleIJPlS6_EEENSJ_IJSD_SD_EEES6_SK_JS6_EEE10hipError_tPvRmT3_T4_T5_T6_T7_T9_mT8_P12ihipStream_tbDpT10_ENKUlT_T0_E_clISt17integral_constantIbLb0EES16_EEDaS11_S12_EUlS11_E_NS1_11comp_targetILNS1_3genE5ELNS1_11target_archE942ELNS1_3gpuE9ELNS1_3repE0EEENS1_30default_config_static_selectorELNS0_4arch9wavefront6targetE1EEEvT1_ ; -- Begin function _ZN7rocprim17ROCPRIM_400000_NS6detail17trampoline_kernelINS0_14default_configENS1_25partition_config_selectorILNS1_17partition_subalgoE5ElNS0_10empty_typeEbEEZZNS1_14partition_implILS5_5ELb0ES3_mN6hipcub16HIPCUB_304000_NS21CountingInputIteratorIllEEPS6_NSA_22TransformInputIteratorIb7NonZeroIiEPilEENS0_5tupleIJPlS6_EEENSJ_IJSD_SD_EEES6_SK_JS6_EEE10hipError_tPvRmT3_T4_T5_T6_T7_T9_mT8_P12ihipStream_tbDpT10_ENKUlT_T0_E_clISt17integral_constantIbLb0EES16_EEDaS11_S12_EUlS11_E_NS1_11comp_targetILNS1_3genE5ELNS1_11target_archE942ELNS1_3gpuE9ELNS1_3repE0EEENS1_30default_config_static_selectorELNS0_4arch9wavefront6targetE1EEEvT1_
	.globl	_ZN7rocprim17ROCPRIM_400000_NS6detail17trampoline_kernelINS0_14default_configENS1_25partition_config_selectorILNS1_17partition_subalgoE5ElNS0_10empty_typeEbEEZZNS1_14partition_implILS5_5ELb0ES3_mN6hipcub16HIPCUB_304000_NS21CountingInputIteratorIllEEPS6_NSA_22TransformInputIteratorIb7NonZeroIiEPilEENS0_5tupleIJPlS6_EEENSJ_IJSD_SD_EEES6_SK_JS6_EEE10hipError_tPvRmT3_T4_T5_T6_T7_T9_mT8_P12ihipStream_tbDpT10_ENKUlT_T0_E_clISt17integral_constantIbLb0EES16_EEDaS11_S12_EUlS11_E_NS1_11comp_targetILNS1_3genE5ELNS1_11target_archE942ELNS1_3gpuE9ELNS1_3repE0EEENS1_30default_config_static_selectorELNS0_4arch9wavefront6targetE1EEEvT1_
	.p2align	8
	.type	_ZN7rocprim17ROCPRIM_400000_NS6detail17trampoline_kernelINS0_14default_configENS1_25partition_config_selectorILNS1_17partition_subalgoE5ElNS0_10empty_typeEbEEZZNS1_14partition_implILS5_5ELb0ES3_mN6hipcub16HIPCUB_304000_NS21CountingInputIteratorIllEEPS6_NSA_22TransformInputIteratorIb7NonZeroIiEPilEENS0_5tupleIJPlS6_EEENSJ_IJSD_SD_EEES6_SK_JS6_EEE10hipError_tPvRmT3_T4_T5_T6_T7_T9_mT8_P12ihipStream_tbDpT10_ENKUlT_T0_E_clISt17integral_constantIbLb0EES16_EEDaS11_S12_EUlS11_E_NS1_11comp_targetILNS1_3genE5ELNS1_11target_archE942ELNS1_3gpuE9ELNS1_3repE0EEENS1_30default_config_static_selectorELNS0_4arch9wavefront6targetE1EEEvT1_,@function
_ZN7rocprim17ROCPRIM_400000_NS6detail17trampoline_kernelINS0_14default_configENS1_25partition_config_selectorILNS1_17partition_subalgoE5ElNS0_10empty_typeEbEEZZNS1_14partition_implILS5_5ELb0ES3_mN6hipcub16HIPCUB_304000_NS21CountingInputIteratorIllEEPS6_NSA_22TransformInputIteratorIb7NonZeroIiEPilEENS0_5tupleIJPlS6_EEENSJ_IJSD_SD_EEES6_SK_JS6_EEE10hipError_tPvRmT3_T4_T5_T6_T7_T9_mT8_P12ihipStream_tbDpT10_ENKUlT_T0_E_clISt17integral_constantIbLb0EES16_EEDaS11_S12_EUlS11_E_NS1_11comp_targetILNS1_3genE5ELNS1_11target_archE942ELNS1_3gpuE9ELNS1_3repE0EEENS1_30default_config_static_selectorELNS0_4arch9wavefront6targetE1EEEvT1_: ; @_ZN7rocprim17ROCPRIM_400000_NS6detail17trampoline_kernelINS0_14default_configENS1_25partition_config_selectorILNS1_17partition_subalgoE5ElNS0_10empty_typeEbEEZZNS1_14partition_implILS5_5ELb0ES3_mN6hipcub16HIPCUB_304000_NS21CountingInputIteratorIllEEPS6_NSA_22TransformInputIteratorIb7NonZeroIiEPilEENS0_5tupleIJPlS6_EEENSJ_IJSD_SD_EEES6_SK_JS6_EEE10hipError_tPvRmT3_T4_T5_T6_T7_T9_mT8_P12ihipStream_tbDpT10_ENKUlT_T0_E_clISt17integral_constantIbLb0EES16_EEDaS11_S12_EUlS11_E_NS1_11comp_targetILNS1_3genE5ELNS1_11target_archE942ELNS1_3gpuE9ELNS1_3repE0EEENS1_30default_config_static_selectorELNS0_4arch9wavefront6targetE1EEEvT1_
; %bb.0:
	.section	.rodata,"a",@progbits
	.p2align	6, 0x0
	.amdhsa_kernel _ZN7rocprim17ROCPRIM_400000_NS6detail17trampoline_kernelINS0_14default_configENS1_25partition_config_selectorILNS1_17partition_subalgoE5ElNS0_10empty_typeEbEEZZNS1_14partition_implILS5_5ELb0ES3_mN6hipcub16HIPCUB_304000_NS21CountingInputIteratorIllEEPS6_NSA_22TransformInputIteratorIb7NonZeroIiEPilEENS0_5tupleIJPlS6_EEENSJ_IJSD_SD_EEES6_SK_JS6_EEE10hipError_tPvRmT3_T4_T5_T6_T7_T9_mT8_P12ihipStream_tbDpT10_ENKUlT_T0_E_clISt17integral_constantIbLb0EES16_EEDaS11_S12_EUlS11_E_NS1_11comp_targetILNS1_3genE5ELNS1_11target_archE942ELNS1_3gpuE9ELNS1_3repE0EEENS1_30default_config_static_selectorELNS0_4arch9wavefront6targetE1EEEvT1_
		.amdhsa_group_segment_fixed_size 0
		.amdhsa_private_segment_fixed_size 0
		.amdhsa_kernarg_size 120
		.amdhsa_user_sgpr_count 6
		.amdhsa_user_sgpr_private_segment_buffer 1
		.amdhsa_user_sgpr_dispatch_ptr 0
		.amdhsa_user_sgpr_queue_ptr 0
		.amdhsa_user_sgpr_kernarg_segment_ptr 1
		.amdhsa_user_sgpr_dispatch_id 0
		.amdhsa_user_sgpr_flat_scratch_init 0
		.amdhsa_user_sgpr_private_segment_size 0
		.amdhsa_uses_dynamic_stack 0
		.amdhsa_system_sgpr_private_segment_wavefront_offset 0
		.amdhsa_system_sgpr_workgroup_id_x 1
		.amdhsa_system_sgpr_workgroup_id_y 0
		.amdhsa_system_sgpr_workgroup_id_z 0
		.amdhsa_system_sgpr_workgroup_info 0
		.amdhsa_system_vgpr_workitem_id 0
		.amdhsa_next_free_vgpr 1
		.amdhsa_next_free_sgpr 0
		.amdhsa_reserve_vcc 0
		.amdhsa_reserve_flat_scratch 0
		.amdhsa_float_round_mode_32 0
		.amdhsa_float_round_mode_16_64 0
		.amdhsa_float_denorm_mode_32 3
		.amdhsa_float_denorm_mode_16_64 3
		.amdhsa_dx10_clamp 1
		.amdhsa_ieee_mode 1
		.amdhsa_fp16_overflow 0
		.amdhsa_exception_fp_ieee_invalid_op 0
		.amdhsa_exception_fp_denorm_src 0
		.amdhsa_exception_fp_ieee_div_zero 0
		.amdhsa_exception_fp_ieee_overflow 0
		.amdhsa_exception_fp_ieee_underflow 0
		.amdhsa_exception_fp_ieee_inexact 0
		.amdhsa_exception_int_div_zero 0
	.end_amdhsa_kernel
	.section	.text._ZN7rocprim17ROCPRIM_400000_NS6detail17trampoline_kernelINS0_14default_configENS1_25partition_config_selectorILNS1_17partition_subalgoE5ElNS0_10empty_typeEbEEZZNS1_14partition_implILS5_5ELb0ES3_mN6hipcub16HIPCUB_304000_NS21CountingInputIteratorIllEEPS6_NSA_22TransformInputIteratorIb7NonZeroIiEPilEENS0_5tupleIJPlS6_EEENSJ_IJSD_SD_EEES6_SK_JS6_EEE10hipError_tPvRmT3_T4_T5_T6_T7_T9_mT8_P12ihipStream_tbDpT10_ENKUlT_T0_E_clISt17integral_constantIbLb0EES16_EEDaS11_S12_EUlS11_E_NS1_11comp_targetILNS1_3genE5ELNS1_11target_archE942ELNS1_3gpuE9ELNS1_3repE0EEENS1_30default_config_static_selectorELNS0_4arch9wavefront6targetE1EEEvT1_,"axG",@progbits,_ZN7rocprim17ROCPRIM_400000_NS6detail17trampoline_kernelINS0_14default_configENS1_25partition_config_selectorILNS1_17partition_subalgoE5ElNS0_10empty_typeEbEEZZNS1_14partition_implILS5_5ELb0ES3_mN6hipcub16HIPCUB_304000_NS21CountingInputIteratorIllEEPS6_NSA_22TransformInputIteratorIb7NonZeroIiEPilEENS0_5tupleIJPlS6_EEENSJ_IJSD_SD_EEES6_SK_JS6_EEE10hipError_tPvRmT3_T4_T5_T6_T7_T9_mT8_P12ihipStream_tbDpT10_ENKUlT_T0_E_clISt17integral_constantIbLb0EES16_EEDaS11_S12_EUlS11_E_NS1_11comp_targetILNS1_3genE5ELNS1_11target_archE942ELNS1_3gpuE9ELNS1_3repE0EEENS1_30default_config_static_selectorELNS0_4arch9wavefront6targetE1EEEvT1_,comdat
.Lfunc_end186:
	.size	_ZN7rocprim17ROCPRIM_400000_NS6detail17trampoline_kernelINS0_14default_configENS1_25partition_config_selectorILNS1_17partition_subalgoE5ElNS0_10empty_typeEbEEZZNS1_14partition_implILS5_5ELb0ES3_mN6hipcub16HIPCUB_304000_NS21CountingInputIteratorIllEEPS6_NSA_22TransformInputIteratorIb7NonZeroIiEPilEENS0_5tupleIJPlS6_EEENSJ_IJSD_SD_EEES6_SK_JS6_EEE10hipError_tPvRmT3_T4_T5_T6_T7_T9_mT8_P12ihipStream_tbDpT10_ENKUlT_T0_E_clISt17integral_constantIbLb0EES16_EEDaS11_S12_EUlS11_E_NS1_11comp_targetILNS1_3genE5ELNS1_11target_archE942ELNS1_3gpuE9ELNS1_3repE0EEENS1_30default_config_static_selectorELNS0_4arch9wavefront6targetE1EEEvT1_, .Lfunc_end186-_ZN7rocprim17ROCPRIM_400000_NS6detail17trampoline_kernelINS0_14default_configENS1_25partition_config_selectorILNS1_17partition_subalgoE5ElNS0_10empty_typeEbEEZZNS1_14partition_implILS5_5ELb0ES3_mN6hipcub16HIPCUB_304000_NS21CountingInputIteratorIllEEPS6_NSA_22TransformInputIteratorIb7NonZeroIiEPilEENS0_5tupleIJPlS6_EEENSJ_IJSD_SD_EEES6_SK_JS6_EEE10hipError_tPvRmT3_T4_T5_T6_T7_T9_mT8_P12ihipStream_tbDpT10_ENKUlT_T0_E_clISt17integral_constantIbLb0EES16_EEDaS11_S12_EUlS11_E_NS1_11comp_targetILNS1_3genE5ELNS1_11target_archE942ELNS1_3gpuE9ELNS1_3repE0EEENS1_30default_config_static_selectorELNS0_4arch9wavefront6targetE1EEEvT1_
                                        ; -- End function
	.set _ZN7rocprim17ROCPRIM_400000_NS6detail17trampoline_kernelINS0_14default_configENS1_25partition_config_selectorILNS1_17partition_subalgoE5ElNS0_10empty_typeEbEEZZNS1_14partition_implILS5_5ELb0ES3_mN6hipcub16HIPCUB_304000_NS21CountingInputIteratorIllEEPS6_NSA_22TransformInputIteratorIb7NonZeroIiEPilEENS0_5tupleIJPlS6_EEENSJ_IJSD_SD_EEES6_SK_JS6_EEE10hipError_tPvRmT3_T4_T5_T6_T7_T9_mT8_P12ihipStream_tbDpT10_ENKUlT_T0_E_clISt17integral_constantIbLb0EES16_EEDaS11_S12_EUlS11_E_NS1_11comp_targetILNS1_3genE5ELNS1_11target_archE942ELNS1_3gpuE9ELNS1_3repE0EEENS1_30default_config_static_selectorELNS0_4arch9wavefront6targetE1EEEvT1_.num_vgpr, 0
	.set _ZN7rocprim17ROCPRIM_400000_NS6detail17trampoline_kernelINS0_14default_configENS1_25partition_config_selectorILNS1_17partition_subalgoE5ElNS0_10empty_typeEbEEZZNS1_14partition_implILS5_5ELb0ES3_mN6hipcub16HIPCUB_304000_NS21CountingInputIteratorIllEEPS6_NSA_22TransformInputIteratorIb7NonZeroIiEPilEENS0_5tupleIJPlS6_EEENSJ_IJSD_SD_EEES6_SK_JS6_EEE10hipError_tPvRmT3_T4_T5_T6_T7_T9_mT8_P12ihipStream_tbDpT10_ENKUlT_T0_E_clISt17integral_constantIbLb0EES16_EEDaS11_S12_EUlS11_E_NS1_11comp_targetILNS1_3genE5ELNS1_11target_archE942ELNS1_3gpuE9ELNS1_3repE0EEENS1_30default_config_static_selectorELNS0_4arch9wavefront6targetE1EEEvT1_.num_agpr, 0
	.set _ZN7rocprim17ROCPRIM_400000_NS6detail17trampoline_kernelINS0_14default_configENS1_25partition_config_selectorILNS1_17partition_subalgoE5ElNS0_10empty_typeEbEEZZNS1_14partition_implILS5_5ELb0ES3_mN6hipcub16HIPCUB_304000_NS21CountingInputIteratorIllEEPS6_NSA_22TransformInputIteratorIb7NonZeroIiEPilEENS0_5tupleIJPlS6_EEENSJ_IJSD_SD_EEES6_SK_JS6_EEE10hipError_tPvRmT3_T4_T5_T6_T7_T9_mT8_P12ihipStream_tbDpT10_ENKUlT_T0_E_clISt17integral_constantIbLb0EES16_EEDaS11_S12_EUlS11_E_NS1_11comp_targetILNS1_3genE5ELNS1_11target_archE942ELNS1_3gpuE9ELNS1_3repE0EEENS1_30default_config_static_selectorELNS0_4arch9wavefront6targetE1EEEvT1_.numbered_sgpr, 0
	.set _ZN7rocprim17ROCPRIM_400000_NS6detail17trampoline_kernelINS0_14default_configENS1_25partition_config_selectorILNS1_17partition_subalgoE5ElNS0_10empty_typeEbEEZZNS1_14partition_implILS5_5ELb0ES3_mN6hipcub16HIPCUB_304000_NS21CountingInputIteratorIllEEPS6_NSA_22TransformInputIteratorIb7NonZeroIiEPilEENS0_5tupleIJPlS6_EEENSJ_IJSD_SD_EEES6_SK_JS6_EEE10hipError_tPvRmT3_T4_T5_T6_T7_T9_mT8_P12ihipStream_tbDpT10_ENKUlT_T0_E_clISt17integral_constantIbLb0EES16_EEDaS11_S12_EUlS11_E_NS1_11comp_targetILNS1_3genE5ELNS1_11target_archE942ELNS1_3gpuE9ELNS1_3repE0EEENS1_30default_config_static_selectorELNS0_4arch9wavefront6targetE1EEEvT1_.num_named_barrier, 0
	.set _ZN7rocprim17ROCPRIM_400000_NS6detail17trampoline_kernelINS0_14default_configENS1_25partition_config_selectorILNS1_17partition_subalgoE5ElNS0_10empty_typeEbEEZZNS1_14partition_implILS5_5ELb0ES3_mN6hipcub16HIPCUB_304000_NS21CountingInputIteratorIllEEPS6_NSA_22TransformInputIteratorIb7NonZeroIiEPilEENS0_5tupleIJPlS6_EEENSJ_IJSD_SD_EEES6_SK_JS6_EEE10hipError_tPvRmT3_T4_T5_T6_T7_T9_mT8_P12ihipStream_tbDpT10_ENKUlT_T0_E_clISt17integral_constantIbLb0EES16_EEDaS11_S12_EUlS11_E_NS1_11comp_targetILNS1_3genE5ELNS1_11target_archE942ELNS1_3gpuE9ELNS1_3repE0EEENS1_30default_config_static_selectorELNS0_4arch9wavefront6targetE1EEEvT1_.private_seg_size, 0
	.set _ZN7rocprim17ROCPRIM_400000_NS6detail17trampoline_kernelINS0_14default_configENS1_25partition_config_selectorILNS1_17partition_subalgoE5ElNS0_10empty_typeEbEEZZNS1_14partition_implILS5_5ELb0ES3_mN6hipcub16HIPCUB_304000_NS21CountingInputIteratorIllEEPS6_NSA_22TransformInputIteratorIb7NonZeroIiEPilEENS0_5tupleIJPlS6_EEENSJ_IJSD_SD_EEES6_SK_JS6_EEE10hipError_tPvRmT3_T4_T5_T6_T7_T9_mT8_P12ihipStream_tbDpT10_ENKUlT_T0_E_clISt17integral_constantIbLb0EES16_EEDaS11_S12_EUlS11_E_NS1_11comp_targetILNS1_3genE5ELNS1_11target_archE942ELNS1_3gpuE9ELNS1_3repE0EEENS1_30default_config_static_selectorELNS0_4arch9wavefront6targetE1EEEvT1_.uses_vcc, 0
	.set _ZN7rocprim17ROCPRIM_400000_NS6detail17trampoline_kernelINS0_14default_configENS1_25partition_config_selectorILNS1_17partition_subalgoE5ElNS0_10empty_typeEbEEZZNS1_14partition_implILS5_5ELb0ES3_mN6hipcub16HIPCUB_304000_NS21CountingInputIteratorIllEEPS6_NSA_22TransformInputIteratorIb7NonZeroIiEPilEENS0_5tupleIJPlS6_EEENSJ_IJSD_SD_EEES6_SK_JS6_EEE10hipError_tPvRmT3_T4_T5_T6_T7_T9_mT8_P12ihipStream_tbDpT10_ENKUlT_T0_E_clISt17integral_constantIbLb0EES16_EEDaS11_S12_EUlS11_E_NS1_11comp_targetILNS1_3genE5ELNS1_11target_archE942ELNS1_3gpuE9ELNS1_3repE0EEENS1_30default_config_static_selectorELNS0_4arch9wavefront6targetE1EEEvT1_.uses_flat_scratch, 0
	.set _ZN7rocprim17ROCPRIM_400000_NS6detail17trampoline_kernelINS0_14default_configENS1_25partition_config_selectorILNS1_17partition_subalgoE5ElNS0_10empty_typeEbEEZZNS1_14partition_implILS5_5ELb0ES3_mN6hipcub16HIPCUB_304000_NS21CountingInputIteratorIllEEPS6_NSA_22TransformInputIteratorIb7NonZeroIiEPilEENS0_5tupleIJPlS6_EEENSJ_IJSD_SD_EEES6_SK_JS6_EEE10hipError_tPvRmT3_T4_T5_T6_T7_T9_mT8_P12ihipStream_tbDpT10_ENKUlT_T0_E_clISt17integral_constantIbLb0EES16_EEDaS11_S12_EUlS11_E_NS1_11comp_targetILNS1_3genE5ELNS1_11target_archE942ELNS1_3gpuE9ELNS1_3repE0EEENS1_30default_config_static_selectorELNS0_4arch9wavefront6targetE1EEEvT1_.has_dyn_sized_stack, 0
	.set _ZN7rocprim17ROCPRIM_400000_NS6detail17trampoline_kernelINS0_14default_configENS1_25partition_config_selectorILNS1_17partition_subalgoE5ElNS0_10empty_typeEbEEZZNS1_14partition_implILS5_5ELb0ES3_mN6hipcub16HIPCUB_304000_NS21CountingInputIteratorIllEEPS6_NSA_22TransformInputIteratorIb7NonZeroIiEPilEENS0_5tupleIJPlS6_EEENSJ_IJSD_SD_EEES6_SK_JS6_EEE10hipError_tPvRmT3_T4_T5_T6_T7_T9_mT8_P12ihipStream_tbDpT10_ENKUlT_T0_E_clISt17integral_constantIbLb0EES16_EEDaS11_S12_EUlS11_E_NS1_11comp_targetILNS1_3genE5ELNS1_11target_archE942ELNS1_3gpuE9ELNS1_3repE0EEENS1_30default_config_static_selectorELNS0_4arch9wavefront6targetE1EEEvT1_.has_recursion, 0
	.set _ZN7rocprim17ROCPRIM_400000_NS6detail17trampoline_kernelINS0_14default_configENS1_25partition_config_selectorILNS1_17partition_subalgoE5ElNS0_10empty_typeEbEEZZNS1_14partition_implILS5_5ELb0ES3_mN6hipcub16HIPCUB_304000_NS21CountingInputIteratorIllEEPS6_NSA_22TransformInputIteratorIb7NonZeroIiEPilEENS0_5tupleIJPlS6_EEENSJ_IJSD_SD_EEES6_SK_JS6_EEE10hipError_tPvRmT3_T4_T5_T6_T7_T9_mT8_P12ihipStream_tbDpT10_ENKUlT_T0_E_clISt17integral_constantIbLb0EES16_EEDaS11_S12_EUlS11_E_NS1_11comp_targetILNS1_3genE5ELNS1_11target_archE942ELNS1_3gpuE9ELNS1_3repE0EEENS1_30default_config_static_selectorELNS0_4arch9wavefront6targetE1EEEvT1_.has_indirect_call, 0
	.section	.AMDGPU.csdata,"",@progbits
; Kernel info:
; codeLenInByte = 0
; TotalNumSgprs: 4
; NumVgprs: 0
; ScratchSize: 0
; MemoryBound: 0
; FloatMode: 240
; IeeeMode: 1
; LDSByteSize: 0 bytes/workgroup (compile time only)
; SGPRBlocks: 0
; VGPRBlocks: 0
; NumSGPRsForWavesPerEU: 4
; NumVGPRsForWavesPerEU: 1
; Occupancy: 10
; WaveLimiterHint : 0
; COMPUTE_PGM_RSRC2:SCRATCH_EN: 0
; COMPUTE_PGM_RSRC2:USER_SGPR: 6
; COMPUTE_PGM_RSRC2:TRAP_HANDLER: 0
; COMPUTE_PGM_RSRC2:TGID_X_EN: 1
; COMPUTE_PGM_RSRC2:TGID_Y_EN: 0
; COMPUTE_PGM_RSRC2:TGID_Z_EN: 0
; COMPUTE_PGM_RSRC2:TIDIG_COMP_CNT: 0
	.section	.text._ZN7rocprim17ROCPRIM_400000_NS6detail17trampoline_kernelINS0_14default_configENS1_25partition_config_selectorILNS1_17partition_subalgoE5ElNS0_10empty_typeEbEEZZNS1_14partition_implILS5_5ELb0ES3_mN6hipcub16HIPCUB_304000_NS21CountingInputIteratorIllEEPS6_NSA_22TransformInputIteratorIb7NonZeroIiEPilEENS0_5tupleIJPlS6_EEENSJ_IJSD_SD_EEES6_SK_JS6_EEE10hipError_tPvRmT3_T4_T5_T6_T7_T9_mT8_P12ihipStream_tbDpT10_ENKUlT_T0_E_clISt17integral_constantIbLb0EES16_EEDaS11_S12_EUlS11_E_NS1_11comp_targetILNS1_3genE4ELNS1_11target_archE910ELNS1_3gpuE8ELNS1_3repE0EEENS1_30default_config_static_selectorELNS0_4arch9wavefront6targetE1EEEvT1_,"axG",@progbits,_ZN7rocprim17ROCPRIM_400000_NS6detail17trampoline_kernelINS0_14default_configENS1_25partition_config_selectorILNS1_17partition_subalgoE5ElNS0_10empty_typeEbEEZZNS1_14partition_implILS5_5ELb0ES3_mN6hipcub16HIPCUB_304000_NS21CountingInputIteratorIllEEPS6_NSA_22TransformInputIteratorIb7NonZeroIiEPilEENS0_5tupleIJPlS6_EEENSJ_IJSD_SD_EEES6_SK_JS6_EEE10hipError_tPvRmT3_T4_T5_T6_T7_T9_mT8_P12ihipStream_tbDpT10_ENKUlT_T0_E_clISt17integral_constantIbLb0EES16_EEDaS11_S12_EUlS11_E_NS1_11comp_targetILNS1_3genE4ELNS1_11target_archE910ELNS1_3gpuE8ELNS1_3repE0EEENS1_30default_config_static_selectorELNS0_4arch9wavefront6targetE1EEEvT1_,comdat
	.protected	_ZN7rocprim17ROCPRIM_400000_NS6detail17trampoline_kernelINS0_14default_configENS1_25partition_config_selectorILNS1_17partition_subalgoE5ElNS0_10empty_typeEbEEZZNS1_14partition_implILS5_5ELb0ES3_mN6hipcub16HIPCUB_304000_NS21CountingInputIteratorIllEEPS6_NSA_22TransformInputIteratorIb7NonZeroIiEPilEENS0_5tupleIJPlS6_EEENSJ_IJSD_SD_EEES6_SK_JS6_EEE10hipError_tPvRmT3_T4_T5_T6_T7_T9_mT8_P12ihipStream_tbDpT10_ENKUlT_T0_E_clISt17integral_constantIbLb0EES16_EEDaS11_S12_EUlS11_E_NS1_11comp_targetILNS1_3genE4ELNS1_11target_archE910ELNS1_3gpuE8ELNS1_3repE0EEENS1_30default_config_static_selectorELNS0_4arch9wavefront6targetE1EEEvT1_ ; -- Begin function _ZN7rocprim17ROCPRIM_400000_NS6detail17trampoline_kernelINS0_14default_configENS1_25partition_config_selectorILNS1_17partition_subalgoE5ElNS0_10empty_typeEbEEZZNS1_14partition_implILS5_5ELb0ES3_mN6hipcub16HIPCUB_304000_NS21CountingInputIteratorIllEEPS6_NSA_22TransformInputIteratorIb7NonZeroIiEPilEENS0_5tupleIJPlS6_EEENSJ_IJSD_SD_EEES6_SK_JS6_EEE10hipError_tPvRmT3_T4_T5_T6_T7_T9_mT8_P12ihipStream_tbDpT10_ENKUlT_T0_E_clISt17integral_constantIbLb0EES16_EEDaS11_S12_EUlS11_E_NS1_11comp_targetILNS1_3genE4ELNS1_11target_archE910ELNS1_3gpuE8ELNS1_3repE0EEENS1_30default_config_static_selectorELNS0_4arch9wavefront6targetE1EEEvT1_
	.globl	_ZN7rocprim17ROCPRIM_400000_NS6detail17trampoline_kernelINS0_14default_configENS1_25partition_config_selectorILNS1_17partition_subalgoE5ElNS0_10empty_typeEbEEZZNS1_14partition_implILS5_5ELb0ES3_mN6hipcub16HIPCUB_304000_NS21CountingInputIteratorIllEEPS6_NSA_22TransformInputIteratorIb7NonZeroIiEPilEENS0_5tupleIJPlS6_EEENSJ_IJSD_SD_EEES6_SK_JS6_EEE10hipError_tPvRmT3_T4_T5_T6_T7_T9_mT8_P12ihipStream_tbDpT10_ENKUlT_T0_E_clISt17integral_constantIbLb0EES16_EEDaS11_S12_EUlS11_E_NS1_11comp_targetILNS1_3genE4ELNS1_11target_archE910ELNS1_3gpuE8ELNS1_3repE0EEENS1_30default_config_static_selectorELNS0_4arch9wavefront6targetE1EEEvT1_
	.p2align	8
	.type	_ZN7rocprim17ROCPRIM_400000_NS6detail17trampoline_kernelINS0_14default_configENS1_25partition_config_selectorILNS1_17partition_subalgoE5ElNS0_10empty_typeEbEEZZNS1_14partition_implILS5_5ELb0ES3_mN6hipcub16HIPCUB_304000_NS21CountingInputIteratorIllEEPS6_NSA_22TransformInputIteratorIb7NonZeroIiEPilEENS0_5tupleIJPlS6_EEENSJ_IJSD_SD_EEES6_SK_JS6_EEE10hipError_tPvRmT3_T4_T5_T6_T7_T9_mT8_P12ihipStream_tbDpT10_ENKUlT_T0_E_clISt17integral_constantIbLb0EES16_EEDaS11_S12_EUlS11_E_NS1_11comp_targetILNS1_3genE4ELNS1_11target_archE910ELNS1_3gpuE8ELNS1_3repE0EEENS1_30default_config_static_selectorELNS0_4arch9wavefront6targetE1EEEvT1_,@function
_ZN7rocprim17ROCPRIM_400000_NS6detail17trampoline_kernelINS0_14default_configENS1_25partition_config_selectorILNS1_17partition_subalgoE5ElNS0_10empty_typeEbEEZZNS1_14partition_implILS5_5ELb0ES3_mN6hipcub16HIPCUB_304000_NS21CountingInputIteratorIllEEPS6_NSA_22TransformInputIteratorIb7NonZeroIiEPilEENS0_5tupleIJPlS6_EEENSJ_IJSD_SD_EEES6_SK_JS6_EEE10hipError_tPvRmT3_T4_T5_T6_T7_T9_mT8_P12ihipStream_tbDpT10_ENKUlT_T0_E_clISt17integral_constantIbLb0EES16_EEDaS11_S12_EUlS11_E_NS1_11comp_targetILNS1_3genE4ELNS1_11target_archE910ELNS1_3gpuE8ELNS1_3repE0EEENS1_30default_config_static_selectorELNS0_4arch9wavefront6targetE1EEEvT1_: ; @_ZN7rocprim17ROCPRIM_400000_NS6detail17trampoline_kernelINS0_14default_configENS1_25partition_config_selectorILNS1_17partition_subalgoE5ElNS0_10empty_typeEbEEZZNS1_14partition_implILS5_5ELb0ES3_mN6hipcub16HIPCUB_304000_NS21CountingInputIteratorIllEEPS6_NSA_22TransformInputIteratorIb7NonZeroIiEPilEENS0_5tupleIJPlS6_EEENSJ_IJSD_SD_EEES6_SK_JS6_EEE10hipError_tPvRmT3_T4_T5_T6_T7_T9_mT8_P12ihipStream_tbDpT10_ENKUlT_T0_E_clISt17integral_constantIbLb0EES16_EEDaS11_S12_EUlS11_E_NS1_11comp_targetILNS1_3genE4ELNS1_11target_archE910ELNS1_3gpuE8ELNS1_3repE0EEENS1_30default_config_static_selectorELNS0_4arch9wavefront6targetE1EEEvT1_
; %bb.0:
	.section	.rodata,"a",@progbits
	.p2align	6, 0x0
	.amdhsa_kernel _ZN7rocprim17ROCPRIM_400000_NS6detail17trampoline_kernelINS0_14default_configENS1_25partition_config_selectorILNS1_17partition_subalgoE5ElNS0_10empty_typeEbEEZZNS1_14partition_implILS5_5ELb0ES3_mN6hipcub16HIPCUB_304000_NS21CountingInputIteratorIllEEPS6_NSA_22TransformInputIteratorIb7NonZeroIiEPilEENS0_5tupleIJPlS6_EEENSJ_IJSD_SD_EEES6_SK_JS6_EEE10hipError_tPvRmT3_T4_T5_T6_T7_T9_mT8_P12ihipStream_tbDpT10_ENKUlT_T0_E_clISt17integral_constantIbLb0EES16_EEDaS11_S12_EUlS11_E_NS1_11comp_targetILNS1_3genE4ELNS1_11target_archE910ELNS1_3gpuE8ELNS1_3repE0EEENS1_30default_config_static_selectorELNS0_4arch9wavefront6targetE1EEEvT1_
		.amdhsa_group_segment_fixed_size 0
		.amdhsa_private_segment_fixed_size 0
		.amdhsa_kernarg_size 120
		.amdhsa_user_sgpr_count 6
		.amdhsa_user_sgpr_private_segment_buffer 1
		.amdhsa_user_sgpr_dispatch_ptr 0
		.amdhsa_user_sgpr_queue_ptr 0
		.amdhsa_user_sgpr_kernarg_segment_ptr 1
		.amdhsa_user_sgpr_dispatch_id 0
		.amdhsa_user_sgpr_flat_scratch_init 0
		.amdhsa_user_sgpr_private_segment_size 0
		.amdhsa_uses_dynamic_stack 0
		.amdhsa_system_sgpr_private_segment_wavefront_offset 0
		.amdhsa_system_sgpr_workgroup_id_x 1
		.amdhsa_system_sgpr_workgroup_id_y 0
		.amdhsa_system_sgpr_workgroup_id_z 0
		.amdhsa_system_sgpr_workgroup_info 0
		.amdhsa_system_vgpr_workitem_id 0
		.amdhsa_next_free_vgpr 1
		.amdhsa_next_free_sgpr 0
		.amdhsa_reserve_vcc 0
		.amdhsa_reserve_flat_scratch 0
		.amdhsa_float_round_mode_32 0
		.amdhsa_float_round_mode_16_64 0
		.amdhsa_float_denorm_mode_32 3
		.amdhsa_float_denorm_mode_16_64 3
		.amdhsa_dx10_clamp 1
		.amdhsa_ieee_mode 1
		.amdhsa_fp16_overflow 0
		.amdhsa_exception_fp_ieee_invalid_op 0
		.amdhsa_exception_fp_denorm_src 0
		.amdhsa_exception_fp_ieee_div_zero 0
		.amdhsa_exception_fp_ieee_overflow 0
		.amdhsa_exception_fp_ieee_underflow 0
		.amdhsa_exception_fp_ieee_inexact 0
		.amdhsa_exception_int_div_zero 0
	.end_amdhsa_kernel
	.section	.text._ZN7rocprim17ROCPRIM_400000_NS6detail17trampoline_kernelINS0_14default_configENS1_25partition_config_selectorILNS1_17partition_subalgoE5ElNS0_10empty_typeEbEEZZNS1_14partition_implILS5_5ELb0ES3_mN6hipcub16HIPCUB_304000_NS21CountingInputIteratorIllEEPS6_NSA_22TransformInputIteratorIb7NonZeroIiEPilEENS0_5tupleIJPlS6_EEENSJ_IJSD_SD_EEES6_SK_JS6_EEE10hipError_tPvRmT3_T4_T5_T6_T7_T9_mT8_P12ihipStream_tbDpT10_ENKUlT_T0_E_clISt17integral_constantIbLb0EES16_EEDaS11_S12_EUlS11_E_NS1_11comp_targetILNS1_3genE4ELNS1_11target_archE910ELNS1_3gpuE8ELNS1_3repE0EEENS1_30default_config_static_selectorELNS0_4arch9wavefront6targetE1EEEvT1_,"axG",@progbits,_ZN7rocprim17ROCPRIM_400000_NS6detail17trampoline_kernelINS0_14default_configENS1_25partition_config_selectorILNS1_17partition_subalgoE5ElNS0_10empty_typeEbEEZZNS1_14partition_implILS5_5ELb0ES3_mN6hipcub16HIPCUB_304000_NS21CountingInputIteratorIllEEPS6_NSA_22TransformInputIteratorIb7NonZeroIiEPilEENS0_5tupleIJPlS6_EEENSJ_IJSD_SD_EEES6_SK_JS6_EEE10hipError_tPvRmT3_T4_T5_T6_T7_T9_mT8_P12ihipStream_tbDpT10_ENKUlT_T0_E_clISt17integral_constantIbLb0EES16_EEDaS11_S12_EUlS11_E_NS1_11comp_targetILNS1_3genE4ELNS1_11target_archE910ELNS1_3gpuE8ELNS1_3repE0EEENS1_30default_config_static_selectorELNS0_4arch9wavefront6targetE1EEEvT1_,comdat
.Lfunc_end187:
	.size	_ZN7rocprim17ROCPRIM_400000_NS6detail17trampoline_kernelINS0_14default_configENS1_25partition_config_selectorILNS1_17partition_subalgoE5ElNS0_10empty_typeEbEEZZNS1_14partition_implILS5_5ELb0ES3_mN6hipcub16HIPCUB_304000_NS21CountingInputIteratorIllEEPS6_NSA_22TransformInputIteratorIb7NonZeroIiEPilEENS0_5tupleIJPlS6_EEENSJ_IJSD_SD_EEES6_SK_JS6_EEE10hipError_tPvRmT3_T4_T5_T6_T7_T9_mT8_P12ihipStream_tbDpT10_ENKUlT_T0_E_clISt17integral_constantIbLb0EES16_EEDaS11_S12_EUlS11_E_NS1_11comp_targetILNS1_3genE4ELNS1_11target_archE910ELNS1_3gpuE8ELNS1_3repE0EEENS1_30default_config_static_selectorELNS0_4arch9wavefront6targetE1EEEvT1_, .Lfunc_end187-_ZN7rocprim17ROCPRIM_400000_NS6detail17trampoline_kernelINS0_14default_configENS1_25partition_config_selectorILNS1_17partition_subalgoE5ElNS0_10empty_typeEbEEZZNS1_14partition_implILS5_5ELb0ES3_mN6hipcub16HIPCUB_304000_NS21CountingInputIteratorIllEEPS6_NSA_22TransformInputIteratorIb7NonZeroIiEPilEENS0_5tupleIJPlS6_EEENSJ_IJSD_SD_EEES6_SK_JS6_EEE10hipError_tPvRmT3_T4_T5_T6_T7_T9_mT8_P12ihipStream_tbDpT10_ENKUlT_T0_E_clISt17integral_constantIbLb0EES16_EEDaS11_S12_EUlS11_E_NS1_11comp_targetILNS1_3genE4ELNS1_11target_archE910ELNS1_3gpuE8ELNS1_3repE0EEENS1_30default_config_static_selectorELNS0_4arch9wavefront6targetE1EEEvT1_
                                        ; -- End function
	.set _ZN7rocprim17ROCPRIM_400000_NS6detail17trampoline_kernelINS0_14default_configENS1_25partition_config_selectorILNS1_17partition_subalgoE5ElNS0_10empty_typeEbEEZZNS1_14partition_implILS5_5ELb0ES3_mN6hipcub16HIPCUB_304000_NS21CountingInputIteratorIllEEPS6_NSA_22TransformInputIteratorIb7NonZeroIiEPilEENS0_5tupleIJPlS6_EEENSJ_IJSD_SD_EEES6_SK_JS6_EEE10hipError_tPvRmT3_T4_T5_T6_T7_T9_mT8_P12ihipStream_tbDpT10_ENKUlT_T0_E_clISt17integral_constantIbLb0EES16_EEDaS11_S12_EUlS11_E_NS1_11comp_targetILNS1_3genE4ELNS1_11target_archE910ELNS1_3gpuE8ELNS1_3repE0EEENS1_30default_config_static_selectorELNS0_4arch9wavefront6targetE1EEEvT1_.num_vgpr, 0
	.set _ZN7rocprim17ROCPRIM_400000_NS6detail17trampoline_kernelINS0_14default_configENS1_25partition_config_selectorILNS1_17partition_subalgoE5ElNS0_10empty_typeEbEEZZNS1_14partition_implILS5_5ELb0ES3_mN6hipcub16HIPCUB_304000_NS21CountingInputIteratorIllEEPS6_NSA_22TransformInputIteratorIb7NonZeroIiEPilEENS0_5tupleIJPlS6_EEENSJ_IJSD_SD_EEES6_SK_JS6_EEE10hipError_tPvRmT3_T4_T5_T6_T7_T9_mT8_P12ihipStream_tbDpT10_ENKUlT_T0_E_clISt17integral_constantIbLb0EES16_EEDaS11_S12_EUlS11_E_NS1_11comp_targetILNS1_3genE4ELNS1_11target_archE910ELNS1_3gpuE8ELNS1_3repE0EEENS1_30default_config_static_selectorELNS0_4arch9wavefront6targetE1EEEvT1_.num_agpr, 0
	.set _ZN7rocprim17ROCPRIM_400000_NS6detail17trampoline_kernelINS0_14default_configENS1_25partition_config_selectorILNS1_17partition_subalgoE5ElNS0_10empty_typeEbEEZZNS1_14partition_implILS5_5ELb0ES3_mN6hipcub16HIPCUB_304000_NS21CountingInputIteratorIllEEPS6_NSA_22TransformInputIteratorIb7NonZeroIiEPilEENS0_5tupleIJPlS6_EEENSJ_IJSD_SD_EEES6_SK_JS6_EEE10hipError_tPvRmT3_T4_T5_T6_T7_T9_mT8_P12ihipStream_tbDpT10_ENKUlT_T0_E_clISt17integral_constantIbLb0EES16_EEDaS11_S12_EUlS11_E_NS1_11comp_targetILNS1_3genE4ELNS1_11target_archE910ELNS1_3gpuE8ELNS1_3repE0EEENS1_30default_config_static_selectorELNS0_4arch9wavefront6targetE1EEEvT1_.numbered_sgpr, 0
	.set _ZN7rocprim17ROCPRIM_400000_NS6detail17trampoline_kernelINS0_14default_configENS1_25partition_config_selectorILNS1_17partition_subalgoE5ElNS0_10empty_typeEbEEZZNS1_14partition_implILS5_5ELb0ES3_mN6hipcub16HIPCUB_304000_NS21CountingInputIteratorIllEEPS6_NSA_22TransformInputIteratorIb7NonZeroIiEPilEENS0_5tupleIJPlS6_EEENSJ_IJSD_SD_EEES6_SK_JS6_EEE10hipError_tPvRmT3_T4_T5_T6_T7_T9_mT8_P12ihipStream_tbDpT10_ENKUlT_T0_E_clISt17integral_constantIbLb0EES16_EEDaS11_S12_EUlS11_E_NS1_11comp_targetILNS1_3genE4ELNS1_11target_archE910ELNS1_3gpuE8ELNS1_3repE0EEENS1_30default_config_static_selectorELNS0_4arch9wavefront6targetE1EEEvT1_.num_named_barrier, 0
	.set _ZN7rocprim17ROCPRIM_400000_NS6detail17trampoline_kernelINS0_14default_configENS1_25partition_config_selectorILNS1_17partition_subalgoE5ElNS0_10empty_typeEbEEZZNS1_14partition_implILS5_5ELb0ES3_mN6hipcub16HIPCUB_304000_NS21CountingInputIteratorIllEEPS6_NSA_22TransformInputIteratorIb7NonZeroIiEPilEENS0_5tupleIJPlS6_EEENSJ_IJSD_SD_EEES6_SK_JS6_EEE10hipError_tPvRmT3_T4_T5_T6_T7_T9_mT8_P12ihipStream_tbDpT10_ENKUlT_T0_E_clISt17integral_constantIbLb0EES16_EEDaS11_S12_EUlS11_E_NS1_11comp_targetILNS1_3genE4ELNS1_11target_archE910ELNS1_3gpuE8ELNS1_3repE0EEENS1_30default_config_static_selectorELNS0_4arch9wavefront6targetE1EEEvT1_.private_seg_size, 0
	.set _ZN7rocprim17ROCPRIM_400000_NS6detail17trampoline_kernelINS0_14default_configENS1_25partition_config_selectorILNS1_17partition_subalgoE5ElNS0_10empty_typeEbEEZZNS1_14partition_implILS5_5ELb0ES3_mN6hipcub16HIPCUB_304000_NS21CountingInputIteratorIllEEPS6_NSA_22TransformInputIteratorIb7NonZeroIiEPilEENS0_5tupleIJPlS6_EEENSJ_IJSD_SD_EEES6_SK_JS6_EEE10hipError_tPvRmT3_T4_T5_T6_T7_T9_mT8_P12ihipStream_tbDpT10_ENKUlT_T0_E_clISt17integral_constantIbLb0EES16_EEDaS11_S12_EUlS11_E_NS1_11comp_targetILNS1_3genE4ELNS1_11target_archE910ELNS1_3gpuE8ELNS1_3repE0EEENS1_30default_config_static_selectorELNS0_4arch9wavefront6targetE1EEEvT1_.uses_vcc, 0
	.set _ZN7rocprim17ROCPRIM_400000_NS6detail17trampoline_kernelINS0_14default_configENS1_25partition_config_selectorILNS1_17partition_subalgoE5ElNS0_10empty_typeEbEEZZNS1_14partition_implILS5_5ELb0ES3_mN6hipcub16HIPCUB_304000_NS21CountingInputIteratorIllEEPS6_NSA_22TransformInputIteratorIb7NonZeroIiEPilEENS0_5tupleIJPlS6_EEENSJ_IJSD_SD_EEES6_SK_JS6_EEE10hipError_tPvRmT3_T4_T5_T6_T7_T9_mT8_P12ihipStream_tbDpT10_ENKUlT_T0_E_clISt17integral_constantIbLb0EES16_EEDaS11_S12_EUlS11_E_NS1_11comp_targetILNS1_3genE4ELNS1_11target_archE910ELNS1_3gpuE8ELNS1_3repE0EEENS1_30default_config_static_selectorELNS0_4arch9wavefront6targetE1EEEvT1_.uses_flat_scratch, 0
	.set _ZN7rocprim17ROCPRIM_400000_NS6detail17trampoline_kernelINS0_14default_configENS1_25partition_config_selectorILNS1_17partition_subalgoE5ElNS0_10empty_typeEbEEZZNS1_14partition_implILS5_5ELb0ES3_mN6hipcub16HIPCUB_304000_NS21CountingInputIteratorIllEEPS6_NSA_22TransformInputIteratorIb7NonZeroIiEPilEENS0_5tupleIJPlS6_EEENSJ_IJSD_SD_EEES6_SK_JS6_EEE10hipError_tPvRmT3_T4_T5_T6_T7_T9_mT8_P12ihipStream_tbDpT10_ENKUlT_T0_E_clISt17integral_constantIbLb0EES16_EEDaS11_S12_EUlS11_E_NS1_11comp_targetILNS1_3genE4ELNS1_11target_archE910ELNS1_3gpuE8ELNS1_3repE0EEENS1_30default_config_static_selectorELNS0_4arch9wavefront6targetE1EEEvT1_.has_dyn_sized_stack, 0
	.set _ZN7rocprim17ROCPRIM_400000_NS6detail17trampoline_kernelINS0_14default_configENS1_25partition_config_selectorILNS1_17partition_subalgoE5ElNS0_10empty_typeEbEEZZNS1_14partition_implILS5_5ELb0ES3_mN6hipcub16HIPCUB_304000_NS21CountingInputIteratorIllEEPS6_NSA_22TransformInputIteratorIb7NonZeroIiEPilEENS0_5tupleIJPlS6_EEENSJ_IJSD_SD_EEES6_SK_JS6_EEE10hipError_tPvRmT3_T4_T5_T6_T7_T9_mT8_P12ihipStream_tbDpT10_ENKUlT_T0_E_clISt17integral_constantIbLb0EES16_EEDaS11_S12_EUlS11_E_NS1_11comp_targetILNS1_3genE4ELNS1_11target_archE910ELNS1_3gpuE8ELNS1_3repE0EEENS1_30default_config_static_selectorELNS0_4arch9wavefront6targetE1EEEvT1_.has_recursion, 0
	.set _ZN7rocprim17ROCPRIM_400000_NS6detail17trampoline_kernelINS0_14default_configENS1_25partition_config_selectorILNS1_17partition_subalgoE5ElNS0_10empty_typeEbEEZZNS1_14partition_implILS5_5ELb0ES3_mN6hipcub16HIPCUB_304000_NS21CountingInputIteratorIllEEPS6_NSA_22TransformInputIteratorIb7NonZeroIiEPilEENS0_5tupleIJPlS6_EEENSJ_IJSD_SD_EEES6_SK_JS6_EEE10hipError_tPvRmT3_T4_T5_T6_T7_T9_mT8_P12ihipStream_tbDpT10_ENKUlT_T0_E_clISt17integral_constantIbLb0EES16_EEDaS11_S12_EUlS11_E_NS1_11comp_targetILNS1_3genE4ELNS1_11target_archE910ELNS1_3gpuE8ELNS1_3repE0EEENS1_30default_config_static_selectorELNS0_4arch9wavefront6targetE1EEEvT1_.has_indirect_call, 0
	.section	.AMDGPU.csdata,"",@progbits
; Kernel info:
; codeLenInByte = 0
; TotalNumSgprs: 4
; NumVgprs: 0
; ScratchSize: 0
; MemoryBound: 0
; FloatMode: 240
; IeeeMode: 1
; LDSByteSize: 0 bytes/workgroup (compile time only)
; SGPRBlocks: 0
; VGPRBlocks: 0
; NumSGPRsForWavesPerEU: 4
; NumVGPRsForWavesPerEU: 1
; Occupancy: 10
; WaveLimiterHint : 0
; COMPUTE_PGM_RSRC2:SCRATCH_EN: 0
; COMPUTE_PGM_RSRC2:USER_SGPR: 6
; COMPUTE_PGM_RSRC2:TRAP_HANDLER: 0
; COMPUTE_PGM_RSRC2:TGID_X_EN: 1
; COMPUTE_PGM_RSRC2:TGID_Y_EN: 0
; COMPUTE_PGM_RSRC2:TGID_Z_EN: 0
; COMPUTE_PGM_RSRC2:TIDIG_COMP_CNT: 0
	.section	.text._ZN7rocprim17ROCPRIM_400000_NS6detail17trampoline_kernelINS0_14default_configENS1_25partition_config_selectorILNS1_17partition_subalgoE5ElNS0_10empty_typeEbEEZZNS1_14partition_implILS5_5ELb0ES3_mN6hipcub16HIPCUB_304000_NS21CountingInputIteratorIllEEPS6_NSA_22TransformInputIteratorIb7NonZeroIiEPilEENS0_5tupleIJPlS6_EEENSJ_IJSD_SD_EEES6_SK_JS6_EEE10hipError_tPvRmT3_T4_T5_T6_T7_T9_mT8_P12ihipStream_tbDpT10_ENKUlT_T0_E_clISt17integral_constantIbLb0EES16_EEDaS11_S12_EUlS11_E_NS1_11comp_targetILNS1_3genE3ELNS1_11target_archE908ELNS1_3gpuE7ELNS1_3repE0EEENS1_30default_config_static_selectorELNS0_4arch9wavefront6targetE1EEEvT1_,"axG",@progbits,_ZN7rocprim17ROCPRIM_400000_NS6detail17trampoline_kernelINS0_14default_configENS1_25partition_config_selectorILNS1_17partition_subalgoE5ElNS0_10empty_typeEbEEZZNS1_14partition_implILS5_5ELb0ES3_mN6hipcub16HIPCUB_304000_NS21CountingInputIteratorIllEEPS6_NSA_22TransformInputIteratorIb7NonZeroIiEPilEENS0_5tupleIJPlS6_EEENSJ_IJSD_SD_EEES6_SK_JS6_EEE10hipError_tPvRmT3_T4_T5_T6_T7_T9_mT8_P12ihipStream_tbDpT10_ENKUlT_T0_E_clISt17integral_constantIbLb0EES16_EEDaS11_S12_EUlS11_E_NS1_11comp_targetILNS1_3genE3ELNS1_11target_archE908ELNS1_3gpuE7ELNS1_3repE0EEENS1_30default_config_static_selectorELNS0_4arch9wavefront6targetE1EEEvT1_,comdat
	.protected	_ZN7rocprim17ROCPRIM_400000_NS6detail17trampoline_kernelINS0_14default_configENS1_25partition_config_selectorILNS1_17partition_subalgoE5ElNS0_10empty_typeEbEEZZNS1_14partition_implILS5_5ELb0ES3_mN6hipcub16HIPCUB_304000_NS21CountingInputIteratorIllEEPS6_NSA_22TransformInputIteratorIb7NonZeroIiEPilEENS0_5tupleIJPlS6_EEENSJ_IJSD_SD_EEES6_SK_JS6_EEE10hipError_tPvRmT3_T4_T5_T6_T7_T9_mT8_P12ihipStream_tbDpT10_ENKUlT_T0_E_clISt17integral_constantIbLb0EES16_EEDaS11_S12_EUlS11_E_NS1_11comp_targetILNS1_3genE3ELNS1_11target_archE908ELNS1_3gpuE7ELNS1_3repE0EEENS1_30default_config_static_selectorELNS0_4arch9wavefront6targetE1EEEvT1_ ; -- Begin function _ZN7rocprim17ROCPRIM_400000_NS6detail17trampoline_kernelINS0_14default_configENS1_25partition_config_selectorILNS1_17partition_subalgoE5ElNS0_10empty_typeEbEEZZNS1_14partition_implILS5_5ELb0ES3_mN6hipcub16HIPCUB_304000_NS21CountingInputIteratorIllEEPS6_NSA_22TransformInputIteratorIb7NonZeroIiEPilEENS0_5tupleIJPlS6_EEENSJ_IJSD_SD_EEES6_SK_JS6_EEE10hipError_tPvRmT3_T4_T5_T6_T7_T9_mT8_P12ihipStream_tbDpT10_ENKUlT_T0_E_clISt17integral_constantIbLb0EES16_EEDaS11_S12_EUlS11_E_NS1_11comp_targetILNS1_3genE3ELNS1_11target_archE908ELNS1_3gpuE7ELNS1_3repE0EEENS1_30default_config_static_selectorELNS0_4arch9wavefront6targetE1EEEvT1_
	.globl	_ZN7rocprim17ROCPRIM_400000_NS6detail17trampoline_kernelINS0_14default_configENS1_25partition_config_selectorILNS1_17partition_subalgoE5ElNS0_10empty_typeEbEEZZNS1_14partition_implILS5_5ELb0ES3_mN6hipcub16HIPCUB_304000_NS21CountingInputIteratorIllEEPS6_NSA_22TransformInputIteratorIb7NonZeroIiEPilEENS0_5tupleIJPlS6_EEENSJ_IJSD_SD_EEES6_SK_JS6_EEE10hipError_tPvRmT3_T4_T5_T6_T7_T9_mT8_P12ihipStream_tbDpT10_ENKUlT_T0_E_clISt17integral_constantIbLb0EES16_EEDaS11_S12_EUlS11_E_NS1_11comp_targetILNS1_3genE3ELNS1_11target_archE908ELNS1_3gpuE7ELNS1_3repE0EEENS1_30default_config_static_selectorELNS0_4arch9wavefront6targetE1EEEvT1_
	.p2align	8
	.type	_ZN7rocprim17ROCPRIM_400000_NS6detail17trampoline_kernelINS0_14default_configENS1_25partition_config_selectorILNS1_17partition_subalgoE5ElNS0_10empty_typeEbEEZZNS1_14partition_implILS5_5ELb0ES3_mN6hipcub16HIPCUB_304000_NS21CountingInputIteratorIllEEPS6_NSA_22TransformInputIteratorIb7NonZeroIiEPilEENS0_5tupleIJPlS6_EEENSJ_IJSD_SD_EEES6_SK_JS6_EEE10hipError_tPvRmT3_T4_T5_T6_T7_T9_mT8_P12ihipStream_tbDpT10_ENKUlT_T0_E_clISt17integral_constantIbLb0EES16_EEDaS11_S12_EUlS11_E_NS1_11comp_targetILNS1_3genE3ELNS1_11target_archE908ELNS1_3gpuE7ELNS1_3repE0EEENS1_30default_config_static_selectorELNS0_4arch9wavefront6targetE1EEEvT1_,@function
_ZN7rocprim17ROCPRIM_400000_NS6detail17trampoline_kernelINS0_14default_configENS1_25partition_config_selectorILNS1_17partition_subalgoE5ElNS0_10empty_typeEbEEZZNS1_14partition_implILS5_5ELb0ES3_mN6hipcub16HIPCUB_304000_NS21CountingInputIteratorIllEEPS6_NSA_22TransformInputIteratorIb7NonZeroIiEPilEENS0_5tupleIJPlS6_EEENSJ_IJSD_SD_EEES6_SK_JS6_EEE10hipError_tPvRmT3_T4_T5_T6_T7_T9_mT8_P12ihipStream_tbDpT10_ENKUlT_T0_E_clISt17integral_constantIbLb0EES16_EEDaS11_S12_EUlS11_E_NS1_11comp_targetILNS1_3genE3ELNS1_11target_archE908ELNS1_3gpuE7ELNS1_3repE0EEENS1_30default_config_static_selectorELNS0_4arch9wavefront6targetE1EEEvT1_: ; @_ZN7rocprim17ROCPRIM_400000_NS6detail17trampoline_kernelINS0_14default_configENS1_25partition_config_selectorILNS1_17partition_subalgoE5ElNS0_10empty_typeEbEEZZNS1_14partition_implILS5_5ELb0ES3_mN6hipcub16HIPCUB_304000_NS21CountingInputIteratorIllEEPS6_NSA_22TransformInputIteratorIb7NonZeroIiEPilEENS0_5tupleIJPlS6_EEENSJ_IJSD_SD_EEES6_SK_JS6_EEE10hipError_tPvRmT3_T4_T5_T6_T7_T9_mT8_P12ihipStream_tbDpT10_ENKUlT_T0_E_clISt17integral_constantIbLb0EES16_EEDaS11_S12_EUlS11_E_NS1_11comp_targetILNS1_3genE3ELNS1_11target_archE908ELNS1_3gpuE7ELNS1_3repE0EEENS1_30default_config_static_selectorELNS0_4arch9wavefront6targetE1EEEvT1_
; %bb.0:
	.section	.rodata,"a",@progbits
	.p2align	6, 0x0
	.amdhsa_kernel _ZN7rocprim17ROCPRIM_400000_NS6detail17trampoline_kernelINS0_14default_configENS1_25partition_config_selectorILNS1_17partition_subalgoE5ElNS0_10empty_typeEbEEZZNS1_14partition_implILS5_5ELb0ES3_mN6hipcub16HIPCUB_304000_NS21CountingInputIteratorIllEEPS6_NSA_22TransformInputIteratorIb7NonZeroIiEPilEENS0_5tupleIJPlS6_EEENSJ_IJSD_SD_EEES6_SK_JS6_EEE10hipError_tPvRmT3_T4_T5_T6_T7_T9_mT8_P12ihipStream_tbDpT10_ENKUlT_T0_E_clISt17integral_constantIbLb0EES16_EEDaS11_S12_EUlS11_E_NS1_11comp_targetILNS1_3genE3ELNS1_11target_archE908ELNS1_3gpuE7ELNS1_3repE0EEENS1_30default_config_static_selectorELNS0_4arch9wavefront6targetE1EEEvT1_
		.amdhsa_group_segment_fixed_size 0
		.amdhsa_private_segment_fixed_size 0
		.amdhsa_kernarg_size 120
		.amdhsa_user_sgpr_count 6
		.amdhsa_user_sgpr_private_segment_buffer 1
		.amdhsa_user_sgpr_dispatch_ptr 0
		.amdhsa_user_sgpr_queue_ptr 0
		.amdhsa_user_sgpr_kernarg_segment_ptr 1
		.amdhsa_user_sgpr_dispatch_id 0
		.amdhsa_user_sgpr_flat_scratch_init 0
		.amdhsa_user_sgpr_private_segment_size 0
		.amdhsa_uses_dynamic_stack 0
		.amdhsa_system_sgpr_private_segment_wavefront_offset 0
		.amdhsa_system_sgpr_workgroup_id_x 1
		.amdhsa_system_sgpr_workgroup_id_y 0
		.amdhsa_system_sgpr_workgroup_id_z 0
		.amdhsa_system_sgpr_workgroup_info 0
		.amdhsa_system_vgpr_workitem_id 0
		.amdhsa_next_free_vgpr 1
		.amdhsa_next_free_sgpr 0
		.amdhsa_reserve_vcc 0
		.amdhsa_reserve_flat_scratch 0
		.amdhsa_float_round_mode_32 0
		.amdhsa_float_round_mode_16_64 0
		.amdhsa_float_denorm_mode_32 3
		.amdhsa_float_denorm_mode_16_64 3
		.amdhsa_dx10_clamp 1
		.amdhsa_ieee_mode 1
		.amdhsa_fp16_overflow 0
		.amdhsa_exception_fp_ieee_invalid_op 0
		.amdhsa_exception_fp_denorm_src 0
		.amdhsa_exception_fp_ieee_div_zero 0
		.amdhsa_exception_fp_ieee_overflow 0
		.amdhsa_exception_fp_ieee_underflow 0
		.amdhsa_exception_fp_ieee_inexact 0
		.amdhsa_exception_int_div_zero 0
	.end_amdhsa_kernel
	.section	.text._ZN7rocprim17ROCPRIM_400000_NS6detail17trampoline_kernelINS0_14default_configENS1_25partition_config_selectorILNS1_17partition_subalgoE5ElNS0_10empty_typeEbEEZZNS1_14partition_implILS5_5ELb0ES3_mN6hipcub16HIPCUB_304000_NS21CountingInputIteratorIllEEPS6_NSA_22TransformInputIteratorIb7NonZeroIiEPilEENS0_5tupleIJPlS6_EEENSJ_IJSD_SD_EEES6_SK_JS6_EEE10hipError_tPvRmT3_T4_T5_T6_T7_T9_mT8_P12ihipStream_tbDpT10_ENKUlT_T0_E_clISt17integral_constantIbLb0EES16_EEDaS11_S12_EUlS11_E_NS1_11comp_targetILNS1_3genE3ELNS1_11target_archE908ELNS1_3gpuE7ELNS1_3repE0EEENS1_30default_config_static_selectorELNS0_4arch9wavefront6targetE1EEEvT1_,"axG",@progbits,_ZN7rocprim17ROCPRIM_400000_NS6detail17trampoline_kernelINS0_14default_configENS1_25partition_config_selectorILNS1_17partition_subalgoE5ElNS0_10empty_typeEbEEZZNS1_14partition_implILS5_5ELb0ES3_mN6hipcub16HIPCUB_304000_NS21CountingInputIteratorIllEEPS6_NSA_22TransformInputIteratorIb7NonZeroIiEPilEENS0_5tupleIJPlS6_EEENSJ_IJSD_SD_EEES6_SK_JS6_EEE10hipError_tPvRmT3_T4_T5_T6_T7_T9_mT8_P12ihipStream_tbDpT10_ENKUlT_T0_E_clISt17integral_constantIbLb0EES16_EEDaS11_S12_EUlS11_E_NS1_11comp_targetILNS1_3genE3ELNS1_11target_archE908ELNS1_3gpuE7ELNS1_3repE0EEENS1_30default_config_static_selectorELNS0_4arch9wavefront6targetE1EEEvT1_,comdat
.Lfunc_end188:
	.size	_ZN7rocprim17ROCPRIM_400000_NS6detail17trampoline_kernelINS0_14default_configENS1_25partition_config_selectorILNS1_17partition_subalgoE5ElNS0_10empty_typeEbEEZZNS1_14partition_implILS5_5ELb0ES3_mN6hipcub16HIPCUB_304000_NS21CountingInputIteratorIllEEPS6_NSA_22TransformInputIteratorIb7NonZeroIiEPilEENS0_5tupleIJPlS6_EEENSJ_IJSD_SD_EEES6_SK_JS6_EEE10hipError_tPvRmT3_T4_T5_T6_T7_T9_mT8_P12ihipStream_tbDpT10_ENKUlT_T0_E_clISt17integral_constantIbLb0EES16_EEDaS11_S12_EUlS11_E_NS1_11comp_targetILNS1_3genE3ELNS1_11target_archE908ELNS1_3gpuE7ELNS1_3repE0EEENS1_30default_config_static_selectorELNS0_4arch9wavefront6targetE1EEEvT1_, .Lfunc_end188-_ZN7rocprim17ROCPRIM_400000_NS6detail17trampoline_kernelINS0_14default_configENS1_25partition_config_selectorILNS1_17partition_subalgoE5ElNS0_10empty_typeEbEEZZNS1_14partition_implILS5_5ELb0ES3_mN6hipcub16HIPCUB_304000_NS21CountingInputIteratorIllEEPS6_NSA_22TransformInputIteratorIb7NonZeroIiEPilEENS0_5tupleIJPlS6_EEENSJ_IJSD_SD_EEES6_SK_JS6_EEE10hipError_tPvRmT3_T4_T5_T6_T7_T9_mT8_P12ihipStream_tbDpT10_ENKUlT_T0_E_clISt17integral_constantIbLb0EES16_EEDaS11_S12_EUlS11_E_NS1_11comp_targetILNS1_3genE3ELNS1_11target_archE908ELNS1_3gpuE7ELNS1_3repE0EEENS1_30default_config_static_selectorELNS0_4arch9wavefront6targetE1EEEvT1_
                                        ; -- End function
	.set _ZN7rocprim17ROCPRIM_400000_NS6detail17trampoline_kernelINS0_14default_configENS1_25partition_config_selectorILNS1_17partition_subalgoE5ElNS0_10empty_typeEbEEZZNS1_14partition_implILS5_5ELb0ES3_mN6hipcub16HIPCUB_304000_NS21CountingInputIteratorIllEEPS6_NSA_22TransformInputIteratorIb7NonZeroIiEPilEENS0_5tupleIJPlS6_EEENSJ_IJSD_SD_EEES6_SK_JS6_EEE10hipError_tPvRmT3_T4_T5_T6_T7_T9_mT8_P12ihipStream_tbDpT10_ENKUlT_T0_E_clISt17integral_constantIbLb0EES16_EEDaS11_S12_EUlS11_E_NS1_11comp_targetILNS1_3genE3ELNS1_11target_archE908ELNS1_3gpuE7ELNS1_3repE0EEENS1_30default_config_static_selectorELNS0_4arch9wavefront6targetE1EEEvT1_.num_vgpr, 0
	.set _ZN7rocprim17ROCPRIM_400000_NS6detail17trampoline_kernelINS0_14default_configENS1_25partition_config_selectorILNS1_17partition_subalgoE5ElNS0_10empty_typeEbEEZZNS1_14partition_implILS5_5ELb0ES3_mN6hipcub16HIPCUB_304000_NS21CountingInputIteratorIllEEPS6_NSA_22TransformInputIteratorIb7NonZeroIiEPilEENS0_5tupleIJPlS6_EEENSJ_IJSD_SD_EEES6_SK_JS6_EEE10hipError_tPvRmT3_T4_T5_T6_T7_T9_mT8_P12ihipStream_tbDpT10_ENKUlT_T0_E_clISt17integral_constantIbLb0EES16_EEDaS11_S12_EUlS11_E_NS1_11comp_targetILNS1_3genE3ELNS1_11target_archE908ELNS1_3gpuE7ELNS1_3repE0EEENS1_30default_config_static_selectorELNS0_4arch9wavefront6targetE1EEEvT1_.num_agpr, 0
	.set _ZN7rocprim17ROCPRIM_400000_NS6detail17trampoline_kernelINS0_14default_configENS1_25partition_config_selectorILNS1_17partition_subalgoE5ElNS0_10empty_typeEbEEZZNS1_14partition_implILS5_5ELb0ES3_mN6hipcub16HIPCUB_304000_NS21CountingInputIteratorIllEEPS6_NSA_22TransformInputIteratorIb7NonZeroIiEPilEENS0_5tupleIJPlS6_EEENSJ_IJSD_SD_EEES6_SK_JS6_EEE10hipError_tPvRmT3_T4_T5_T6_T7_T9_mT8_P12ihipStream_tbDpT10_ENKUlT_T0_E_clISt17integral_constantIbLb0EES16_EEDaS11_S12_EUlS11_E_NS1_11comp_targetILNS1_3genE3ELNS1_11target_archE908ELNS1_3gpuE7ELNS1_3repE0EEENS1_30default_config_static_selectorELNS0_4arch9wavefront6targetE1EEEvT1_.numbered_sgpr, 0
	.set _ZN7rocprim17ROCPRIM_400000_NS6detail17trampoline_kernelINS0_14default_configENS1_25partition_config_selectorILNS1_17partition_subalgoE5ElNS0_10empty_typeEbEEZZNS1_14partition_implILS5_5ELb0ES3_mN6hipcub16HIPCUB_304000_NS21CountingInputIteratorIllEEPS6_NSA_22TransformInputIteratorIb7NonZeroIiEPilEENS0_5tupleIJPlS6_EEENSJ_IJSD_SD_EEES6_SK_JS6_EEE10hipError_tPvRmT3_T4_T5_T6_T7_T9_mT8_P12ihipStream_tbDpT10_ENKUlT_T0_E_clISt17integral_constantIbLb0EES16_EEDaS11_S12_EUlS11_E_NS1_11comp_targetILNS1_3genE3ELNS1_11target_archE908ELNS1_3gpuE7ELNS1_3repE0EEENS1_30default_config_static_selectorELNS0_4arch9wavefront6targetE1EEEvT1_.num_named_barrier, 0
	.set _ZN7rocprim17ROCPRIM_400000_NS6detail17trampoline_kernelINS0_14default_configENS1_25partition_config_selectorILNS1_17partition_subalgoE5ElNS0_10empty_typeEbEEZZNS1_14partition_implILS5_5ELb0ES3_mN6hipcub16HIPCUB_304000_NS21CountingInputIteratorIllEEPS6_NSA_22TransformInputIteratorIb7NonZeroIiEPilEENS0_5tupleIJPlS6_EEENSJ_IJSD_SD_EEES6_SK_JS6_EEE10hipError_tPvRmT3_T4_T5_T6_T7_T9_mT8_P12ihipStream_tbDpT10_ENKUlT_T0_E_clISt17integral_constantIbLb0EES16_EEDaS11_S12_EUlS11_E_NS1_11comp_targetILNS1_3genE3ELNS1_11target_archE908ELNS1_3gpuE7ELNS1_3repE0EEENS1_30default_config_static_selectorELNS0_4arch9wavefront6targetE1EEEvT1_.private_seg_size, 0
	.set _ZN7rocprim17ROCPRIM_400000_NS6detail17trampoline_kernelINS0_14default_configENS1_25partition_config_selectorILNS1_17partition_subalgoE5ElNS0_10empty_typeEbEEZZNS1_14partition_implILS5_5ELb0ES3_mN6hipcub16HIPCUB_304000_NS21CountingInputIteratorIllEEPS6_NSA_22TransformInputIteratorIb7NonZeroIiEPilEENS0_5tupleIJPlS6_EEENSJ_IJSD_SD_EEES6_SK_JS6_EEE10hipError_tPvRmT3_T4_T5_T6_T7_T9_mT8_P12ihipStream_tbDpT10_ENKUlT_T0_E_clISt17integral_constantIbLb0EES16_EEDaS11_S12_EUlS11_E_NS1_11comp_targetILNS1_3genE3ELNS1_11target_archE908ELNS1_3gpuE7ELNS1_3repE0EEENS1_30default_config_static_selectorELNS0_4arch9wavefront6targetE1EEEvT1_.uses_vcc, 0
	.set _ZN7rocprim17ROCPRIM_400000_NS6detail17trampoline_kernelINS0_14default_configENS1_25partition_config_selectorILNS1_17partition_subalgoE5ElNS0_10empty_typeEbEEZZNS1_14partition_implILS5_5ELb0ES3_mN6hipcub16HIPCUB_304000_NS21CountingInputIteratorIllEEPS6_NSA_22TransformInputIteratorIb7NonZeroIiEPilEENS0_5tupleIJPlS6_EEENSJ_IJSD_SD_EEES6_SK_JS6_EEE10hipError_tPvRmT3_T4_T5_T6_T7_T9_mT8_P12ihipStream_tbDpT10_ENKUlT_T0_E_clISt17integral_constantIbLb0EES16_EEDaS11_S12_EUlS11_E_NS1_11comp_targetILNS1_3genE3ELNS1_11target_archE908ELNS1_3gpuE7ELNS1_3repE0EEENS1_30default_config_static_selectorELNS0_4arch9wavefront6targetE1EEEvT1_.uses_flat_scratch, 0
	.set _ZN7rocprim17ROCPRIM_400000_NS6detail17trampoline_kernelINS0_14default_configENS1_25partition_config_selectorILNS1_17partition_subalgoE5ElNS0_10empty_typeEbEEZZNS1_14partition_implILS5_5ELb0ES3_mN6hipcub16HIPCUB_304000_NS21CountingInputIteratorIllEEPS6_NSA_22TransformInputIteratorIb7NonZeroIiEPilEENS0_5tupleIJPlS6_EEENSJ_IJSD_SD_EEES6_SK_JS6_EEE10hipError_tPvRmT3_T4_T5_T6_T7_T9_mT8_P12ihipStream_tbDpT10_ENKUlT_T0_E_clISt17integral_constantIbLb0EES16_EEDaS11_S12_EUlS11_E_NS1_11comp_targetILNS1_3genE3ELNS1_11target_archE908ELNS1_3gpuE7ELNS1_3repE0EEENS1_30default_config_static_selectorELNS0_4arch9wavefront6targetE1EEEvT1_.has_dyn_sized_stack, 0
	.set _ZN7rocprim17ROCPRIM_400000_NS6detail17trampoline_kernelINS0_14default_configENS1_25partition_config_selectorILNS1_17partition_subalgoE5ElNS0_10empty_typeEbEEZZNS1_14partition_implILS5_5ELb0ES3_mN6hipcub16HIPCUB_304000_NS21CountingInputIteratorIllEEPS6_NSA_22TransformInputIteratorIb7NonZeroIiEPilEENS0_5tupleIJPlS6_EEENSJ_IJSD_SD_EEES6_SK_JS6_EEE10hipError_tPvRmT3_T4_T5_T6_T7_T9_mT8_P12ihipStream_tbDpT10_ENKUlT_T0_E_clISt17integral_constantIbLb0EES16_EEDaS11_S12_EUlS11_E_NS1_11comp_targetILNS1_3genE3ELNS1_11target_archE908ELNS1_3gpuE7ELNS1_3repE0EEENS1_30default_config_static_selectorELNS0_4arch9wavefront6targetE1EEEvT1_.has_recursion, 0
	.set _ZN7rocprim17ROCPRIM_400000_NS6detail17trampoline_kernelINS0_14default_configENS1_25partition_config_selectorILNS1_17partition_subalgoE5ElNS0_10empty_typeEbEEZZNS1_14partition_implILS5_5ELb0ES3_mN6hipcub16HIPCUB_304000_NS21CountingInputIteratorIllEEPS6_NSA_22TransformInputIteratorIb7NonZeroIiEPilEENS0_5tupleIJPlS6_EEENSJ_IJSD_SD_EEES6_SK_JS6_EEE10hipError_tPvRmT3_T4_T5_T6_T7_T9_mT8_P12ihipStream_tbDpT10_ENKUlT_T0_E_clISt17integral_constantIbLb0EES16_EEDaS11_S12_EUlS11_E_NS1_11comp_targetILNS1_3genE3ELNS1_11target_archE908ELNS1_3gpuE7ELNS1_3repE0EEENS1_30default_config_static_selectorELNS0_4arch9wavefront6targetE1EEEvT1_.has_indirect_call, 0
	.section	.AMDGPU.csdata,"",@progbits
; Kernel info:
; codeLenInByte = 0
; TotalNumSgprs: 4
; NumVgprs: 0
; ScratchSize: 0
; MemoryBound: 0
; FloatMode: 240
; IeeeMode: 1
; LDSByteSize: 0 bytes/workgroup (compile time only)
; SGPRBlocks: 0
; VGPRBlocks: 0
; NumSGPRsForWavesPerEU: 4
; NumVGPRsForWavesPerEU: 1
; Occupancy: 10
; WaveLimiterHint : 0
; COMPUTE_PGM_RSRC2:SCRATCH_EN: 0
; COMPUTE_PGM_RSRC2:USER_SGPR: 6
; COMPUTE_PGM_RSRC2:TRAP_HANDLER: 0
; COMPUTE_PGM_RSRC2:TGID_X_EN: 1
; COMPUTE_PGM_RSRC2:TGID_Y_EN: 0
; COMPUTE_PGM_RSRC2:TGID_Z_EN: 0
; COMPUTE_PGM_RSRC2:TIDIG_COMP_CNT: 0
	.section	.text._ZN7rocprim17ROCPRIM_400000_NS6detail17trampoline_kernelINS0_14default_configENS1_25partition_config_selectorILNS1_17partition_subalgoE5ElNS0_10empty_typeEbEEZZNS1_14partition_implILS5_5ELb0ES3_mN6hipcub16HIPCUB_304000_NS21CountingInputIteratorIllEEPS6_NSA_22TransformInputIteratorIb7NonZeroIiEPilEENS0_5tupleIJPlS6_EEENSJ_IJSD_SD_EEES6_SK_JS6_EEE10hipError_tPvRmT3_T4_T5_T6_T7_T9_mT8_P12ihipStream_tbDpT10_ENKUlT_T0_E_clISt17integral_constantIbLb0EES16_EEDaS11_S12_EUlS11_E_NS1_11comp_targetILNS1_3genE2ELNS1_11target_archE906ELNS1_3gpuE6ELNS1_3repE0EEENS1_30default_config_static_selectorELNS0_4arch9wavefront6targetE1EEEvT1_,"axG",@progbits,_ZN7rocprim17ROCPRIM_400000_NS6detail17trampoline_kernelINS0_14default_configENS1_25partition_config_selectorILNS1_17partition_subalgoE5ElNS0_10empty_typeEbEEZZNS1_14partition_implILS5_5ELb0ES3_mN6hipcub16HIPCUB_304000_NS21CountingInputIteratorIllEEPS6_NSA_22TransformInputIteratorIb7NonZeroIiEPilEENS0_5tupleIJPlS6_EEENSJ_IJSD_SD_EEES6_SK_JS6_EEE10hipError_tPvRmT3_T4_T5_T6_T7_T9_mT8_P12ihipStream_tbDpT10_ENKUlT_T0_E_clISt17integral_constantIbLb0EES16_EEDaS11_S12_EUlS11_E_NS1_11comp_targetILNS1_3genE2ELNS1_11target_archE906ELNS1_3gpuE6ELNS1_3repE0EEENS1_30default_config_static_selectorELNS0_4arch9wavefront6targetE1EEEvT1_,comdat
	.protected	_ZN7rocprim17ROCPRIM_400000_NS6detail17trampoline_kernelINS0_14default_configENS1_25partition_config_selectorILNS1_17partition_subalgoE5ElNS0_10empty_typeEbEEZZNS1_14partition_implILS5_5ELb0ES3_mN6hipcub16HIPCUB_304000_NS21CountingInputIteratorIllEEPS6_NSA_22TransformInputIteratorIb7NonZeroIiEPilEENS0_5tupleIJPlS6_EEENSJ_IJSD_SD_EEES6_SK_JS6_EEE10hipError_tPvRmT3_T4_T5_T6_T7_T9_mT8_P12ihipStream_tbDpT10_ENKUlT_T0_E_clISt17integral_constantIbLb0EES16_EEDaS11_S12_EUlS11_E_NS1_11comp_targetILNS1_3genE2ELNS1_11target_archE906ELNS1_3gpuE6ELNS1_3repE0EEENS1_30default_config_static_selectorELNS0_4arch9wavefront6targetE1EEEvT1_ ; -- Begin function _ZN7rocprim17ROCPRIM_400000_NS6detail17trampoline_kernelINS0_14default_configENS1_25partition_config_selectorILNS1_17partition_subalgoE5ElNS0_10empty_typeEbEEZZNS1_14partition_implILS5_5ELb0ES3_mN6hipcub16HIPCUB_304000_NS21CountingInputIteratorIllEEPS6_NSA_22TransformInputIteratorIb7NonZeroIiEPilEENS0_5tupleIJPlS6_EEENSJ_IJSD_SD_EEES6_SK_JS6_EEE10hipError_tPvRmT3_T4_T5_T6_T7_T9_mT8_P12ihipStream_tbDpT10_ENKUlT_T0_E_clISt17integral_constantIbLb0EES16_EEDaS11_S12_EUlS11_E_NS1_11comp_targetILNS1_3genE2ELNS1_11target_archE906ELNS1_3gpuE6ELNS1_3repE0EEENS1_30default_config_static_selectorELNS0_4arch9wavefront6targetE1EEEvT1_
	.globl	_ZN7rocprim17ROCPRIM_400000_NS6detail17trampoline_kernelINS0_14default_configENS1_25partition_config_selectorILNS1_17partition_subalgoE5ElNS0_10empty_typeEbEEZZNS1_14partition_implILS5_5ELb0ES3_mN6hipcub16HIPCUB_304000_NS21CountingInputIteratorIllEEPS6_NSA_22TransformInputIteratorIb7NonZeroIiEPilEENS0_5tupleIJPlS6_EEENSJ_IJSD_SD_EEES6_SK_JS6_EEE10hipError_tPvRmT3_T4_T5_T6_T7_T9_mT8_P12ihipStream_tbDpT10_ENKUlT_T0_E_clISt17integral_constantIbLb0EES16_EEDaS11_S12_EUlS11_E_NS1_11comp_targetILNS1_3genE2ELNS1_11target_archE906ELNS1_3gpuE6ELNS1_3repE0EEENS1_30default_config_static_selectorELNS0_4arch9wavefront6targetE1EEEvT1_
	.p2align	8
	.type	_ZN7rocprim17ROCPRIM_400000_NS6detail17trampoline_kernelINS0_14default_configENS1_25partition_config_selectorILNS1_17partition_subalgoE5ElNS0_10empty_typeEbEEZZNS1_14partition_implILS5_5ELb0ES3_mN6hipcub16HIPCUB_304000_NS21CountingInputIteratorIllEEPS6_NSA_22TransformInputIteratorIb7NonZeroIiEPilEENS0_5tupleIJPlS6_EEENSJ_IJSD_SD_EEES6_SK_JS6_EEE10hipError_tPvRmT3_T4_T5_T6_T7_T9_mT8_P12ihipStream_tbDpT10_ENKUlT_T0_E_clISt17integral_constantIbLb0EES16_EEDaS11_S12_EUlS11_E_NS1_11comp_targetILNS1_3genE2ELNS1_11target_archE906ELNS1_3gpuE6ELNS1_3repE0EEENS1_30default_config_static_selectorELNS0_4arch9wavefront6targetE1EEEvT1_,@function
_ZN7rocprim17ROCPRIM_400000_NS6detail17trampoline_kernelINS0_14default_configENS1_25partition_config_selectorILNS1_17partition_subalgoE5ElNS0_10empty_typeEbEEZZNS1_14partition_implILS5_5ELb0ES3_mN6hipcub16HIPCUB_304000_NS21CountingInputIteratorIllEEPS6_NSA_22TransformInputIteratorIb7NonZeroIiEPilEENS0_5tupleIJPlS6_EEENSJ_IJSD_SD_EEES6_SK_JS6_EEE10hipError_tPvRmT3_T4_T5_T6_T7_T9_mT8_P12ihipStream_tbDpT10_ENKUlT_T0_E_clISt17integral_constantIbLb0EES16_EEDaS11_S12_EUlS11_E_NS1_11comp_targetILNS1_3genE2ELNS1_11target_archE906ELNS1_3gpuE6ELNS1_3repE0EEENS1_30default_config_static_selectorELNS0_4arch9wavefront6targetE1EEEvT1_: ; @_ZN7rocprim17ROCPRIM_400000_NS6detail17trampoline_kernelINS0_14default_configENS1_25partition_config_selectorILNS1_17partition_subalgoE5ElNS0_10empty_typeEbEEZZNS1_14partition_implILS5_5ELb0ES3_mN6hipcub16HIPCUB_304000_NS21CountingInputIteratorIllEEPS6_NSA_22TransformInputIteratorIb7NonZeroIiEPilEENS0_5tupleIJPlS6_EEENSJ_IJSD_SD_EEES6_SK_JS6_EEE10hipError_tPvRmT3_T4_T5_T6_T7_T9_mT8_P12ihipStream_tbDpT10_ENKUlT_T0_E_clISt17integral_constantIbLb0EES16_EEDaS11_S12_EUlS11_E_NS1_11comp_targetILNS1_3genE2ELNS1_11target_archE906ELNS1_3gpuE6ELNS1_3repE0EEENS1_30default_config_static_selectorELNS0_4arch9wavefront6targetE1EEEvT1_
; %bb.0:
	s_load_dwordx4 s[0:3], s[4:5], 0x8
	s_load_dwordx2 s[8:9], s[4:5], 0x58
	s_load_dwordx4 s[12:15], s[4:5], 0x48
	s_load_dwordx2 s[18:19], s[4:5], 0x20
	s_load_dword s7, s[4:5], 0x70
	s_waitcnt lgkmcnt(0)
	s_add_u32 s22, s2, s0
	s_addc_u32 s23, s3, s1
	s_load_dwordx2 s[10:11], s[14:15], 0x0
	s_mul_i32 s0, s6, 0x700
	s_add_i32 s16, s7, -1
	s_mulk_i32 s7, 0x700
	s_add_u32 s14, s2, s7
	s_addc_u32 s15, s3, 0
	v_mov_b32_e32 v1, s14
	v_mov_b32_e32 v2, s15
	v_cmp_le_u64_e32 vcc, s[8:9], v[1:2]
	s_cmp_eq_u32 s6, s16
	s_cselect_b64 s[14:15], -1, 0
	s_and_b64 s[16:17], s[14:15], vcc
	s_xor_b64 s[16:17], s[16:17], -1
	s_mov_b32 s1, 0
	s_mov_b64 s[20:21], -1
	s_and_b64 vcc, exec, s[16:17]
	s_cbranch_vccz .LBB189_2
; %bb.1:
	s_add_u32 s9, s22, s0
	s_addc_u32 s20, s23, 0
	v_mov_b32_e32 v2, s20
	v_add_co_u32_e32 v1, vcc, s9, v0
	v_addc_co_u32_e32 v2, vcc, 0, v2, vcc
	v_add_co_u32_e32 v3, vcc, 0x100, v1
	v_addc_co_u32_e32 v4, vcc, 0, v2, vcc
	;; [unrolled: 2-line block ×6, first 2 shown]
	v_add_co_u32_e32 v13, vcc, 0x600, v1
	v_lshlrev_b32_e32 v15, 3, v0
	v_addc_co_u32_e32 v14, vcc, 0, v2, vcc
	ds_write2st64_b64 v15, v[1:2], v[3:4] offset1:4
	ds_write2st64_b64 v15, v[5:6], v[7:8] offset0:8 offset1:12
	ds_write2st64_b64 v15, v[9:10], v[11:12] offset0:16 offset1:20
	ds_write_b64 v15, v[13:14] offset:12288
	s_waitcnt lgkmcnt(0)
	s_barrier
	s_mov_b64 s[20:21], 0
.LBB189_2:
	s_andn2_b64 vcc, exec, s[20:21]
	s_cbranch_vccnz .LBB189_4
; %bb.3:
	s_add_u32 s9, s22, s0
	s_addc_u32 s20, s23, 0
	v_mov_b32_e32 v2, s20
	v_add_co_u32_e32 v1, vcc, s9, v0
	v_addc_co_u32_e32 v2, vcc, 0, v2, vcc
	v_or_b32_e32 v3, 0x100, v0
	v_mov_b32_e32 v4, s20
	v_add_co_u32_e32 v3, vcc, s9, v3
	v_addc_co_u32_e32 v4, vcc, 0, v4, vcc
	v_or_b32_e32 v5, 0x200, v0
	;; [unrolled: 4-line block ×6, first 2 shown]
	v_mov_b32_e32 v14, s20
	v_add_co_u32_e32 v13, vcc, s9, v13
	v_lshlrev_b32_e32 v15, 3, v0
	v_addc_co_u32_e32 v14, vcc, 0, v14, vcc
	ds_write2st64_b64 v15, v[1:2], v[3:4] offset1:4
	ds_write2st64_b64 v15, v[5:6], v[7:8] offset0:8 offset1:12
	ds_write2st64_b64 v15, v[9:10], v[11:12] offset0:16 offset1:20
	ds_write_b64 v15, v[13:14] offset:12288
	s_waitcnt lgkmcnt(0)
	s_barrier
.LBB189_4:
	v_mul_u32_u24_e32 v1, 7, v0
	v_lshlrev_b32_e32 v13, 3, v1
	s_waitcnt lgkmcnt(0)
	ds_read_b64 v[21:22], v13 offset:48
	ds_read2_b64 v[1:4], v13 offset0:4 offset1:5
	ds_read2_b64 v[5:8], v13 offset0:2 offset1:3
	ds_read2_b64 v[9:12], v13 offset1:1
	s_lshl_b64 s[20:21], s[2:3], 2
	s_add_u32 s3, s18, s20
	s_addc_u32 s9, s19, s21
	s_lshl_b64 s[0:1], s[0:1], 2
	s_add_u32 s0, s3, s0
	s_addc_u32 s1, s9, s1
	s_mov_b64 s[20:21], -1
	s_and_b64 vcc, exec, s[16:17]
	v_lshlrev_b32_e32 v17, 2, v0
	s_waitcnt lgkmcnt(0)
	s_barrier
	s_cbranch_vccz .LBB189_6
; %bb.5:
	global_load_dword v16, v17, s[0:1]
	global_load_dword v18, v17, s[0:1] offset:1024
	v_mov_b32_e32 v14, s1
	v_add_co_u32_e32 v15, vcc, s0, v17
	v_addc_co_u32_e32 v19, vcc, 0, v14, vcc
	global_load_dword v20, v17, s[0:1] offset:2048
	global_load_dword v23, v17, s[0:1] offset:3072
	s_movk_i32 s3, 0x1000
	v_add_co_u32_e32 v14, vcc, s3, v15
	v_addc_co_u32_e32 v15, vcc, 0, v19, vcc
	global_load_dword v19, v[14:15], off
	global_load_dword v24, v[14:15], off offset:1024
	global_load_dword v25, v[14:15], off offset:2048
	s_mov_b64 s[20:21], 0
	s_waitcnt vmcnt(6)
	v_cmp_ne_u32_e32 vcc, 0, v16
	v_cndmask_b32_e64 v14, 0, 1, vcc
	s_waitcnt vmcnt(5)
	v_cmp_ne_u32_e32 vcc, 0, v18
	v_cndmask_b32_e64 v15, 0, 1, vcc
	;; [unrolled: 3-line block ×4, first 2 shown]
	ds_write_b8 v0, v14
	ds_write_b8 v0, v15 offset:256
	ds_write_b8 v0, v16 offset:512
	;; [unrolled: 1-line block ×3, first 2 shown]
	s_waitcnt vmcnt(2)
	v_cmp_ne_u32_e32 vcc, 0, v19
	v_cndmask_b32_e64 v14, 0, 1, vcc
	s_waitcnt vmcnt(1)
	v_cmp_ne_u32_e32 vcc, 0, v24
	v_cndmask_b32_e64 v15, 0, 1, vcc
	;; [unrolled: 3-line block ×3, first 2 shown]
	ds_write_b8 v0, v14 offset:1024
	ds_write_b8 v0, v15 offset:1280
	;; [unrolled: 1-line block ×3, first 2 shown]
	s_waitcnt lgkmcnt(0)
	s_barrier
.LBB189_6:
	s_load_dwordx2 s[18:19], s[4:5], 0x68
	s_andn2_b64 vcc, exec, s[20:21]
	s_cbranch_vccnz .LBB189_22
; %bb.7:
	s_add_i32 s7, s7, s2
	s_sub_i32 s7, s8, s7
	s_addk_i32 s7, 0x700
	v_mov_b32_e32 v14, 0
	v_cmp_gt_u32_e32 vcc, s7, v0
	s_mov_b32 s8, 0
	v_mov_b32_e32 v16, v14
	v_mov_b32_e32 v15, v14
	s_and_saveexec_b64 s[2:3], vcc
	s_cbranch_execz .LBB189_9
; %bb.8:
	global_load_dword v14, v17, s[0:1]
	v_mov_b32_e32 v16, s8
	s_waitcnt vmcnt(0)
	v_cmp_ne_u32_e32 vcc, 0, v14
	v_cndmask_b32_e64 v14, 0, 1, vcc
	v_mov_b32_e32 v15, v14
.LBB189_9:
	s_or_b64 exec, exec, s[2:3]
	v_or_b32_e32 v18, 0x100, v0
	v_cmp_gt_u32_e32 vcc, s7, v18
	s_and_saveexec_b64 s[2:3], vcc
	s_cbranch_execz .LBB189_11
; %bb.10:
	global_load_dword v18, v17, s[0:1] offset:1024
	v_mov_b32_e32 v19, 8
	v_lshrrev_b32_sdwa v19, v19, v16 dst_sel:BYTE_1 dst_unused:UNUSED_PAD src0_sel:DWORD src1_sel:DWORD
	v_bfe_u32 v20, v16, 16, 8
	v_lshrrev_b32_e32 v23, 16, v14
	s_mov_b32 s8, 0xc0c0304
	v_or_b32_sdwa v16, v16, v19 dst_sel:DWORD dst_unused:UNUSED_PAD src0_sel:BYTE_0 src1_sel:DWORD
	v_and_b32_e32 v16, 0xffff, v16
	v_lshl_or_b32 v16, v20, 16, v16
	s_waitcnt vmcnt(0)
	v_cmp_ne_u32_e32 vcc, 0, v18
	v_cndmask_b32_e64 v18, 0, 1, vcc
	v_lshlrev_b16_e32 v18, 8, v18
	v_or_b32_sdwa v18, v14, v18 dst_sel:DWORD dst_unused:UNUSED_PAD src0_sel:BYTE_0 src1_sel:DWORD
	v_and_b32_e32 v18, 0xffff, v18
	v_perm_b32 v14, v23, v14, s8
	v_lshl_or_b32 v14, v14, 16, v18
.LBB189_11:
	s_or_b64 exec, exec, s[2:3]
	v_or_b32_e32 v18, 0x200, v0
	v_cmp_gt_u32_e32 vcc, s7, v18
	s_and_saveexec_b64 s[2:3], vcc
	s_cbranch_execz .LBB189_13
; %bb.12:
	global_load_dword v18, v17, s[0:1] offset:2048
	v_mov_b32_e32 v19, 8
	v_lshrrev_b32_e32 v23, 24, v14
	v_lshrrev_b32_sdwa v19, v19, v16 dst_sel:BYTE_1 dst_unused:UNUSED_PAD src0_sel:DWORD src1_sel:DWORD
	v_bfe_u32 v20, v16, 16, 8
	s_mov_b32 s8, 0xc0c0104
	v_lshlrev_b16_e32 v23, 8, v23
	v_or_b32_sdwa v16, v16, v19 dst_sel:DWORD dst_unused:UNUSED_PAD src0_sel:BYTE_0 src1_sel:DWORD
	v_and_b32_e32 v16, 0xffff, v16
	v_perm_b32 v14, v14, v14, s8
	v_lshl_or_b32 v16, v20, 16, v16
	s_waitcnt vmcnt(0)
	v_cmp_ne_u32_e32 vcc, 0, v18
	v_cndmask_b32_e64 v18, 0, 1, vcc
	v_or_b32_sdwa v18, v18, v23 dst_sel:WORD_1 dst_unused:UNUSED_PAD src0_sel:DWORD src1_sel:DWORD
	v_or_b32_e32 v14, v14, v18
.LBB189_13:
	s_or_b64 exec, exec, s[2:3]
	v_or_b32_e32 v18, 0x300, v0
	v_cmp_gt_u32_e32 vcc, s7, v18
	s_and_saveexec_b64 s[2:3], vcc
	s_cbranch_execz .LBB189_15
; %bb.14:
	global_load_dword v17, v17, s[0:1] offset:3072
	v_mov_b32_e32 v18, 8
	s_movk_i32 s8, 0xff
	v_lshrrev_b32_sdwa v18, v18, v16 dst_sel:BYTE_1 dst_unused:UNUSED_PAD src0_sel:DWORD src1_sel:DWORD
	v_bfe_u32 v19, v16, 16, 8
	s_mov_b32 s9, 0xc0c0104
	v_and_b32_sdwa v20, v14, s8 dst_sel:DWORD dst_unused:UNUSED_PAD src0_sel:WORD_1 src1_sel:DWORD
	v_or_b32_sdwa v16, v16, v18 dst_sel:DWORD dst_unused:UNUSED_PAD src0_sel:BYTE_0 src1_sel:DWORD
	v_and_b32_e32 v16, 0xffff, v16
	v_perm_b32 v14, v14, v14, s9
	v_lshl_or_b32 v16, v19, 16, v16
	s_waitcnt vmcnt(0)
	v_cmp_ne_u32_e32 vcc, 0, v17
	v_cndmask_b32_e64 v17, 0, 1, vcc
	v_lshlrev_b16_e32 v17, 8, v17
	v_or_b32_sdwa v17, v20, v17 dst_sel:WORD_1 dst_unused:UNUSED_PAD src0_sel:DWORD src1_sel:DWORD
	v_or_b32_e32 v14, v14, v17
.LBB189_15:
	s_or_b64 exec, exec, s[2:3]
	v_or_b32_e32 v17, 0x400, v0
	v_cmp_gt_u32_e32 vcc, s7, v17
	s_and_saveexec_b64 s[2:3], vcc
	s_cbranch_execz .LBB189_17
; %bb.16:
	v_lshlrev_b32_e32 v17, 2, v17
	global_load_dword v17, v17, s[0:1]
	v_mov_b32_e32 v18, 8
	v_bfe_u32 v19, v16, 16, 8
	v_lshrrev_b32_sdwa v16, v18, v16 dst_sel:BYTE_1 dst_unused:UNUSED_PAD src0_sel:DWORD src1_sel:DWORD
	s_mov_b32 s8, 0x3020104
	v_perm_b32 v14, v14, v14, s8
	s_waitcnt vmcnt(0)
	v_cmp_ne_u32_e32 vcc, 0, v17
	v_cndmask_b32_e64 v17, 0, 1, vcc
	v_or_b32_e32 v16, v17, v16
	v_and_b32_e32 v16, 0xffff, v16
	v_lshl_or_b32 v16, v19, 16, v16
.LBB189_17:
	s_or_b64 exec, exec, s[2:3]
	v_or_b32_e32 v17, 0x500, v0
	v_cmp_gt_u32_e32 vcc, s7, v17
	s_and_saveexec_b64 s[2:3], vcc
	s_cbranch_execz .LBB189_19
; %bb.18:
	v_lshlrev_b32_e32 v17, 2, v17
	global_load_dword v17, v17, s[0:1]
	v_bfe_u32 v18, v16, 16, 8
	s_mov_b32 s8, 0x3020104
	v_perm_b32 v14, v14, v14, s8
	s_waitcnt vmcnt(0)
	v_cmp_ne_u32_e32 vcc, 0, v17
	v_cndmask_b32_e64 v17, 0, 1, vcc
	v_lshlrev_b16_e32 v17, 8, v17
	v_or_b32_sdwa v16, v16, v17 dst_sel:DWORD dst_unused:UNUSED_PAD src0_sel:BYTE_0 src1_sel:DWORD
	v_and_b32_e32 v16, 0xffff, v16
	v_lshl_or_b32 v16, v18, 16, v16
.LBB189_19:
	s_or_b64 exec, exec, s[2:3]
	v_or_b32_e32 v17, 0x600, v0
	v_cmp_gt_u32_e32 vcc, s7, v17
	s_and_saveexec_b64 s[2:3], vcc
	s_cbranch_execz .LBB189_21
; %bb.20:
	v_lshlrev_b32_e32 v17, 2, v17
	global_load_dword v17, v17, s[0:1]
	v_mov_b32_e32 v18, 8
	v_lshrrev_b32_sdwa v18, v18, v16 dst_sel:BYTE_1 dst_unused:UNUSED_PAD src0_sel:DWORD src1_sel:DWORD
	v_or_b32_sdwa v16, v16, v18 dst_sel:DWORD dst_unused:UNUSED_PAD src0_sel:BYTE_0 src1_sel:DWORD
	s_mov_b32 s0, 0x3020104
	v_and_b32_e32 v16, 0xffff, v16
	v_perm_b32 v14, v14, v14, s0
	s_waitcnt vmcnt(0)
	v_cmp_ne_u32_e32 vcc, 0, v17
	v_cndmask_b32_e64 v17, 0, 1, vcc
	v_lshl_or_b32 v16, v17, 16, v16
.LBB189_21:
	s_or_b64 exec, exec, s[2:3]
	ds_write_b8 v0, v15
	v_lshrrev_b32_e32 v15, 8, v14
	ds_write_b8 v0, v15 offset:256
	ds_write_b8_d16_hi v0, v14 offset:512
	v_lshrrev_b32_e32 v14, 24, v14
	ds_write_b8 v0, v14 offset:768
	ds_write_b8 v0, v16 offset:1024
	v_lshrrev_b32_e32 v14, 8, v16
	ds_write_b8 v0, v14 offset:1280
	ds_write_b8_d16_hi v0, v16 offset:1536
	s_waitcnt lgkmcnt(0)
	s_barrier
.LBB189_22:
	s_movk_i32 s0, 0xffcf
	v_mad_i32_i24 v43, v0, s0, v13
	s_waitcnt lgkmcnt(0)
	ds_read_u8 v13, v43
	ds_read_u8 v15, v43 offset:1
	ds_read_u8 v16, v43 offset:2
	;; [unrolled: 1-line block ×6, first 2 shown]
	s_waitcnt lgkmcnt(6)
	v_and_b32_e32 v41, 1, v13
	s_waitcnt lgkmcnt(5)
	v_and_b32_e32 v40, 1, v15
	;; [unrolled: 2-line block ×4, first 2 shown]
	v_add3_u32 v13, v40, v41, v39
	s_waitcnt lgkmcnt(2)
	v_and_b32_e32 v37, 1, v18
	v_add_co_u32_e32 v13, vcc, v13, v38
	v_addc_co_u32_e64 v15, s[0:1], 0, 0, vcc
	v_add_co_u32_e32 v13, vcc, v13, v37
	s_waitcnt lgkmcnt(1)
	v_and_b32_e32 v36, 1, v19
	v_addc_co_u32_e32 v15, vcc, 0, v15, vcc
	v_add_co_u32_e32 v13, vcc, v13, v36
	s_waitcnt lgkmcnt(0)
	v_and_b32_e32 v35, 1, v20
	v_addc_co_u32_e32 v15, vcc, 0, v15, vcc
	v_add_co_u32_e32 v23, vcc, v13, v35
	v_mbcnt_lo_u32_b32 v13, -1, 0
	v_mbcnt_hi_u32_b32 v42, -1, v13
	v_and_b32_e32 v44, 15, v42
	s_cmp_lg_u32 s6, 0
	v_mov_b32_e32 v14, 0
	v_addc_co_u32_e32 v24, vcc, 0, v15, vcc
	v_cmp_ne_u32_e64 s[0:1], 0, v44
	s_barrier
	s_cbranch_scc0 .LBB189_78
; %bb.23:
	v_mov_b32_e32 v15, v23
	v_mov_b32_dpp v13, v23 row_shr:1 row_mask:0xf bank_mask:0xf
	v_mov_b32_dpp v18, v14 row_shr:1 row_mask:0xf bank_mask:0xf
	v_mov_b32_e32 v17, v23
	v_mov_b32_e32 v16, v24
	s_and_saveexec_b64 s[2:3], s[0:1]
; %bb.24:
	v_add_co_u32_e32 v17, vcc, v23, v13
	v_addc_co_u32_e32 v14, vcc, 0, v24, vcc
	v_add_co_u32_e32 v13, vcc, 0, v17
	v_addc_co_u32_e32 v14, vcc, v18, v14, vcc
	v_mov_b32_e32 v16, v14
	v_mov_b32_e32 v15, v13
; %bb.25:
	s_or_b64 exec, exec, s[2:3]
	v_mov_b32_dpp v13, v17 row_shr:2 row_mask:0xf bank_mask:0xf
	v_mov_b32_dpp v18, v14 row_shr:2 row_mask:0xf bank_mask:0xf
	v_cmp_lt_u32_e32 vcc, 1, v44
	s_and_saveexec_b64 s[2:3], vcc
; %bb.26:
	v_add_co_u32_e32 v17, vcc, v15, v13
	v_addc_co_u32_e32 v14, vcc, 0, v16, vcc
	v_add_co_u32_e32 v13, vcc, 0, v17
	v_addc_co_u32_e32 v14, vcc, v18, v14, vcc
	v_mov_b32_e32 v16, v14
	v_mov_b32_e32 v15, v13
; %bb.27:
	s_or_b64 exec, exec, s[2:3]
	v_mov_b32_dpp v13, v17 row_shr:4 row_mask:0xf bank_mask:0xf
	v_mov_b32_dpp v18, v14 row_shr:4 row_mask:0xf bank_mask:0xf
	v_cmp_lt_u32_e32 vcc, 3, v44
	s_and_saveexec_b64 s[2:3], vcc
	;; [unrolled: 13-line block ×3, first 2 shown]
; %bb.30:
	v_add_co_u32_e32 v17, vcc, v15, v13
	v_addc_co_u32_e32 v14, vcc, 0, v16, vcc
	v_add_co_u32_e32 v13, vcc, 0, v17
	v_addc_co_u32_e32 v14, vcc, v18, v14, vcc
	v_mov_b32_e32 v16, v14
	v_mov_b32_e32 v15, v13
; %bb.31:
	s_or_b64 exec, exec, s[2:3]
	v_and_b32_e32 v19, 16, v42
	v_mov_b32_dpp v13, v17 row_bcast:15 row_mask:0xf bank_mask:0xf
	v_mov_b32_dpp v18, v14 row_bcast:15 row_mask:0xf bank_mask:0xf
	v_cmp_ne_u32_e32 vcc, 0, v19
	s_and_saveexec_b64 s[2:3], vcc
; %bb.32:
	v_add_co_u32_e32 v17, vcc, v15, v13
	v_addc_co_u32_e32 v14, vcc, 0, v16, vcc
	v_add_co_u32_e32 v13, vcc, 0, v17
	v_addc_co_u32_e32 v14, vcc, v18, v14, vcc
	v_mov_b32_e32 v16, v14
	v_mov_b32_e32 v15, v13
; %bb.33:
	s_or_b64 exec, exec, s[2:3]
	v_mov_b32_dpp v13, v17 row_bcast:31 row_mask:0xf bank_mask:0xf
	v_mov_b32_dpp v18, v14 row_bcast:31 row_mask:0xf bank_mask:0xf
	v_cmp_lt_u32_e32 vcc, 31, v42
	s_and_saveexec_b64 s[2:3], vcc
; %bb.34:
	v_add_co_u32_e32 v17, vcc, v15, v13
	v_addc_co_u32_e32 v14, vcc, 0, v16, vcc
	v_add_co_u32_e32 v13, vcc, 0, v17
	v_addc_co_u32_e32 v14, vcc, v18, v14, vcc
	v_mov_b32_e32 v16, v14
	v_mov_b32_e32 v15, v13
; %bb.35:
	s_or_b64 exec, exec, s[2:3]
	v_or_b32_e32 v18, 63, v0
	v_lshrrev_b32_e32 v13, 6, v0
	v_cmp_eq_u32_e32 vcc, v0, v18
	s_and_saveexec_b64 s[2:3], vcc
; %bb.36:
	v_lshlrev_b32_e32 v18, 3, v13
	ds_write_b64 v18, v[15:16]
; %bb.37:
	s_or_b64 exec, exec, s[2:3]
	v_cmp_gt_u32_e32 vcc, 4, v0
	s_waitcnt lgkmcnt(0)
	s_barrier
	s_and_saveexec_b64 s[2:3], vcc
	s_cbranch_execz .LBB189_41
; %bb.38:
	v_lshlrev_b32_e32 v18, 3, v0
	ds_read_b64 v[15:16], v18
	v_and_b32_e32 v19, 3, v42
	v_cmp_ne_u32_e32 vcc, 0, v19
	s_waitcnt lgkmcnt(0)
	v_mov_b32_dpp v26, v15 row_shr:1 row_mask:0xf bank_mask:0xf
	v_mov_b32_dpp v25, v16 row_shr:1 row_mask:0xf bank_mask:0xf
	v_mov_b32_e32 v20, v15
	s_and_saveexec_b64 s[8:9], vcc
; %bb.39:
	v_add_co_u32_e32 v20, vcc, v15, v26
	v_addc_co_u32_e32 v16, vcc, 0, v16, vcc
	v_add_co_u32_e32 v15, vcc, 0, v20
	v_addc_co_u32_e32 v16, vcc, v25, v16, vcc
; %bb.40:
	s_or_b64 exec, exec, s[8:9]
	v_mov_b32_dpp v20, v20 row_shr:2 row_mask:0xf bank_mask:0xf
	v_add_co_u32_e32 v20, vcc, v15, v20
	v_addc_co_u32_e32 v26, vcc, 0, v16, vcc
	v_mov_b32_dpp v25, v16 row_shr:2 row_mask:0xf bank_mask:0xf
	v_add_co_u32_e32 v20, vcc, 0, v20
	v_addc_co_u32_e32 v25, vcc, v26, v25, vcc
	v_cmp_lt_u32_e32 vcc, 1, v19
	v_cndmask_b32_e32 v16, v16, v25, vcc
	v_cndmask_b32_e32 v15, v15, v20, vcc
	ds_write_b64 v18, v[15:16]
.LBB189_41:
	s_or_b64 exec, exec, s[2:3]
	v_cmp_gt_u32_e32 vcc, 64, v0
	v_cmp_lt_u32_e64 s[2:3], 63, v0
	s_waitcnt lgkmcnt(0)
	s_barrier
                                        ; implicit-def: $vgpr25_vgpr26
	s_and_saveexec_b64 s[8:9], s[2:3]
	s_cbranch_execz .LBB189_43
; %bb.42:
	v_lshl_add_u32 v13, v13, 3, -8
	ds_read_b64 v[25:26], v13
	s_waitcnt lgkmcnt(0)
	v_add_co_u32_e64 v17, s[2:3], v17, v25
	v_addc_co_u32_e64 v14, s[2:3], v14, v26, s[2:3]
.LBB189_43:
	s_or_b64 exec, exec, s[8:9]
	v_subrev_co_u32_e64 v13, s[2:3], 1, v42
	v_and_b32_e32 v15, 64, v42
	v_cmp_lt_i32_e64 s[8:9], v13, v15
	v_cndmask_b32_e64 v13, v13, v42, s[8:9]
	v_lshlrev_b32_e32 v13, 2, v13
	ds_bpermute_b32 v33, v13, v17
	ds_bpermute_b32 v34, v13, v14
	s_and_saveexec_b64 s[8:9], vcc
	s_cbranch_execz .LBB189_83
; %bb.44:
	v_mov_b32_e32 v16, 0
	ds_read_b64 v[13:14], v16 offset:24
	s_and_saveexec_b64 s[20:21], s[2:3]
	s_cbranch_execz .LBB189_46
; %bb.45:
	s_add_i32 s22, s6, 64
	s_mov_b32 s23, 0
	s_lshl_b64 s[22:23], s[22:23], 4
	s_add_u32 s22, s18, s22
	s_addc_u32 s23, s19, s23
	v_mov_b32_e32 v17, s22
	v_mov_b32_e32 v15, 1
	v_mov_b32_e32 v18, s23
	s_waitcnt lgkmcnt(0)
	;;#ASMSTART
	global_store_dwordx4 v[17:18], v[13:16] off	
s_waitcnt vmcnt(0)
	;;#ASMEND
.LBB189_46:
	s_or_b64 exec, exec, s[20:21]
	v_xad_u32 v27, v42, -1, s6
	v_add_u32_e32 v15, 64, v27
	v_lshlrev_b64 v[17:18], 4, v[15:16]
	v_mov_b32_e32 v15, s19
	v_add_co_u32_e32 v28, vcc, s18, v17
	v_addc_co_u32_e32 v29, vcc, v15, v18, vcc
	;;#ASMSTART
	global_load_dwordx4 v[17:20], v[28:29] off glc	
s_waitcnt vmcnt(0)
	;;#ASMEND
	v_cmp_eq_u16_sdwa s[22:23], v19, v16 src0_sel:BYTE_0 src1_sel:DWORD
	s_and_saveexec_b64 s[20:21], s[22:23]
	s_cbranch_execz .LBB189_50
; %bb.47:
	s_mov_b64 s[22:23], 0
	v_mov_b32_e32 v15, 0
.LBB189_48:                             ; =>This Inner Loop Header: Depth=1
	;;#ASMSTART
	global_load_dwordx4 v[17:20], v[28:29] off glc	
s_waitcnt vmcnt(0)
	;;#ASMEND
	v_cmp_ne_u16_sdwa s[24:25], v19, v15 src0_sel:BYTE_0 src1_sel:DWORD
	s_or_b64 s[22:23], s[24:25], s[22:23]
	s_andn2_b64 exec, exec, s[22:23]
	s_cbranch_execnz .LBB189_48
; %bb.49:
	s_or_b64 exec, exec, s[22:23]
.LBB189_50:
	s_or_b64 exec, exec, s[20:21]
	v_and_b32_e32 v45, 63, v42
	v_mov_b32_e32 v15, 2
	v_lshlrev_b64 v[29:30], v42, -1
	v_cmp_ne_u32_e32 vcc, 63, v45
	v_cmp_eq_u16_sdwa s[20:21], v19, v15 src0_sel:BYTE_0 src1_sel:DWORD
	v_addc_co_u32_e32 v20, vcc, 0, v42, vcc
	v_and_b32_e32 v15, s21, v30
	v_lshlrev_b32_e32 v46, 2, v20
	v_or_b32_e32 v15, 0x80000000, v15
	ds_bpermute_b32 v28, v46, v17
	ds_bpermute_b32 v20, v46, v18
	v_and_b32_e32 v16, s20, v29
	v_ffbl_b32_e32 v15, v15
	v_add_u32_e32 v15, 32, v15
	v_ffbl_b32_e32 v16, v16
	v_min_u32_e32 v15, v16, v15
	v_cmp_lt_u32_e32 vcc, v45, v15
	v_mov_b32_e32 v16, v17
	s_and_saveexec_b64 s[20:21], vcc
	s_cbranch_execz .LBB189_52
; %bb.51:
	s_waitcnt lgkmcnt(1)
	v_add_co_u32_e32 v16, vcc, v17, v28
	v_addc_co_u32_e32 v18, vcc, 0, v18, vcc
	v_add_co_u32_e32 v17, vcc, 0, v16
	s_waitcnt lgkmcnt(0)
	v_addc_co_u32_e32 v18, vcc, v20, v18, vcc
.LBB189_52:
	s_or_b64 exec, exec, s[20:21]
	v_cmp_gt_u32_e32 vcc, 62, v45
	s_waitcnt lgkmcnt(0)
	v_cndmask_b32_e64 v20, 0, 2, vcc
	v_add_lshl_u32 v47, v20, v42, 2
	ds_bpermute_b32 v28, v47, v16
	ds_bpermute_b32 v20, v47, v18
	v_add_u32_e32 v48, 2, v45
	v_cmp_le_u32_e32 vcc, v48, v15
	s_and_saveexec_b64 s[20:21], vcc
	s_cbranch_execz .LBB189_54
; %bb.53:
	s_waitcnt lgkmcnt(1)
	v_add_co_u32_e32 v16, vcc, v17, v28
	v_addc_co_u32_e32 v18, vcc, 0, v18, vcc
	v_add_co_u32_e32 v17, vcc, 0, v16
	s_waitcnt lgkmcnt(0)
	v_addc_co_u32_e32 v18, vcc, v20, v18, vcc
.LBB189_54:
	s_or_b64 exec, exec, s[20:21]
	v_cmp_gt_u32_e32 vcc, 60, v45
	s_waitcnt lgkmcnt(0)
	v_cndmask_b32_e64 v20, 0, 4, vcc
	v_add_lshl_u32 v49, v20, v42, 2
	ds_bpermute_b32 v28, v49, v16
	ds_bpermute_b32 v20, v49, v18
	v_add_u32_e32 v50, 4, v45
	v_cmp_le_u32_e32 vcc, v50, v15
	;; [unrolled: 19-line block ×4, first 2 shown]
	s_and_saveexec_b64 s[20:21], vcc
	s_cbranch_execz .LBB189_60
; %bb.59:
	s_waitcnt lgkmcnt(1)
	v_add_co_u32_e32 v16, vcc, v17, v28
	v_addc_co_u32_e32 v18, vcc, 0, v18, vcc
	v_add_co_u32_e32 v17, vcc, 0, v16
	s_waitcnt lgkmcnt(0)
	v_addc_co_u32_e32 v18, vcc, v20, v18, vcc
.LBB189_60:
	s_or_b64 exec, exec, s[20:21]
	s_waitcnt lgkmcnt(0)
	v_mov_b32_e32 v20, 0x80
	v_lshl_or_b32 v55, v42, 2, v20
	ds_bpermute_b32 v16, v55, v16
	ds_bpermute_b32 v20, v55, v18
	v_add_u32_e32 v56, 32, v45
	v_mov_b32_e32 v28, 0
	v_mov_b32_e32 v57, 2
	s_waitcnt lgkmcnt(1)
	v_add_co_u32_e32 v16, vcc, v17, v16
	v_addc_co_u32_e32 v31, vcc, 0, v18, vcc
	v_add_co_u32_e32 v16, vcc, 0, v16
	s_waitcnt lgkmcnt(0)
	v_addc_co_u32_e32 v20, vcc, v31, v20, vcc
	v_cmp_gt_u32_e32 vcc, v56, v15
	v_cndmask_b32_e32 v18, v20, v18, vcc
	v_cndmask_b32_e32 v17, v16, v17, vcc
	s_branch .LBB189_63
.LBB189_61:                             ;   in Loop: Header=BB189_63 Depth=1
	s_or_b64 exec, exec, s[20:21]
	ds_bpermute_b32 v31, v55, v31
	s_waitcnt lgkmcnt(1)
	ds_bpermute_b32 v32, v55, v18
	v_subrev_u32_e32 v27, 64, v27
	s_mov_b64 s[20:21], 0
	s_waitcnt lgkmcnt(1)
	v_add_co_u32_e32 v31, vcc, v17, v31
	v_addc_co_u32_e32 v58, vcc, 0, v18, vcc
	v_add_co_u32_e32 v31, vcc, 0, v31
	s_waitcnt lgkmcnt(0)
	v_addc_co_u32_e32 v32, vcc, v58, v32, vcc
	v_cmp_gt_u32_e32 vcc, v56, v20
	v_cndmask_b32_e32 v17, v31, v17, vcc
	v_cndmask_b32_e32 v18, v32, v18, vcc
	v_add_co_u32_e32 v17, vcc, v17, v15
	v_addc_co_u32_e32 v18, vcc, v18, v16, vcc
.LBB189_62:                             ;   in Loop: Header=BB189_63 Depth=1
	s_and_b64 vcc, exec, s[20:21]
	s_cbranch_vccnz .LBB189_79
.LBB189_63:                             ; =>This Loop Header: Depth=1
                                        ;     Child Loop BB189_66 Depth 2
	v_mov_b32_e32 v15, v17
	v_cmp_ne_u16_sdwa s[20:21], v19, v57 src0_sel:BYTE_0 src1_sel:DWORD
	v_mov_b32_e32 v16, v18
	s_cmp_lg_u64 s[20:21], exec
	s_mov_b64 s[20:21], -1
                                        ; implicit-def: $vgpr17_vgpr18
                                        ; implicit-def: $vgpr19
	s_cbranch_scc1 .LBB189_62
; %bb.64:                               ;   in Loop: Header=BB189_63 Depth=1
	v_lshlrev_b64 v[17:18], 4, v[27:28]
	v_mov_b32_e32 v19, s19
	v_add_co_u32_e32 v31, vcc, s18, v17
	v_addc_co_u32_e32 v32, vcc, v19, v18, vcc
	;;#ASMSTART
	global_load_dwordx4 v[17:20], v[31:32] off glc	
s_waitcnt vmcnt(0)
	;;#ASMEND
	v_cmp_eq_u16_sdwa s[22:23], v19, v28 src0_sel:BYTE_0 src1_sel:DWORD
	s_and_saveexec_b64 s[20:21], s[22:23]
	s_cbranch_execz .LBB189_68
; %bb.65:                               ;   in Loop: Header=BB189_63 Depth=1
	s_mov_b64 s[22:23], 0
.LBB189_66:                             ;   Parent Loop BB189_63 Depth=1
                                        ; =>  This Inner Loop Header: Depth=2
	;;#ASMSTART
	global_load_dwordx4 v[17:20], v[31:32] off glc	
s_waitcnt vmcnt(0)
	;;#ASMEND
	v_cmp_ne_u16_sdwa s[24:25], v19, v28 src0_sel:BYTE_0 src1_sel:DWORD
	s_or_b64 s[22:23], s[24:25], s[22:23]
	s_andn2_b64 exec, exec, s[22:23]
	s_cbranch_execnz .LBB189_66
; %bb.67:                               ;   in Loop: Header=BB189_63 Depth=1
	s_or_b64 exec, exec, s[22:23]
.LBB189_68:                             ;   in Loop: Header=BB189_63 Depth=1
	s_or_b64 exec, exec, s[20:21]
	v_cmp_eq_u16_sdwa s[20:21], v19, v57 src0_sel:BYTE_0 src1_sel:DWORD
	v_and_b32_e32 v20, s21, v30
	v_or_b32_e32 v20, 0x80000000, v20
	ds_bpermute_b32 v58, v46, v17
	ds_bpermute_b32 v32, v46, v18
	v_and_b32_e32 v31, s20, v29
	v_ffbl_b32_e32 v20, v20
	v_add_u32_e32 v20, 32, v20
	v_ffbl_b32_e32 v31, v31
	v_min_u32_e32 v20, v31, v20
	v_cmp_lt_u32_e32 vcc, v45, v20
	v_mov_b32_e32 v31, v17
	s_and_saveexec_b64 s[20:21], vcc
	s_cbranch_execz .LBB189_70
; %bb.69:                               ;   in Loop: Header=BB189_63 Depth=1
	s_waitcnt lgkmcnt(1)
	v_add_co_u32_e32 v31, vcc, v17, v58
	v_addc_co_u32_e32 v18, vcc, 0, v18, vcc
	v_add_co_u32_e32 v17, vcc, 0, v31
	s_waitcnt lgkmcnt(0)
	v_addc_co_u32_e32 v18, vcc, v32, v18, vcc
.LBB189_70:                             ;   in Loop: Header=BB189_63 Depth=1
	s_or_b64 exec, exec, s[20:21]
	s_waitcnt lgkmcnt(1)
	ds_bpermute_b32 v58, v47, v31
	s_waitcnt lgkmcnt(1)
	ds_bpermute_b32 v32, v47, v18
	v_cmp_le_u32_e32 vcc, v48, v20
	s_and_saveexec_b64 s[20:21], vcc
	s_cbranch_execz .LBB189_72
; %bb.71:                               ;   in Loop: Header=BB189_63 Depth=1
	s_waitcnt lgkmcnt(1)
	v_add_co_u32_e32 v31, vcc, v17, v58
	v_addc_co_u32_e32 v18, vcc, 0, v18, vcc
	v_add_co_u32_e32 v17, vcc, 0, v31
	s_waitcnt lgkmcnt(0)
	v_addc_co_u32_e32 v18, vcc, v32, v18, vcc
.LBB189_72:                             ;   in Loop: Header=BB189_63 Depth=1
	s_or_b64 exec, exec, s[20:21]
	s_waitcnt lgkmcnt(1)
	ds_bpermute_b32 v58, v49, v31
	s_waitcnt lgkmcnt(1)
	ds_bpermute_b32 v32, v49, v18
	v_cmp_le_u32_e32 vcc, v50, v20
	;; [unrolled: 16-line block ×4, first 2 shown]
	s_and_saveexec_b64 s[20:21], vcc
	s_cbranch_execz .LBB189_61
; %bb.77:                               ;   in Loop: Header=BB189_63 Depth=1
	s_waitcnt lgkmcnt(1)
	v_add_co_u32_e32 v31, vcc, v17, v58
	v_addc_co_u32_e32 v18, vcc, 0, v18, vcc
	v_add_co_u32_e32 v17, vcc, 0, v31
	s_waitcnt lgkmcnt(0)
	v_addc_co_u32_e32 v18, vcc, v32, v18, vcc
	s_branch .LBB189_61
.LBB189_78:
                                        ; implicit-def: $vgpr19_vgpr20
                                        ; implicit-def: $vgpr17_vgpr18
                                        ; implicit-def: $vgpr25_vgpr26
                                        ; implicit-def: $vgpr27_vgpr28
                                        ; implicit-def: $vgpr29_vgpr30
                                        ; implicit-def: $vgpr31_vgpr32
                                        ; implicit-def: $vgpr33_vgpr34
                                        ; implicit-def: $vgpr15_vgpr16
	s_load_dwordx2 s[2:3], s[4:5], 0x30
	s_cbranch_execnz .LBB189_84
	s_branch .LBB189_105
.LBB189_79:
	s_and_saveexec_b64 s[20:21], s[2:3]
	s_cbranch_execz .LBB189_81
; %bb.80:
	s_add_i32 s6, s6, 64
	s_mov_b32 s7, 0
	s_lshl_b64 s[6:7], s[6:7], 4
	s_add_u32 s6, s18, s6
	s_addc_u32 s7, s19, s7
	v_add_co_u32_e32 v17, vcc, v15, v13
	v_mov_b32_e32 v28, s7
	v_addc_co_u32_e32 v18, vcc, v16, v14, vcc
	v_mov_b32_e32 v19, 2
	v_mov_b32_e32 v20, 0
	;; [unrolled: 1-line block ×3, first 2 shown]
	;;#ASMSTART
	global_store_dwordx4 v[27:28], v[17:20] off	
s_waitcnt vmcnt(0)
	;;#ASMEND
	ds_write_b128 v20, v[13:16] offset:14336
.LBB189_81:
	s_or_b64 exec, exec, s[20:21]
	v_cmp_eq_u32_e32 vcc, 0, v0
	s_and_b64 exec, exec, vcc
; %bb.82:
	v_mov_b32_e32 v13, 0
	ds_write_b64 v13, v[15:16] offset:24
.LBB189_83:
	s_or_b64 exec, exec, s[8:9]
	v_mov_b32_e32 v19, 0
	s_waitcnt lgkmcnt(0)
	s_barrier
	ds_read_b64 v[13:14], v19 offset:24
	v_cndmask_b32_e64 v15, v33, v25, s[2:3]
	v_cmp_ne_u32_e32 vcc, 0, v0
	v_cndmask_b32_e64 v16, v34, v26, s[2:3]
	v_cndmask_b32_e32 v15, 0, v15, vcc
	v_cndmask_b32_e32 v16, 0, v16, vcc
	s_waitcnt lgkmcnt(0)
	v_add_co_u32_e32 v33, vcc, v13, v15
	v_addc_co_u32_e32 v34, vcc, v14, v16, vcc
	v_add_co_u32_e32 v31, vcc, v33, v41
	v_addc_co_u32_e32 v32, vcc, 0, v34, vcc
	;; [unrolled: 2-line block ×5, first 2 shown]
	s_barrier
	ds_read_b128 v[13:16], v19 offset:14336
	v_add_co_u32_e32 v17, vcc, v25, v37
	v_addc_co_u32_e32 v18, vcc, 0, v26, vcc
	v_add_co_u32_e32 v19, vcc, v17, v36
	v_addc_co_u32_e32 v20, vcc, 0, v18, vcc
	s_load_dwordx2 s[2:3], s[4:5], 0x30
	s_branch .LBB189_105
.LBB189_84:
	s_waitcnt lgkmcnt(0)
	v_mov_b32_e32 v14, 0
	v_mov_b32_dpp v16, v23 row_shr:1 row_mask:0xf bank_mask:0xf
	v_mov_b32_e32 v15, v23
	v_mov_b32_dpp v13, v14 row_shr:1 row_mask:0xf bank_mask:0xf
	s_and_saveexec_b64 s[4:5], s[0:1]
; %bb.85:
	v_add_co_u32_e32 v15, vcc, v23, v16
	v_addc_co_u32_e32 v14, vcc, 0, v24, vcc
	v_add_co_u32_e32 v23, vcc, 0, v15
	v_addc_co_u32_e32 v24, vcc, v13, v14, vcc
	v_mov_b32_e32 v14, v24
; %bb.86:
	s_or_b64 exec, exec, s[4:5]
	v_mov_b32_dpp v13, v15 row_shr:2 row_mask:0xf bank_mask:0xf
	v_mov_b32_dpp v16, v14 row_shr:2 row_mask:0xf bank_mask:0xf
	v_cmp_lt_u32_e32 vcc, 1, v44
	s_and_saveexec_b64 s[0:1], vcc
; %bb.87:
	v_add_co_u32_e32 v15, vcc, v23, v13
	v_addc_co_u32_e32 v14, vcc, 0, v24, vcc
	v_add_co_u32_e32 v13, vcc, 0, v15
	v_addc_co_u32_e32 v14, vcc, v16, v14, vcc
	v_mov_b32_e32 v24, v14
	v_mov_b32_e32 v23, v13
; %bb.88:
	s_or_b64 exec, exec, s[0:1]
	v_mov_b32_dpp v13, v15 row_shr:4 row_mask:0xf bank_mask:0xf
	v_mov_b32_dpp v16, v14 row_shr:4 row_mask:0xf bank_mask:0xf
	v_cmp_lt_u32_e32 vcc, 3, v44
	s_and_saveexec_b64 s[0:1], vcc
; %bb.89:
	v_add_co_u32_e32 v15, vcc, v23, v13
	v_addc_co_u32_e32 v14, vcc, 0, v24, vcc
	v_add_co_u32_e32 v13, vcc, 0, v15
	v_addc_co_u32_e32 v14, vcc, v16, v14, vcc
	v_mov_b32_e32 v24, v14
	;; [unrolled: 13-line block ×3, first 2 shown]
	v_mov_b32_e32 v23, v13
; %bb.92:
	s_or_b64 exec, exec, s[0:1]
	v_and_b32_e32 v17, 16, v42
	v_mov_b32_dpp v16, v15 row_bcast:15 row_mask:0xf bank_mask:0xf
	v_mov_b32_dpp v13, v14 row_bcast:15 row_mask:0xf bank_mask:0xf
	v_cmp_ne_u32_e32 vcc, 0, v17
	s_and_saveexec_b64 s[0:1], vcc
; %bb.93:
	v_add_co_u32_e32 v15, vcc, v23, v16
	v_addc_co_u32_e32 v14, vcc, 0, v24, vcc
	v_add_co_u32_e32 v23, vcc, 0, v15
	v_addc_co_u32_e32 v24, vcc, v13, v14, vcc
	v_mov_b32_e32 v14, v24
; %bb.94:
	s_or_b64 exec, exec, s[0:1]
	v_mov_b32_dpp v13, v15 row_bcast:31 row_mask:0xf bank_mask:0xf
	v_add_co_u32_e32 v13, vcc, v23, v13
	v_addc_co_u32_e32 v15, vcc, 0, v24, vcc
	v_mov_b32_dpp v14, v14 row_bcast:31 row_mask:0xf bank_mask:0xf
	v_add_co_u32_e32 v13, vcc, 0, v13
	v_addc_co_u32_e32 v14, vcc, v15, v14, vcc
	v_cmp_lt_u32_e32 vcc, 31, v42
	v_or_b32_e32 v15, 63, v0
	v_cndmask_b32_e32 v14, v24, v14, vcc
	v_cndmask_b32_e32 v13, v23, v13, vcc
	v_lshrrev_b32_e32 v19, 6, v0
	v_cmp_eq_u32_e32 vcc, v0, v15
	s_and_saveexec_b64 s[0:1], vcc
; %bb.95:
	v_lshlrev_b32_e32 v15, 3, v19
	ds_write_b64 v15, v[13:14]
; %bb.96:
	s_or_b64 exec, exec, s[0:1]
	v_cmp_gt_u32_e32 vcc, 4, v0
	s_waitcnt lgkmcnt(0)
	s_barrier
	s_and_saveexec_b64 s[0:1], vcc
	s_cbranch_execz .LBB189_100
; %bb.97:
	v_add_u32_e32 v17, v43, v0
	ds_read_b64 v[15:16], v17
	v_and_b32_e32 v18, 3, v42
	v_cmp_ne_u32_e32 vcc, 0, v18
	s_waitcnt lgkmcnt(0)
	v_mov_b32_dpp v24, v15 row_shr:1 row_mask:0xf bank_mask:0xf
	v_mov_b32_dpp v23, v16 row_shr:1 row_mask:0xf bank_mask:0xf
	v_mov_b32_e32 v20, v15
	s_and_saveexec_b64 s[4:5], vcc
; %bb.98:
	v_add_co_u32_e32 v20, vcc, v15, v24
	v_addc_co_u32_e32 v16, vcc, 0, v16, vcc
	v_add_co_u32_e32 v15, vcc, 0, v20
	v_addc_co_u32_e32 v16, vcc, v23, v16, vcc
; %bb.99:
	s_or_b64 exec, exec, s[4:5]
	v_mov_b32_dpp v20, v20 row_shr:2 row_mask:0xf bank_mask:0xf
	v_add_co_u32_e32 v20, vcc, v15, v20
	v_addc_co_u32_e32 v24, vcc, 0, v16, vcc
	v_mov_b32_dpp v23, v16 row_shr:2 row_mask:0xf bank_mask:0xf
	v_add_co_u32_e32 v20, vcc, 0, v20
	v_addc_co_u32_e32 v23, vcc, v24, v23, vcc
	v_cmp_lt_u32_e32 vcc, 1, v18
	v_cndmask_b32_e32 v16, v16, v23, vcc
	v_cndmask_b32_e32 v15, v15, v20, vcc
	ds_write_b64 v17, v[15:16]
.LBB189_100:
	s_or_b64 exec, exec, s[0:1]
	v_mov_b32_e32 v17, 0
	v_mov_b32_e32 v18, 0
	v_cmp_lt_u32_e32 vcc, 63, v0
	s_waitcnt lgkmcnt(0)
	s_barrier
	s_and_saveexec_b64 s[0:1], vcc
; %bb.101:
	v_lshl_add_u32 v15, v19, 3, -8
	ds_read_b64 v[17:18], v15
; %bb.102:
	s_or_b64 exec, exec, s[0:1]
	s_waitcnt lgkmcnt(0)
	v_add_co_u32_e32 v13, vcc, v17, v13
	v_addc_co_u32_e32 v14, vcc, v18, v14, vcc
	v_subrev_co_u32_e32 v15, vcc, 1, v42
	v_and_b32_e32 v16, 64, v42
	v_cmp_lt_i32_e64 s[0:1], v15, v16
	v_cndmask_b32_e64 v15, v15, v42, s[0:1]
	v_lshlrev_b32_e32 v15, 2, v15
	v_mov_b32_e32 v16, 0
	ds_bpermute_b32 v19, v15, v13
	ds_bpermute_b32 v20, v15, v14
	ds_read_b64 v[13:14], v16 offset:24
	v_cmp_eq_u32_e64 s[0:1], 0, v0
	s_and_saveexec_b64 s[4:5], s[0:1]
	s_cbranch_execz .LBB189_104
; %bb.103:
	s_add_u32 s6, s18, 0x400
	s_addc_u32 s7, s19, 0
	v_mov_b32_e32 v24, s7
	v_mov_b32_e32 v15, 2
	;; [unrolled: 1-line block ×3, first 2 shown]
	s_waitcnt lgkmcnt(0)
	;;#ASMSTART
	global_store_dwordx4 v[23:24], v[13:16] off	
s_waitcnt vmcnt(0)
	;;#ASMEND
.LBB189_104:
	s_or_b64 exec, exec, s[4:5]
	s_waitcnt lgkmcnt(2)
	v_cndmask_b32_e32 v15, v19, v17, vcc
	s_waitcnt lgkmcnt(1)
	v_cndmask_b32_e32 v16, v20, v18, vcc
	v_cndmask_b32_e64 v33, v15, 0, s[0:1]
	v_cndmask_b32_e64 v34, v16, 0, s[0:1]
	v_add_co_u32_e32 v31, vcc, v33, v41
	v_addc_co_u32_e32 v32, vcc, 0, v34, vcc
	v_add_co_u32_e32 v29, vcc, v31, v40
	v_addc_co_u32_e32 v30, vcc, 0, v32, vcc
	;; [unrolled: 2-line block ×5, first 2 shown]
	v_add_co_u32_e32 v19, vcc, v17, v36
	v_mov_b32_e32 v15, 0
	v_addc_co_u32_e32 v20, vcc, 0, v18, vcc
	s_waitcnt lgkmcnt(0)
	s_barrier
	v_mov_b32_e32 v16, 0
.LBB189_105:
	s_mov_b64 s[0:1], 0x101
	s_waitcnt lgkmcnt(0)
	v_cmp_gt_u64_e32 vcc, s[0:1], v[13:14]
	s_mov_b64 s[4:5], -1
	v_cmp_eq_u32_e64 s[0:1], 1, v41
	s_cbranch_vccnz .LBB189_109
; %bb.106:
	s_and_b64 vcc, exec, s[4:5]
	s_cbranch_vccnz .LBB189_124
.LBB189_107:
	v_cmp_eq_u32_e32 vcc, 0, v0
	s_and_b64 s[0:1], vcc, s[14:15]
	s_and_saveexec_b64 s[2:3], s[0:1]
	s_cbranch_execnz .LBB189_135
.LBB189_108:
	s_endpgm
.LBB189_109:
	v_add_co_u32_e32 v23, vcc, v15, v13
	v_addc_co_u32_e32 v24, vcc, v16, v14, vcc
	v_cmp_lt_u64_e32 vcc, v[33:34], v[23:24]
	s_or_b64 s[4:5], s[16:17], vcc
	s_and_b64 s[4:5], s[4:5], s[0:1]
	s_and_saveexec_b64 s[0:1], s[4:5]
	s_cbranch_execz .LBB189_111
; %bb.110:
	s_lshl_b64 s[4:5], s[10:11], 3
	s_add_u32 s4, s2, s4
	v_lshlrev_b64 v[42:43], 3, v[33:34]
	s_addc_u32 s5, s3, s5
	v_mov_b32_e32 v34, s5
	v_add_co_u32_e32 v42, vcc, s4, v42
	v_addc_co_u32_e32 v43, vcc, v34, v43, vcc
	global_store_dwordx2 v[42:43], v[9:10], off
.LBB189_111:
	s_or_b64 exec, exec, s[0:1]
	v_cmp_lt_u64_e32 vcc, v[31:32], v[23:24]
	s_or_b64 s[0:1], s[16:17], vcc
	v_cmp_eq_u32_e32 vcc, 1, v40
	s_and_b64 s[4:5], s[0:1], vcc
	s_and_saveexec_b64 s[0:1], s[4:5]
	s_cbranch_execz .LBB189_113
; %bb.112:
	s_lshl_b64 s[4:5], s[10:11], 3
	s_add_u32 s4, s2, s4
	v_lshlrev_b64 v[42:43], 3, v[31:32]
	s_addc_u32 s5, s3, s5
	v_mov_b32_e32 v32, s5
	v_add_co_u32_e32 v42, vcc, s4, v42
	v_addc_co_u32_e32 v43, vcc, v32, v43, vcc
	global_store_dwordx2 v[42:43], v[11:12], off
.LBB189_113:
	s_or_b64 exec, exec, s[0:1]
	v_cmp_lt_u64_e32 vcc, v[29:30], v[23:24]
	s_or_b64 s[0:1], s[16:17], vcc
	v_cmp_eq_u32_e32 vcc, 1, v39
	s_and_b64 s[4:5], s[0:1], vcc
	;; [unrolled: 17-line block ×6, first 2 shown]
	s_and_saveexec_b64 s[0:1], s[4:5]
	s_cbranch_execz .LBB189_123
; %bb.122:
	s_lshl_b64 s[4:5], s[10:11], 3
	s_add_u32 s4, s2, s4
	v_lshlrev_b64 v[23:24], 3, v[19:20]
	s_addc_u32 s5, s3, s5
	v_mov_b32_e32 v18, s5
	v_add_co_u32_e32 v23, vcc, s4, v23
	v_addc_co_u32_e32 v24, vcc, v18, v24, vcc
	global_store_dwordx2 v[23:24], v[21:22], off
.LBB189_123:
	s_or_b64 exec, exec, s[0:1]
	s_branch .LBB189_107
.LBB189_124:
	v_cmp_eq_u32_e32 vcc, 1, v41
	s_and_saveexec_b64 s[0:1], vcc
	s_cbranch_execnz .LBB189_136
; %bb.125:
	s_or_b64 exec, exec, s[0:1]
	v_cmp_eq_u32_e32 vcc, 1, v40
	s_and_saveexec_b64 s[0:1], vcc
	s_cbranch_execnz .LBB189_137
.LBB189_126:
	s_or_b64 exec, exec, s[0:1]
	v_cmp_eq_u32_e32 vcc, 1, v39
	s_and_saveexec_b64 s[0:1], vcc
	s_cbranch_execnz .LBB189_138
.LBB189_127:
	s_or_b64 exec, exec, s[0:1]
	v_cmp_eq_u32_e32 vcc, 1, v38
	s_and_saveexec_b64 s[0:1], vcc
	s_cbranch_execnz .LBB189_139
.LBB189_128:
	s_or_b64 exec, exec, s[0:1]
	v_cmp_eq_u32_e32 vcc, 1, v37
	s_and_saveexec_b64 s[0:1], vcc
	s_cbranch_execnz .LBB189_140
.LBB189_129:
	s_or_b64 exec, exec, s[0:1]
	v_cmp_eq_u32_e32 vcc, 1, v36
	s_and_saveexec_b64 s[0:1], vcc
	s_cbranch_execnz .LBB189_141
.LBB189_130:
	s_or_b64 exec, exec, s[0:1]
	v_cmp_eq_u32_e32 vcc, 1, v35
	s_and_saveexec_b64 s[0:1], vcc
.LBB189_131:
	v_sub_u32_e32 v1, v19, v15
	v_lshlrev_b32_e32 v1, 3, v1
	ds_write_b64 v1, v[21:22]
.LBB189_132:
	s_or_b64 exec, exec, s[0:1]
	v_lshlrev_b64 v[4:5], 3, v[15:16]
	v_mov_b32_e32 v2, s3
	v_add_co_u32_e32 v4, vcc, s2, v4
	v_mov_b32_e32 v3, 0
	v_addc_co_u32_e32 v2, vcc, v2, v5, vcc
	s_lshl_b64 s[0:1], s[10:11], 3
	v_mov_b32_e32 v1, v3
	v_mov_b32_e32 v5, s1
	v_add_co_u32_e32 v6, vcc, s0, v4
	v_addc_co_u32_e32 v7, vcc, v2, v5, vcc
	v_mov_b32_e32 v5, v1
	v_or_b32_e32 v2, 0x100, v0
	s_mov_b64 s[2:3], 0
	v_mov_b32_e32 v4, v0
	s_waitcnt vmcnt(0) lgkmcnt(0)
	s_barrier
.LBB189_133:                            ; =>This Inner Loop Header: Depth=1
	v_lshlrev_b32_e32 v1, 3, v4
	ds_read_b64 v[10:11], v1
	v_lshlrev_b64 v[8:9], 3, v[4:5]
	v_cmp_le_u64_e32 vcc, v[13:14], v[2:3]
	v_mov_b32_e32 v5, v3
	v_add_co_u32_e64 v8, s[0:1], v6, v8
	v_mov_b32_e32 v4, v2
	v_add_u32_e32 v2, 0x100, v2
	v_addc_co_u32_e64 v9, s[0:1], v7, v9, s[0:1]
	s_or_b64 s[2:3], vcc, s[2:3]
	s_waitcnt lgkmcnt(0)
	global_store_dwordx2 v[8:9], v[10:11], off
	s_andn2_b64 exec, exec, s[2:3]
	s_cbranch_execnz .LBB189_133
; %bb.134:
	s_or_b64 exec, exec, s[2:3]
	v_cmp_eq_u32_e32 vcc, 0, v0
	s_and_b64 s[0:1], vcc, s[14:15]
	s_and_saveexec_b64 s[2:3], s[0:1]
	s_cbranch_execz .LBB189_108
.LBB189_135:
	v_add_co_u32_e32 v0, vcc, v15, v13
	v_addc_co_u32_e32 v1, vcc, v16, v14, vcc
	v_mov_b32_e32 v3, s11
	v_add_co_u32_e32 v0, vcc, s10, v0
	v_mov_b32_e32 v2, 0
	v_addc_co_u32_e32 v1, vcc, v1, v3, vcc
	global_store_dwordx2 v2, v[0:1], s[12:13]
	s_endpgm
.LBB189_136:
	v_sub_u32_e32 v18, v33, v15
	v_lshlrev_b32_e32 v18, 3, v18
	ds_write_b64 v18, v[9:10]
	s_or_b64 exec, exec, s[0:1]
	v_cmp_eq_u32_e32 vcc, 1, v40
	s_and_saveexec_b64 s[0:1], vcc
	s_cbranch_execz .LBB189_126
.LBB189_137:
	v_sub_u32_e32 v9, v31, v15
	v_lshlrev_b32_e32 v9, 3, v9
	ds_write_b64 v9, v[11:12]
	s_or_b64 exec, exec, s[0:1]
	v_cmp_eq_u32_e32 vcc, 1, v39
	s_and_saveexec_b64 s[0:1], vcc
	s_cbranch_execz .LBB189_127
.LBB189_138:
	v_sub_u32_e32 v9, v29, v15
	v_lshlrev_b32_e32 v9, 3, v9
	ds_write_b64 v9, v[5:6]
	s_or_b64 exec, exec, s[0:1]
	v_cmp_eq_u32_e32 vcc, 1, v38
	s_and_saveexec_b64 s[0:1], vcc
	s_cbranch_execz .LBB189_128
.LBB189_139:
	v_sub_u32_e32 v5, v27, v15
	v_lshlrev_b32_e32 v5, 3, v5
	ds_write_b64 v5, v[7:8]
	s_or_b64 exec, exec, s[0:1]
	v_cmp_eq_u32_e32 vcc, 1, v37
	s_and_saveexec_b64 s[0:1], vcc
	s_cbranch_execz .LBB189_129
.LBB189_140:
	v_sub_u32_e32 v5, v25, v15
	v_lshlrev_b32_e32 v5, 3, v5
	ds_write_b64 v5, v[1:2]
	s_or_b64 exec, exec, s[0:1]
	v_cmp_eq_u32_e32 vcc, 1, v36
	s_and_saveexec_b64 s[0:1], vcc
	s_cbranch_execz .LBB189_130
.LBB189_141:
	v_sub_u32_e32 v1, v17, v15
	v_lshlrev_b32_e32 v1, 3, v1
	ds_write_b64 v1, v[3:4]
	s_or_b64 exec, exec, s[0:1]
	v_cmp_eq_u32_e32 vcc, 1, v35
	s_and_saveexec_b64 s[0:1], vcc
	s_cbranch_execnz .LBB189_131
	s_branch .LBB189_132
	.section	.rodata,"a",@progbits
	.p2align	6, 0x0
	.amdhsa_kernel _ZN7rocprim17ROCPRIM_400000_NS6detail17trampoline_kernelINS0_14default_configENS1_25partition_config_selectorILNS1_17partition_subalgoE5ElNS0_10empty_typeEbEEZZNS1_14partition_implILS5_5ELb0ES3_mN6hipcub16HIPCUB_304000_NS21CountingInputIteratorIllEEPS6_NSA_22TransformInputIteratorIb7NonZeroIiEPilEENS0_5tupleIJPlS6_EEENSJ_IJSD_SD_EEES6_SK_JS6_EEE10hipError_tPvRmT3_T4_T5_T6_T7_T9_mT8_P12ihipStream_tbDpT10_ENKUlT_T0_E_clISt17integral_constantIbLb0EES16_EEDaS11_S12_EUlS11_E_NS1_11comp_targetILNS1_3genE2ELNS1_11target_archE906ELNS1_3gpuE6ELNS1_3repE0EEENS1_30default_config_static_selectorELNS0_4arch9wavefront6targetE1EEEvT1_
		.amdhsa_group_segment_fixed_size 14352
		.amdhsa_private_segment_fixed_size 0
		.amdhsa_kernarg_size 120
		.amdhsa_user_sgpr_count 6
		.amdhsa_user_sgpr_private_segment_buffer 1
		.amdhsa_user_sgpr_dispatch_ptr 0
		.amdhsa_user_sgpr_queue_ptr 0
		.amdhsa_user_sgpr_kernarg_segment_ptr 1
		.amdhsa_user_sgpr_dispatch_id 0
		.amdhsa_user_sgpr_flat_scratch_init 0
		.amdhsa_user_sgpr_private_segment_size 0
		.amdhsa_uses_dynamic_stack 0
		.amdhsa_system_sgpr_private_segment_wavefront_offset 0
		.amdhsa_system_sgpr_workgroup_id_x 1
		.amdhsa_system_sgpr_workgroup_id_y 0
		.amdhsa_system_sgpr_workgroup_id_z 0
		.amdhsa_system_sgpr_workgroup_info 0
		.amdhsa_system_vgpr_workitem_id 0
		.amdhsa_next_free_vgpr 59
		.amdhsa_next_free_sgpr 98
		.amdhsa_reserve_vcc 1
		.amdhsa_reserve_flat_scratch 0
		.amdhsa_float_round_mode_32 0
		.amdhsa_float_round_mode_16_64 0
		.amdhsa_float_denorm_mode_32 3
		.amdhsa_float_denorm_mode_16_64 3
		.amdhsa_dx10_clamp 1
		.amdhsa_ieee_mode 1
		.amdhsa_fp16_overflow 0
		.amdhsa_exception_fp_ieee_invalid_op 0
		.amdhsa_exception_fp_denorm_src 0
		.amdhsa_exception_fp_ieee_div_zero 0
		.amdhsa_exception_fp_ieee_overflow 0
		.amdhsa_exception_fp_ieee_underflow 0
		.amdhsa_exception_fp_ieee_inexact 0
		.amdhsa_exception_int_div_zero 0
	.end_amdhsa_kernel
	.section	.text._ZN7rocprim17ROCPRIM_400000_NS6detail17trampoline_kernelINS0_14default_configENS1_25partition_config_selectorILNS1_17partition_subalgoE5ElNS0_10empty_typeEbEEZZNS1_14partition_implILS5_5ELb0ES3_mN6hipcub16HIPCUB_304000_NS21CountingInputIteratorIllEEPS6_NSA_22TransformInputIteratorIb7NonZeroIiEPilEENS0_5tupleIJPlS6_EEENSJ_IJSD_SD_EEES6_SK_JS6_EEE10hipError_tPvRmT3_T4_T5_T6_T7_T9_mT8_P12ihipStream_tbDpT10_ENKUlT_T0_E_clISt17integral_constantIbLb0EES16_EEDaS11_S12_EUlS11_E_NS1_11comp_targetILNS1_3genE2ELNS1_11target_archE906ELNS1_3gpuE6ELNS1_3repE0EEENS1_30default_config_static_selectorELNS0_4arch9wavefront6targetE1EEEvT1_,"axG",@progbits,_ZN7rocprim17ROCPRIM_400000_NS6detail17trampoline_kernelINS0_14default_configENS1_25partition_config_selectorILNS1_17partition_subalgoE5ElNS0_10empty_typeEbEEZZNS1_14partition_implILS5_5ELb0ES3_mN6hipcub16HIPCUB_304000_NS21CountingInputIteratorIllEEPS6_NSA_22TransformInputIteratorIb7NonZeroIiEPilEENS0_5tupleIJPlS6_EEENSJ_IJSD_SD_EEES6_SK_JS6_EEE10hipError_tPvRmT3_T4_T5_T6_T7_T9_mT8_P12ihipStream_tbDpT10_ENKUlT_T0_E_clISt17integral_constantIbLb0EES16_EEDaS11_S12_EUlS11_E_NS1_11comp_targetILNS1_3genE2ELNS1_11target_archE906ELNS1_3gpuE6ELNS1_3repE0EEENS1_30default_config_static_selectorELNS0_4arch9wavefront6targetE1EEEvT1_,comdat
.Lfunc_end189:
	.size	_ZN7rocprim17ROCPRIM_400000_NS6detail17trampoline_kernelINS0_14default_configENS1_25partition_config_selectorILNS1_17partition_subalgoE5ElNS0_10empty_typeEbEEZZNS1_14partition_implILS5_5ELb0ES3_mN6hipcub16HIPCUB_304000_NS21CountingInputIteratorIllEEPS6_NSA_22TransformInputIteratorIb7NonZeroIiEPilEENS0_5tupleIJPlS6_EEENSJ_IJSD_SD_EEES6_SK_JS6_EEE10hipError_tPvRmT3_T4_T5_T6_T7_T9_mT8_P12ihipStream_tbDpT10_ENKUlT_T0_E_clISt17integral_constantIbLb0EES16_EEDaS11_S12_EUlS11_E_NS1_11comp_targetILNS1_3genE2ELNS1_11target_archE906ELNS1_3gpuE6ELNS1_3repE0EEENS1_30default_config_static_selectorELNS0_4arch9wavefront6targetE1EEEvT1_, .Lfunc_end189-_ZN7rocprim17ROCPRIM_400000_NS6detail17trampoline_kernelINS0_14default_configENS1_25partition_config_selectorILNS1_17partition_subalgoE5ElNS0_10empty_typeEbEEZZNS1_14partition_implILS5_5ELb0ES3_mN6hipcub16HIPCUB_304000_NS21CountingInputIteratorIllEEPS6_NSA_22TransformInputIteratorIb7NonZeroIiEPilEENS0_5tupleIJPlS6_EEENSJ_IJSD_SD_EEES6_SK_JS6_EEE10hipError_tPvRmT3_T4_T5_T6_T7_T9_mT8_P12ihipStream_tbDpT10_ENKUlT_T0_E_clISt17integral_constantIbLb0EES16_EEDaS11_S12_EUlS11_E_NS1_11comp_targetILNS1_3genE2ELNS1_11target_archE906ELNS1_3gpuE6ELNS1_3repE0EEENS1_30default_config_static_selectorELNS0_4arch9wavefront6targetE1EEEvT1_
                                        ; -- End function
	.set _ZN7rocprim17ROCPRIM_400000_NS6detail17trampoline_kernelINS0_14default_configENS1_25partition_config_selectorILNS1_17partition_subalgoE5ElNS0_10empty_typeEbEEZZNS1_14partition_implILS5_5ELb0ES3_mN6hipcub16HIPCUB_304000_NS21CountingInputIteratorIllEEPS6_NSA_22TransformInputIteratorIb7NonZeroIiEPilEENS0_5tupleIJPlS6_EEENSJ_IJSD_SD_EEES6_SK_JS6_EEE10hipError_tPvRmT3_T4_T5_T6_T7_T9_mT8_P12ihipStream_tbDpT10_ENKUlT_T0_E_clISt17integral_constantIbLb0EES16_EEDaS11_S12_EUlS11_E_NS1_11comp_targetILNS1_3genE2ELNS1_11target_archE906ELNS1_3gpuE6ELNS1_3repE0EEENS1_30default_config_static_selectorELNS0_4arch9wavefront6targetE1EEEvT1_.num_vgpr, 59
	.set _ZN7rocprim17ROCPRIM_400000_NS6detail17trampoline_kernelINS0_14default_configENS1_25partition_config_selectorILNS1_17partition_subalgoE5ElNS0_10empty_typeEbEEZZNS1_14partition_implILS5_5ELb0ES3_mN6hipcub16HIPCUB_304000_NS21CountingInputIteratorIllEEPS6_NSA_22TransformInputIteratorIb7NonZeroIiEPilEENS0_5tupleIJPlS6_EEENSJ_IJSD_SD_EEES6_SK_JS6_EEE10hipError_tPvRmT3_T4_T5_T6_T7_T9_mT8_P12ihipStream_tbDpT10_ENKUlT_T0_E_clISt17integral_constantIbLb0EES16_EEDaS11_S12_EUlS11_E_NS1_11comp_targetILNS1_3genE2ELNS1_11target_archE906ELNS1_3gpuE6ELNS1_3repE0EEENS1_30default_config_static_selectorELNS0_4arch9wavefront6targetE1EEEvT1_.num_agpr, 0
	.set _ZN7rocprim17ROCPRIM_400000_NS6detail17trampoline_kernelINS0_14default_configENS1_25partition_config_selectorILNS1_17partition_subalgoE5ElNS0_10empty_typeEbEEZZNS1_14partition_implILS5_5ELb0ES3_mN6hipcub16HIPCUB_304000_NS21CountingInputIteratorIllEEPS6_NSA_22TransformInputIteratorIb7NonZeroIiEPilEENS0_5tupleIJPlS6_EEENSJ_IJSD_SD_EEES6_SK_JS6_EEE10hipError_tPvRmT3_T4_T5_T6_T7_T9_mT8_P12ihipStream_tbDpT10_ENKUlT_T0_E_clISt17integral_constantIbLb0EES16_EEDaS11_S12_EUlS11_E_NS1_11comp_targetILNS1_3genE2ELNS1_11target_archE906ELNS1_3gpuE6ELNS1_3repE0EEENS1_30default_config_static_selectorELNS0_4arch9wavefront6targetE1EEEvT1_.numbered_sgpr, 26
	.set _ZN7rocprim17ROCPRIM_400000_NS6detail17trampoline_kernelINS0_14default_configENS1_25partition_config_selectorILNS1_17partition_subalgoE5ElNS0_10empty_typeEbEEZZNS1_14partition_implILS5_5ELb0ES3_mN6hipcub16HIPCUB_304000_NS21CountingInputIteratorIllEEPS6_NSA_22TransformInputIteratorIb7NonZeroIiEPilEENS0_5tupleIJPlS6_EEENSJ_IJSD_SD_EEES6_SK_JS6_EEE10hipError_tPvRmT3_T4_T5_T6_T7_T9_mT8_P12ihipStream_tbDpT10_ENKUlT_T0_E_clISt17integral_constantIbLb0EES16_EEDaS11_S12_EUlS11_E_NS1_11comp_targetILNS1_3genE2ELNS1_11target_archE906ELNS1_3gpuE6ELNS1_3repE0EEENS1_30default_config_static_selectorELNS0_4arch9wavefront6targetE1EEEvT1_.num_named_barrier, 0
	.set _ZN7rocprim17ROCPRIM_400000_NS6detail17trampoline_kernelINS0_14default_configENS1_25partition_config_selectorILNS1_17partition_subalgoE5ElNS0_10empty_typeEbEEZZNS1_14partition_implILS5_5ELb0ES3_mN6hipcub16HIPCUB_304000_NS21CountingInputIteratorIllEEPS6_NSA_22TransformInputIteratorIb7NonZeroIiEPilEENS0_5tupleIJPlS6_EEENSJ_IJSD_SD_EEES6_SK_JS6_EEE10hipError_tPvRmT3_T4_T5_T6_T7_T9_mT8_P12ihipStream_tbDpT10_ENKUlT_T0_E_clISt17integral_constantIbLb0EES16_EEDaS11_S12_EUlS11_E_NS1_11comp_targetILNS1_3genE2ELNS1_11target_archE906ELNS1_3gpuE6ELNS1_3repE0EEENS1_30default_config_static_selectorELNS0_4arch9wavefront6targetE1EEEvT1_.private_seg_size, 0
	.set _ZN7rocprim17ROCPRIM_400000_NS6detail17trampoline_kernelINS0_14default_configENS1_25partition_config_selectorILNS1_17partition_subalgoE5ElNS0_10empty_typeEbEEZZNS1_14partition_implILS5_5ELb0ES3_mN6hipcub16HIPCUB_304000_NS21CountingInputIteratorIllEEPS6_NSA_22TransformInputIteratorIb7NonZeroIiEPilEENS0_5tupleIJPlS6_EEENSJ_IJSD_SD_EEES6_SK_JS6_EEE10hipError_tPvRmT3_T4_T5_T6_T7_T9_mT8_P12ihipStream_tbDpT10_ENKUlT_T0_E_clISt17integral_constantIbLb0EES16_EEDaS11_S12_EUlS11_E_NS1_11comp_targetILNS1_3genE2ELNS1_11target_archE906ELNS1_3gpuE6ELNS1_3repE0EEENS1_30default_config_static_selectorELNS0_4arch9wavefront6targetE1EEEvT1_.uses_vcc, 1
	.set _ZN7rocprim17ROCPRIM_400000_NS6detail17trampoline_kernelINS0_14default_configENS1_25partition_config_selectorILNS1_17partition_subalgoE5ElNS0_10empty_typeEbEEZZNS1_14partition_implILS5_5ELb0ES3_mN6hipcub16HIPCUB_304000_NS21CountingInputIteratorIllEEPS6_NSA_22TransformInputIteratorIb7NonZeroIiEPilEENS0_5tupleIJPlS6_EEENSJ_IJSD_SD_EEES6_SK_JS6_EEE10hipError_tPvRmT3_T4_T5_T6_T7_T9_mT8_P12ihipStream_tbDpT10_ENKUlT_T0_E_clISt17integral_constantIbLb0EES16_EEDaS11_S12_EUlS11_E_NS1_11comp_targetILNS1_3genE2ELNS1_11target_archE906ELNS1_3gpuE6ELNS1_3repE0EEENS1_30default_config_static_selectorELNS0_4arch9wavefront6targetE1EEEvT1_.uses_flat_scratch, 0
	.set _ZN7rocprim17ROCPRIM_400000_NS6detail17trampoline_kernelINS0_14default_configENS1_25partition_config_selectorILNS1_17partition_subalgoE5ElNS0_10empty_typeEbEEZZNS1_14partition_implILS5_5ELb0ES3_mN6hipcub16HIPCUB_304000_NS21CountingInputIteratorIllEEPS6_NSA_22TransformInputIteratorIb7NonZeroIiEPilEENS0_5tupleIJPlS6_EEENSJ_IJSD_SD_EEES6_SK_JS6_EEE10hipError_tPvRmT3_T4_T5_T6_T7_T9_mT8_P12ihipStream_tbDpT10_ENKUlT_T0_E_clISt17integral_constantIbLb0EES16_EEDaS11_S12_EUlS11_E_NS1_11comp_targetILNS1_3genE2ELNS1_11target_archE906ELNS1_3gpuE6ELNS1_3repE0EEENS1_30default_config_static_selectorELNS0_4arch9wavefront6targetE1EEEvT1_.has_dyn_sized_stack, 0
	.set _ZN7rocprim17ROCPRIM_400000_NS6detail17trampoline_kernelINS0_14default_configENS1_25partition_config_selectorILNS1_17partition_subalgoE5ElNS0_10empty_typeEbEEZZNS1_14partition_implILS5_5ELb0ES3_mN6hipcub16HIPCUB_304000_NS21CountingInputIteratorIllEEPS6_NSA_22TransformInputIteratorIb7NonZeroIiEPilEENS0_5tupleIJPlS6_EEENSJ_IJSD_SD_EEES6_SK_JS6_EEE10hipError_tPvRmT3_T4_T5_T6_T7_T9_mT8_P12ihipStream_tbDpT10_ENKUlT_T0_E_clISt17integral_constantIbLb0EES16_EEDaS11_S12_EUlS11_E_NS1_11comp_targetILNS1_3genE2ELNS1_11target_archE906ELNS1_3gpuE6ELNS1_3repE0EEENS1_30default_config_static_selectorELNS0_4arch9wavefront6targetE1EEEvT1_.has_recursion, 0
	.set _ZN7rocprim17ROCPRIM_400000_NS6detail17trampoline_kernelINS0_14default_configENS1_25partition_config_selectorILNS1_17partition_subalgoE5ElNS0_10empty_typeEbEEZZNS1_14partition_implILS5_5ELb0ES3_mN6hipcub16HIPCUB_304000_NS21CountingInputIteratorIllEEPS6_NSA_22TransformInputIteratorIb7NonZeroIiEPilEENS0_5tupleIJPlS6_EEENSJ_IJSD_SD_EEES6_SK_JS6_EEE10hipError_tPvRmT3_T4_T5_T6_T7_T9_mT8_P12ihipStream_tbDpT10_ENKUlT_T0_E_clISt17integral_constantIbLb0EES16_EEDaS11_S12_EUlS11_E_NS1_11comp_targetILNS1_3genE2ELNS1_11target_archE906ELNS1_3gpuE6ELNS1_3repE0EEENS1_30default_config_static_selectorELNS0_4arch9wavefront6targetE1EEEvT1_.has_indirect_call, 0
	.section	.AMDGPU.csdata,"",@progbits
; Kernel info:
; codeLenInByte = 5932
; TotalNumSgprs: 30
; NumVgprs: 59
; ScratchSize: 0
; MemoryBound: 0
; FloatMode: 240
; IeeeMode: 1
; LDSByteSize: 14352 bytes/workgroup (compile time only)
; SGPRBlocks: 12
; VGPRBlocks: 14
; NumSGPRsForWavesPerEU: 102
; NumVGPRsForWavesPerEU: 59
; Occupancy: 4
; WaveLimiterHint : 1
; COMPUTE_PGM_RSRC2:SCRATCH_EN: 0
; COMPUTE_PGM_RSRC2:USER_SGPR: 6
; COMPUTE_PGM_RSRC2:TRAP_HANDLER: 0
; COMPUTE_PGM_RSRC2:TGID_X_EN: 1
; COMPUTE_PGM_RSRC2:TGID_Y_EN: 0
; COMPUTE_PGM_RSRC2:TGID_Z_EN: 0
; COMPUTE_PGM_RSRC2:TIDIG_COMP_CNT: 0
	.section	.text._ZN7rocprim17ROCPRIM_400000_NS6detail17trampoline_kernelINS0_14default_configENS1_25partition_config_selectorILNS1_17partition_subalgoE5ElNS0_10empty_typeEbEEZZNS1_14partition_implILS5_5ELb0ES3_mN6hipcub16HIPCUB_304000_NS21CountingInputIteratorIllEEPS6_NSA_22TransformInputIteratorIb7NonZeroIiEPilEENS0_5tupleIJPlS6_EEENSJ_IJSD_SD_EEES6_SK_JS6_EEE10hipError_tPvRmT3_T4_T5_T6_T7_T9_mT8_P12ihipStream_tbDpT10_ENKUlT_T0_E_clISt17integral_constantIbLb0EES16_EEDaS11_S12_EUlS11_E_NS1_11comp_targetILNS1_3genE10ELNS1_11target_archE1200ELNS1_3gpuE4ELNS1_3repE0EEENS1_30default_config_static_selectorELNS0_4arch9wavefront6targetE1EEEvT1_,"axG",@progbits,_ZN7rocprim17ROCPRIM_400000_NS6detail17trampoline_kernelINS0_14default_configENS1_25partition_config_selectorILNS1_17partition_subalgoE5ElNS0_10empty_typeEbEEZZNS1_14partition_implILS5_5ELb0ES3_mN6hipcub16HIPCUB_304000_NS21CountingInputIteratorIllEEPS6_NSA_22TransformInputIteratorIb7NonZeroIiEPilEENS0_5tupleIJPlS6_EEENSJ_IJSD_SD_EEES6_SK_JS6_EEE10hipError_tPvRmT3_T4_T5_T6_T7_T9_mT8_P12ihipStream_tbDpT10_ENKUlT_T0_E_clISt17integral_constantIbLb0EES16_EEDaS11_S12_EUlS11_E_NS1_11comp_targetILNS1_3genE10ELNS1_11target_archE1200ELNS1_3gpuE4ELNS1_3repE0EEENS1_30default_config_static_selectorELNS0_4arch9wavefront6targetE1EEEvT1_,comdat
	.protected	_ZN7rocprim17ROCPRIM_400000_NS6detail17trampoline_kernelINS0_14default_configENS1_25partition_config_selectorILNS1_17partition_subalgoE5ElNS0_10empty_typeEbEEZZNS1_14partition_implILS5_5ELb0ES3_mN6hipcub16HIPCUB_304000_NS21CountingInputIteratorIllEEPS6_NSA_22TransformInputIteratorIb7NonZeroIiEPilEENS0_5tupleIJPlS6_EEENSJ_IJSD_SD_EEES6_SK_JS6_EEE10hipError_tPvRmT3_T4_T5_T6_T7_T9_mT8_P12ihipStream_tbDpT10_ENKUlT_T0_E_clISt17integral_constantIbLb0EES16_EEDaS11_S12_EUlS11_E_NS1_11comp_targetILNS1_3genE10ELNS1_11target_archE1200ELNS1_3gpuE4ELNS1_3repE0EEENS1_30default_config_static_selectorELNS0_4arch9wavefront6targetE1EEEvT1_ ; -- Begin function _ZN7rocprim17ROCPRIM_400000_NS6detail17trampoline_kernelINS0_14default_configENS1_25partition_config_selectorILNS1_17partition_subalgoE5ElNS0_10empty_typeEbEEZZNS1_14partition_implILS5_5ELb0ES3_mN6hipcub16HIPCUB_304000_NS21CountingInputIteratorIllEEPS6_NSA_22TransformInputIteratorIb7NonZeroIiEPilEENS0_5tupleIJPlS6_EEENSJ_IJSD_SD_EEES6_SK_JS6_EEE10hipError_tPvRmT3_T4_T5_T6_T7_T9_mT8_P12ihipStream_tbDpT10_ENKUlT_T0_E_clISt17integral_constantIbLb0EES16_EEDaS11_S12_EUlS11_E_NS1_11comp_targetILNS1_3genE10ELNS1_11target_archE1200ELNS1_3gpuE4ELNS1_3repE0EEENS1_30default_config_static_selectorELNS0_4arch9wavefront6targetE1EEEvT1_
	.globl	_ZN7rocprim17ROCPRIM_400000_NS6detail17trampoline_kernelINS0_14default_configENS1_25partition_config_selectorILNS1_17partition_subalgoE5ElNS0_10empty_typeEbEEZZNS1_14partition_implILS5_5ELb0ES3_mN6hipcub16HIPCUB_304000_NS21CountingInputIteratorIllEEPS6_NSA_22TransformInputIteratorIb7NonZeroIiEPilEENS0_5tupleIJPlS6_EEENSJ_IJSD_SD_EEES6_SK_JS6_EEE10hipError_tPvRmT3_T4_T5_T6_T7_T9_mT8_P12ihipStream_tbDpT10_ENKUlT_T0_E_clISt17integral_constantIbLb0EES16_EEDaS11_S12_EUlS11_E_NS1_11comp_targetILNS1_3genE10ELNS1_11target_archE1200ELNS1_3gpuE4ELNS1_3repE0EEENS1_30default_config_static_selectorELNS0_4arch9wavefront6targetE1EEEvT1_
	.p2align	8
	.type	_ZN7rocprim17ROCPRIM_400000_NS6detail17trampoline_kernelINS0_14default_configENS1_25partition_config_selectorILNS1_17partition_subalgoE5ElNS0_10empty_typeEbEEZZNS1_14partition_implILS5_5ELb0ES3_mN6hipcub16HIPCUB_304000_NS21CountingInputIteratorIllEEPS6_NSA_22TransformInputIteratorIb7NonZeroIiEPilEENS0_5tupleIJPlS6_EEENSJ_IJSD_SD_EEES6_SK_JS6_EEE10hipError_tPvRmT3_T4_T5_T6_T7_T9_mT8_P12ihipStream_tbDpT10_ENKUlT_T0_E_clISt17integral_constantIbLb0EES16_EEDaS11_S12_EUlS11_E_NS1_11comp_targetILNS1_3genE10ELNS1_11target_archE1200ELNS1_3gpuE4ELNS1_3repE0EEENS1_30default_config_static_selectorELNS0_4arch9wavefront6targetE1EEEvT1_,@function
_ZN7rocprim17ROCPRIM_400000_NS6detail17trampoline_kernelINS0_14default_configENS1_25partition_config_selectorILNS1_17partition_subalgoE5ElNS0_10empty_typeEbEEZZNS1_14partition_implILS5_5ELb0ES3_mN6hipcub16HIPCUB_304000_NS21CountingInputIteratorIllEEPS6_NSA_22TransformInputIteratorIb7NonZeroIiEPilEENS0_5tupleIJPlS6_EEENSJ_IJSD_SD_EEES6_SK_JS6_EEE10hipError_tPvRmT3_T4_T5_T6_T7_T9_mT8_P12ihipStream_tbDpT10_ENKUlT_T0_E_clISt17integral_constantIbLb0EES16_EEDaS11_S12_EUlS11_E_NS1_11comp_targetILNS1_3genE10ELNS1_11target_archE1200ELNS1_3gpuE4ELNS1_3repE0EEENS1_30default_config_static_selectorELNS0_4arch9wavefront6targetE1EEEvT1_: ; @_ZN7rocprim17ROCPRIM_400000_NS6detail17trampoline_kernelINS0_14default_configENS1_25partition_config_selectorILNS1_17partition_subalgoE5ElNS0_10empty_typeEbEEZZNS1_14partition_implILS5_5ELb0ES3_mN6hipcub16HIPCUB_304000_NS21CountingInputIteratorIllEEPS6_NSA_22TransformInputIteratorIb7NonZeroIiEPilEENS0_5tupleIJPlS6_EEENSJ_IJSD_SD_EEES6_SK_JS6_EEE10hipError_tPvRmT3_T4_T5_T6_T7_T9_mT8_P12ihipStream_tbDpT10_ENKUlT_T0_E_clISt17integral_constantIbLb0EES16_EEDaS11_S12_EUlS11_E_NS1_11comp_targetILNS1_3genE10ELNS1_11target_archE1200ELNS1_3gpuE4ELNS1_3repE0EEENS1_30default_config_static_selectorELNS0_4arch9wavefront6targetE1EEEvT1_
; %bb.0:
	.section	.rodata,"a",@progbits
	.p2align	6, 0x0
	.amdhsa_kernel _ZN7rocprim17ROCPRIM_400000_NS6detail17trampoline_kernelINS0_14default_configENS1_25partition_config_selectorILNS1_17partition_subalgoE5ElNS0_10empty_typeEbEEZZNS1_14partition_implILS5_5ELb0ES3_mN6hipcub16HIPCUB_304000_NS21CountingInputIteratorIllEEPS6_NSA_22TransformInputIteratorIb7NonZeroIiEPilEENS0_5tupleIJPlS6_EEENSJ_IJSD_SD_EEES6_SK_JS6_EEE10hipError_tPvRmT3_T4_T5_T6_T7_T9_mT8_P12ihipStream_tbDpT10_ENKUlT_T0_E_clISt17integral_constantIbLb0EES16_EEDaS11_S12_EUlS11_E_NS1_11comp_targetILNS1_3genE10ELNS1_11target_archE1200ELNS1_3gpuE4ELNS1_3repE0EEENS1_30default_config_static_selectorELNS0_4arch9wavefront6targetE1EEEvT1_
		.amdhsa_group_segment_fixed_size 0
		.amdhsa_private_segment_fixed_size 0
		.amdhsa_kernarg_size 120
		.amdhsa_user_sgpr_count 6
		.amdhsa_user_sgpr_private_segment_buffer 1
		.amdhsa_user_sgpr_dispatch_ptr 0
		.amdhsa_user_sgpr_queue_ptr 0
		.amdhsa_user_sgpr_kernarg_segment_ptr 1
		.amdhsa_user_sgpr_dispatch_id 0
		.amdhsa_user_sgpr_flat_scratch_init 0
		.amdhsa_user_sgpr_private_segment_size 0
		.amdhsa_uses_dynamic_stack 0
		.amdhsa_system_sgpr_private_segment_wavefront_offset 0
		.amdhsa_system_sgpr_workgroup_id_x 1
		.amdhsa_system_sgpr_workgroup_id_y 0
		.amdhsa_system_sgpr_workgroup_id_z 0
		.amdhsa_system_sgpr_workgroup_info 0
		.amdhsa_system_vgpr_workitem_id 0
		.amdhsa_next_free_vgpr 1
		.amdhsa_next_free_sgpr 0
		.amdhsa_reserve_vcc 0
		.amdhsa_reserve_flat_scratch 0
		.amdhsa_float_round_mode_32 0
		.amdhsa_float_round_mode_16_64 0
		.amdhsa_float_denorm_mode_32 3
		.amdhsa_float_denorm_mode_16_64 3
		.amdhsa_dx10_clamp 1
		.amdhsa_ieee_mode 1
		.amdhsa_fp16_overflow 0
		.amdhsa_exception_fp_ieee_invalid_op 0
		.amdhsa_exception_fp_denorm_src 0
		.amdhsa_exception_fp_ieee_div_zero 0
		.amdhsa_exception_fp_ieee_overflow 0
		.amdhsa_exception_fp_ieee_underflow 0
		.amdhsa_exception_fp_ieee_inexact 0
		.amdhsa_exception_int_div_zero 0
	.end_amdhsa_kernel
	.section	.text._ZN7rocprim17ROCPRIM_400000_NS6detail17trampoline_kernelINS0_14default_configENS1_25partition_config_selectorILNS1_17partition_subalgoE5ElNS0_10empty_typeEbEEZZNS1_14partition_implILS5_5ELb0ES3_mN6hipcub16HIPCUB_304000_NS21CountingInputIteratorIllEEPS6_NSA_22TransformInputIteratorIb7NonZeroIiEPilEENS0_5tupleIJPlS6_EEENSJ_IJSD_SD_EEES6_SK_JS6_EEE10hipError_tPvRmT3_T4_T5_T6_T7_T9_mT8_P12ihipStream_tbDpT10_ENKUlT_T0_E_clISt17integral_constantIbLb0EES16_EEDaS11_S12_EUlS11_E_NS1_11comp_targetILNS1_3genE10ELNS1_11target_archE1200ELNS1_3gpuE4ELNS1_3repE0EEENS1_30default_config_static_selectorELNS0_4arch9wavefront6targetE1EEEvT1_,"axG",@progbits,_ZN7rocprim17ROCPRIM_400000_NS6detail17trampoline_kernelINS0_14default_configENS1_25partition_config_selectorILNS1_17partition_subalgoE5ElNS0_10empty_typeEbEEZZNS1_14partition_implILS5_5ELb0ES3_mN6hipcub16HIPCUB_304000_NS21CountingInputIteratorIllEEPS6_NSA_22TransformInputIteratorIb7NonZeroIiEPilEENS0_5tupleIJPlS6_EEENSJ_IJSD_SD_EEES6_SK_JS6_EEE10hipError_tPvRmT3_T4_T5_T6_T7_T9_mT8_P12ihipStream_tbDpT10_ENKUlT_T0_E_clISt17integral_constantIbLb0EES16_EEDaS11_S12_EUlS11_E_NS1_11comp_targetILNS1_3genE10ELNS1_11target_archE1200ELNS1_3gpuE4ELNS1_3repE0EEENS1_30default_config_static_selectorELNS0_4arch9wavefront6targetE1EEEvT1_,comdat
.Lfunc_end190:
	.size	_ZN7rocprim17ROCPRIM_400000_NS6detail17trampoline_kernelINS0_14default_configENS1_25partition_config_selectorILNS1_17partition_subalgoE5ElNS0_10empty_typeEbEEZZNS1_14partition_implILS5_5ELb0ES3_mN6hipcub16HIPCUB_304000_NS21CountingInputIteratorIllEEPS6_NSA_22TransformInputIteratorIb7NonZeroIiEPilEENS0_5tupleIJPlS6_EEENSJ_IJSD_SD_EEES6_SK_JS6_EEE10hipError_tPvRmT3_T4_T5_T6_T7_T9_mT8_P12ihipStream_tbDpT10_ENKUlT_T0_E_clISt17integral_constantIbLb0EES16_EEDaS11_S12_EUlS11_E_NS1_11comp_targetILNS1_3genE10ELNS1_11target_archE1200ELNS1_3gpuE4ELNS1_3repE0EEENS1_30default_config_static_selectorELNS0_4arch9wavefront6targetE1EEEvT1_, .Lfunc_end190-_ZN7rocprim17ROCPRIM_400000_NS6detail17trampoline_kernelINS0_14default_configENS1_25partition_config_selectorILNS1_17partition_subalgoE5ElNS0_10empty_typeEbEEZZNS1_14partition_implILS5_5ELb0ES3_mN6hipcub16HIPCUB_304000_NS21CountingInputIteratorIllEEPS6_NSA_22TransformInputIteratorIb7NonZeroIiEPilEENS0_5tupleIJPlS6_EEENSJ_IJSD_SD_EEES6_SK_JS6_EEE10hipError_tPvRmT3_T4_T5_T6_T7_T9_mT8_P12ihipStream_tbDpT10_ENKUlT_T0_E_clISt17integral_constantIbLb0EES16_EEDaS11_S12_EUlS11_E_NS1_11comp_targetILNS1_3genE10ELNS1_11target_archE1200ELNS1_3gpuE4ELNS1_3repE0EEENS1_30default_config_static_selectorELNS0_4arch9wavefront6targetE1EEEvT1_
                                        ; -- End function
	.set _ZN7rocprim17ROCPRIM_400000_NS6detail17trampoline_kernelINS0_14default_configENS1_25partition_config_selectorILNS1_17partition_subalgoE5ElNS0_10empty_typeEbEEZZNS1_14partition_implILS5_5ELb0ES3_mN6hipcub16HIPCUB_304000_NS21CountingInputIteratorIllEEPS6_NSA_22TransformInputIteratorIb7NonZeroIiEPilEENS0_5tupleIJPlS6_EEENSJ_IJSD_SD_EEES6_SK_JS6_EEE10hipError_tPvRmT3_T4_T5_T6_T7_T9_mT8_P12ihipStream_tbDpT10_ENKUlT_T0_E_clISt17integral_constantIbLb0EES16_EEDaS11_S12_EUlS11_E_NS1_11comp_targetILNS1_3genE10ELNS1_11target_archE1200ELNS1_3gpuE4ELNS1_3repE0EEENS1_30default_config_static_selectorELNS0_4arch9wavefront6targetE1EEEvT1_.num_vgpr, 0
	.set _ZN7rocprim17ROCPRIM_400000_NS6detail17trampoline_kernelINS0_14default_configENS1_25partition_config_selectorILNS1_17partition_subalgoE5ElNS0_10empty_typeEbEEZZNS1_14partition_implILS5_5ELb0ES3_mN6hipcub16HIPCUB_304000_NS21CountingInputIteratorIllEEPS6_NSA_22TransformInputIteratorIb7NonZeroIiEPilEENS0_5tupleIJPlS6_EEENSJ_IJSD_SD_EEES6_SK_JS6_EEE10hipError_tPvRmT3_T4_T5_T6_T7_T9_mT8_P12ihipStream_tbDpT10_ENKUlT_T0_E_clISt17integral_constantIbLb0EES16_EEDaS11_S12_EUlS11_E_NS1_11comp_targetILNS1_3genE10ELNS1_11target_archE1200ELNS1_3gpuE4ELNS1_3repE0EEENS1_30default_config_static_selectorELNS0_4arch9wavefront6targetE1EEEvT1_.num_agpr, 0
	.set _ZN7rocprim17ROCPRIM_400000_NS6detail17trampoline_kernelINS0_14default_configENS1_25partition_config_selectorILNS1_17partition_subalgoE5ElNS0_10empty_typeEbEEZZNS1_14partition_implILS5_5ELb0ES3_mN6hipcub16HIPCUB_304000_NS21CountingInputIteratorIllEEPS6_NSA_22TransformInputIteratorIb7NonZeroIiEPilEENS0_5tupleIJPlS6_EEENSJ_IJSD_SD_EEES6_SK_JS6_EEE10hipError_tPvRmT3_T4_T5_T6_T7_T9_mT8_P12ihipStream_tbDpT10_ENKUlT_T0_E_clISt17integral_constantIbLb0EES16_EEDaS11_S12_EUlS11_E_NS1_11comp_targetILNS1_3genE10ELNS1_11target_archE1200ELNS1_3gpuE4ELNS1_3repE0EEENS1_30default_config_static_selectorELNS0_4arch9wavefront6targetE1EEEvT1_.numbered_sgpr, 0
	.set _ZN7rocprim17ROCPRIM_400000_NS6detail17trampoline_kernelINS0_14default_configENS1_25partition_config_selectorILNS1_17partition_subalgoE5ElNS0_10empty_typeEbEEZZNS1_14partition_implILS5_5ELb0ES3_mN6hipcub16HIPCUB_304000_NS21CountingInputIteratorIllEEPS6_NSA_22TransformInputIteratorIb7NonZeroIiEPilEENS0_5tupleIJPlS6_EEENSJ_IJSD_SD_EEES6_SK_JS6_EEE10hipError_tPvRmT3_T4_T5_T6_T7_T9_mT8_P12ihipStream_tbDpT10_ENKUlT_T0_E_clISt17integral_constantIbLb0EES16_EEDaS11_S12_EUlS11_E_NS1_11comp_targetILNS1_3genE10ELNS1_11target_archE1200ELNS1_3gpuE4ELNS1_3repE0EEENS1_30default_config_static_selectorELNS0_4arch9wavefront6targetE1EEEvT1_.num_named_barrier, 0
	.set _ZN7rocprim17ROCPRIM_400000_NS6detail17trampoline_kernelINS0_14default_configENS1_25partition_config_selectorILNS1_17partition_subalgoE5ElNS0_10empty_typeEbEEZZNS1_14partition_implILS5_5ELb0ES3_mN6hipcub16HIPCUB_304000_NS21CountingInputIteratorIllEEPS6_NSA_22TransformInputIteratorIb7NonZeroIiEPilEENS0_5tupleIJPlS6_EEENSJ_IJSD_SD_EEES6_SK_JS6_EEE10hipError_tPvRmT3_T4_T5_T6_T7_T9_mT8_P12ihipStream_tbDpT10_ENKUlT_T0_E_clISt17integral_constantIbLb0EES16_EEDaS11_S12_EUlS11_E_NS1_11comp_targetILNS1_3genE10ELNS1_11target_archE1200ELNS1_3gpuE4ELNS1_3repE0EEENS1_30default_config_static_selectorELNS0_4arch9wavefront6targetE1EEEvT1_.private_seg_size, 0
	.set _ZN7rocprim17ROCPRIM_400000_NS6detail17trampoline_kernelINS0_14default_configENS1_25partition_config_selectorILNS1_17partition_subalgoE5ElNS0_10empty_typeEbEEZZNS1_14partition_implILS5_5ELb0ES3_mN6hipcub16HIPCUB_304000_NS21CountingInputIteratorIllEEPS6_NSA_22TransformInputIteratorIb7NonZeroIiEPilEENS0_5tupleIJPlS6_EEENSJ_IJSD_SD_EEES6_SK_JS6_EEE10hipError_tPvRmT3_T4_T5_T6_T7_T9_mT8_P12ihipStream_tbDpT10_ENKUlT_T0_E_clISt17integral_constantIbLb0EES16_EEDaS11_S12_EUlS11_E_NS1_11comp_targetILNS1_3genE10ELNS1_11target_archE1200ELNS1_3gpuE4ELNS1_3repE0EEENS1_30default_config_static_selectorELNS0_4arch9wavefront6targetE1EEEvT1_.uses_vcc, 0
	.set _ZN7rocprim17ROCPRIM_400000_NS6detail17trampoline_kernelINS0_14default_configENS1_25partition_config_selectorILNS1_17partition_subalgoE5ElNS0_10empty_typeEbEEZZNS1_14partition_implILS5_5ELb0ES3_mN6hipcub16HIPCUB_304000_NS21CountingInputIteratorIllEEPS6_NSA_22TransformInputIteratorIb7NonZeroIiEPilEENS0_5tupleIJPlS6_EEENSJ_IJSD_SD_EEES6_SK_JS6_EEE10hipError_tPvRmT3_T4_T5_T6_T7_T9_mT8_P12ihipStream_tbDpT10_ENKUlT_T0_E_clISt17integral_constantIbLb0EES16_EEDaS11_S12_EUlS11_E_NS1_11comp_targetILNS1_3genE10ELNS1_11target_archE1200ELNS1_3gpuE4ELNS1_3repE0EEENS1_30default_config_static_selectorELNS0_4arch9wavefront6targetE1EEEvT1_.uses_flat_scratch, 0
	.set _ZN7rocprim17ROCPRIM_400000_NS6detail17trampoline_kernelINS0_14default_configENS1_25partition_config_selectorILNS1_17partition_subalgoE5ElNS0_10empty_typeEbEEZZNS1_14partition_implILS5_5ELb0ES3_mN6hipcub16HIPCUB_304000_NS21CountingInputIteratorIllEEPS6_NSA_22TransformInputIteratorIb7NonZeroIiEPilEENS0_5tupleIJPlS6_EEENSJ_IJSD_SD_EEES6_SK_JS6_EEE10hipError_tPvRmT3_T4_T5_T6_T7_T9_mT8_P12ihipStream_tbDpT10_ENKUlT_T0_E_clISt17integral_constantIbLb0EES16_EEDaS11_S12_EUlS11_E_NS1_11comp_targetILNS1_3genE10ELNS1_11target_archE1200ELNS1_3gpuE4ELNS1_3repE0EEENS1_30default_config_static_selectorELNS0_4arch9wavefront6targetE1EEEvT1_.has_dyn_sized_stack, 0
	.set _ZN7rocprim17ROCPRIM_400000_NS6detail17trampoline_kernelINS0_14default_configENS1_25partition_config_selectorILNS1_17partition_subalgoE5ElNS0_10empty_typeEbEEZZNS1_14partition_implILS5_5ELb0ES3_mN6hipcub16HIPCUB_304000_NS21CountingInputIteratorIllEEPS6_NSA_22TransformInputIteratorIb7NonZeroIiEPilEENS0_5tupleIJPlS6_EEENSJ_IJSD_SD_EEES6_SK_JS6_EEE10hipError_tPvRmT3_T4_T5_T6_T7_T9_mT8_P12ihipStream_tbDpT10_ENKUlT_T0_E_clISt17integral_constantIbLb0EES16_EEDaS11_S12_EUlS11_E_NS1_11comp_targetILNS1_3genE10ELNS1_11target_archE1200ELNS1_3gpuE4ELNS1_3repE0EEENS1_30default_config_static_selectorELNS0_4arch9wavefront6targetE1EEEvT1_.has_recursion, 0
	.set _ZN7rocprim17ROCPRIM_400000_NS6detail17trampoline_kernelINS0_14default_configENS1_25partition_config_selectorILNS1_17partition_subalgoE5ElNS0_10empty_typeEbEEZZNS1_14partition_implILS5_5ELb0ES3_mN6hipcub16HIPCUB_304000_NS21CountingInputIteratorIllEEPS6_NSA_22TransformInputIteratorIb7NonZeroIiEPilEENS0_5tupleIJPlS6_EEENSJ_IJSD_SD_EEES6_SK_JS6_EEE10hipError_tPvRmT3_T4_T5_T6_T7_T9_mT8_P12ihipStream_tbDpT10_ENKUlT_T0_E_clISt17integral_constantIbLb0EES16_EEDaS11_S12_EUlS11_E_NS1_11comp_targetILNS1_3genE10ELNS1_11target_archE1200ELNS1_3gpuE4ELNS1_3repE0EEENS1_30default_config_static_selectorELNS0_4arch9wavefront6targetE1EEEvT1_.has_indirect_call, 0
	.section	.AMDGPU.csdata,"",@progbits
; Kernel info:
; codeLenInByte = 0
; TotalNumSgprs: 4
; NumVgprs: 0
; ScratchSize: 0
; MemoryBound: 0
; FloatMode: 240
; IeeeMode: 1
; LDSByteSize: 0 bytes/workgroup (compile time only)
; SGPRBlocks: 0
; VGPRBlocks: 0
; NumSGPRsForWavesPerEU: 4
; NumVGPRsForWavesPerEU: 1
; Occupancy: 10
; WaveLimiterHint : 0
; COMPUTE_PGM_RSRC2:SCRATCH_EN: 0
; COMPUTE_PGM_RSRC2:USER_SGPR: 6
; COMPUTE_PGM_RSRC2:TRAP_HANDLER: 0
; COMPUTE_PGM_RSRC2:TGID_X_EN: 1
; COMPUTE_PGM_RSRC2:TGID_Y_EN: 0
; COMPUTE_PGM_RSRC2:TGID_Z_EN: 0
; COMPUTE_PGM_RSRC2:TIDIG_COMP_CNT: 0
	.section	.text._ZN7rocprim17ROCPRIM_400000_NS6detail17trampoline_kernelINS0_14default_configENS1_25partition_config_selectorILNS1_17partition_subalgoE5ElNS0_10empty_typeEbEEZZNS1_14partition_implILS5_5ELb0ES3_mN6hipcub16HIPCUB_304000_NS21CountingInputIteratorIllEEPS6_NSA_22TransformInputIteratorIb7NonZeroIiEPilEENS0_5tupleIJPlS6_EEENSJ_IJSD_SD_EEES6_SK_JS6_EEE10hipError_tPvRmT3_T4_T5_T6_T7_T9_mT8_P12ihipStream_tbDpT10_ENKUlT_T0_E_clISt17integral_constantIbLb0EES16_EEDaS11_S12_EUlS11_E_NS1_11comp_targetILNS1_3genE9ELNS1_11target_archE1100ELNS1_3gpuE3ELNS1_3repE0EEENS1_30default_config_static_selectorELNS0_4arch9wavefront6targetE1EEEvT1_,"axG",@progbits,_ZN7rocprim17ROCPRIM_400000_NS6detail17trampoline_kernelINS0_14default_configENS1_25partition_config_selectorILNS1_17partition_subalgoE5ElNS0_10empty_typeEbEEZZNS1_14partition_implILS5_5ELb0ES3_mN6hipcub16HIPCUB_304000_NS21CountingInputIteratorIllEEPS6_NSA_22TransformInputIteratorIb7NonZeroIiEPilEENS0_5tupleIJPlS6_EEENSJ_IJSD_SD_EEES6_SK_JS6_EEE10hipError_tPvRmT3_T4_T5_T6_T7_T9_mT8_P12ihipStream_tbDpT10_ENKUlT_T0_E_clISt17integral_constantIbLb0EES16_EEDaS11_S12_EUlS11_E_NS1_11comp_targetILNS1_3genE9ELNS1_11target_archE1100ELNS1_3gpuE3ELNS1_3repE0EEENS1_30default_config_static_selectorELNS0_4arch9wavefront6targetE1EEEvT1_,comdat
	.protected	_ZN7rocprim17ROCPRIM_400000_NS6detail17trampoline_kernelINS0_14default_configENS1_25partition_config_selectorILNS1_17partition_subalgoE5ElNS0_10empty_typeEbEEZZNS1_14partition_implILS5_5ELb0ES3_mN6hipcub16HIPCUB_304000_NS21CountingInputIteratorIllEEPS6_NSA_22TransformInputIteratorIb7NonZeroIiEPilEENS0_5tupleIJPlS6_EEENSJ_IJSD_SD_EEES6_SK_JS6_EEE10hipError_tPvRmT3_T4_T5_T6_T7_T9_mT8_P12ihipStream_tbDpT10_ENKUlT_T0_E_clISt17integral_constantIbLb0EES16_EEDaS11_S12_EUlS11_E_NS1_11comp_targetILNS1_3genE9ELNS1_11target_archE1100ELNS1_3gpuE3ELNS1_3repE0EEENS1_30default_config_static_selectorELNS0_4arch9wavefront6targetE1EEEvT1_ ; -- Begin function _ZN7rocprim17ROCPRIM_400000_NS6detail17trampoline_kernelINS0_14default_configENS1_25partition_config_selectorILNS1_17partition_subalgoE5ElNS0_10empty_typeEbEEZZNS1_14partition_implILS5_5ELb0ES3_mN6hipcub16HIPCUB_304000_NS21CountingInputIteratorIllEEPS6_NSA_22TransformInputIteratorIb7NonZeroIiEPilEENS0_5tupleIJPlS6_EEENSJ_IJSD_SD_EEES6_SK_JS6_EEE10hipError_tPvRmT3_T4_T5_T6_T7_T9_mT8_P12ihipStream_tbDpT10_ENKUlT_T0_E_clISt17integral_constantIbLb0EES16_EEDaS11_S12_EUlS11_E_NS1_11comp_targetILNS1_3genE9ELNS1_11target_archE1100ELNS1_3gpuE3ELNS1_3repE0EEENS1_30default_config_static_selectorELNS0_4arch9wavefront6targetE1EEEvT1_
	.globl	_ZN7rocprim17ROCPRIM_400000_NS6detail17trampoline_kernelINS0_14default_configENS1_25partition_config_selectorILNS1_17partition_subalgoE5ElNS0_10empty_typeEbEEZZNS1_14partition_implILS5_5ELb0ES3_mN6hipcub16HIPCUB_304000_NS21CountingInputIteratorIllEEPS6_NSA_22TransformInputIteratorIb7NonZeroIiEPilEENS0_5tupleIJPlS6_EEENSJ_IJSD_SD_EEES6_SK_JS6_EEE10hipError_tPvRmT3_T4_T5_T6_T7_T9_mT8_P12ihipStream_tbDpT10_ENKUlT_T0_E_clISt17integral_constantIbLb0EES16_EEDaS11_S12_EUlS11_E_NS1_11comp_targetILNS1_3genE9ELNS1_11target_archE1100ELNS1_3gpuE3ELNS1_3repE0EEENS1_30default_config_static_selectorELNS0_4arch9wavefront6targetE1EEEvT1_
	.p2align	8
	.type	_ZN7rocprim17ROCPRIM_400000_NS6detail17trampoline_kernelINS0_14default_configENS1_25partition_config_selectorILNS1_17partition_subalgoE5ElNS0_10empty_typeEbEEZZNS1_14partition_implILS5_5ELb0ES3_mN6hipcub16HIPCUB_304000_NS21CountingInputIteratorIllEEPS6_NSA_22TransformInputIteratorIb7NonZeroIiEPilEENS0_5tupleIJPlS6_EEENSJ_IJSD_SD_EEES6_SK_JS6_EEE10hipError_tPvRmT3_T4_T5_T6_T7_T9_mT8_P12ihipStream_tbDpT10_ENKUlT_T0_E_clISt17integral_constantIbLb0EES16_EEDaS11_S12_EUlS11_E_NS1_11comp_targetILNS1_3genE9ELNS1_11target_archE1100ELNS1_3gpuE3ELNS1_3repE0EEENS1_30default_config_static_selectorELNS0_4arch9wavefront6targetE1EEEvT1_,@function
_ZN7rocprim17ROCPRIM_400000_NS6detail17trampoline_kernelINS0_14default_configENS1_25partition_config_selectorILNS1_17partition_subalgoE5ElNS0_10empty_typeEbEEZZNS1_14partition_implILS5_5ELb0ES3_mN6hipcub16HIPCUB_304000_NS21CountingInputIteratorIllEEPS6_NSA_22TransformInputIteratorIb7NonZeroIiEPilEENS0_5tupleIJPlS6_EEENSJ_IJSD_SD_EEES6_SK_JS6_EEE10hipError_tPvRmT3_T4_T5_T6_T7_T9_mT8_P12ihipStream_tbDpT10_ENKUlT_T0_E_clISt17integral_constantIbLb0EES16_EEDaS11_S12_EUlS11_E_NS1_11comp_targetILNS1_3genE9ELNS1_11target_archE1100ELNS1_3gpuE3ELNS1_3repE0EEENS1_30default_config_static_selectorELNS0_4arch9wavefront6targetE1EEEvT1_: ; @_ZN7rocprim17ROCPRIM_400000_NS6detail17trampoline_kernelINS0_14default_configENS1_25partition_config_selectorILNS1_17partition_subalgoE5ElNS0_10empty_typeEbEEZZNS1_14partition_implILS5_5ELb0ES3_mN6hipcub16HIPCUB_304000_NS21CountingInputIteratorIllEEPS6_NSA_22TransformInputIteratorIb7NonZeroIiEPilEENS0_5tupleIJPlS6_EEENSJ_IJSD_SD_EEES6_SK_JS6_EEE10hipError_tPvRmT3_T4_T5_T6_T7_T9_mT8_P12ihipStream_tbDpT10_ENKUlT_T0_E_clISt17integral_constantIbLb0EES16_EEDaS11_S12_EUlS11_E_NS1_11comp_targetILNS1_3genE9ELNS1_11target_archE1100ELNS1_3gpuE3ELNS1_3repE0EEENS1_30default_config_static_selectorELNS0_4arch9wavefront6targetE1EEEvT1_
; %bb.0:
	.section	.rodata,"a",@progbits
	.p2align	6, 0x0
	.amdhsa_kernel _ZN7rocprim17ROCPRIM_400000_NS6detail17trampoline_kernelINS0_14default_configENS1_25partition_config_selectorILNS1_17partition_subalgoE5ElNS0_10empty_typeEbEEZZNS1_14partition_implILS5_5ELb0ES3_mN6hipcub16HIPCUB_304000_NS21CountingInputIteratorIllEEPS6_NSA_22TransformInputIteratorIb7NonZeroIiEPilEENS0_5tupleIJPlS6_EEENSJ_IJSD_SD_EEES6_SK_JS6_EEE10hipError_tPvRmT3_T4_T5_T6_T7_T9_mT8_P12ihipStream_tbDpT10_ENKUlT_T0_E_clISt17integral_constantIbLb0EES16_EEDaS11_S12_EUlS11_E_NS1_11comp_targetILNS1_3genE9ELNS1_11target_archE1100ELNS1_3gpuE3ELNS1_3repE0EEENS1_30default_config_static_selectorELNS0_4arch9wavefront6targetE1EEEvT1_
		.amdhsa_group_segment_fixed_size 0
		.amdhsa_private_segment_fixed_size 0
		.amdhsa_kernarg_size 120
		.amdhsa_user_sgpr_count 6
		.amdhsa_user_sgpr_private_segment_buffer 1
		.amdhsa_user_sgpr_dispatch_ptr 0
		.amdhsa_user_sgpr_queue_ptr 0
		.amdhsa_user_sgpr_kernarg_segment_ptr 1
		.amdhsa_user_sgpr_dispatch_id 0
		.amdhsa_user_sgpr_flat_scratch_init 0
		.amdhsa_user_sgpr_private_segment_size 0
		.amdhsa_uses_dynamic_stack 0
		.amdhsa_system_sgpr_private_segment_wavefront_offset 0
		.amdhsa_system_sgpr_workgroup_id_x 1
		.amdhsa_system_sgpr_workgroup_id_y 0
		.amdhsa_system_sgpr_workgroup_id_z 0
		.amdhsa_system_sgpr_workgroup_info 0
		.amdhsa_system_vgpr_workitem_id 0
		.amdhsa_next_free_vgpr 1
		.amdhsa_next_free_sgpr 0
		.amdhsa_reserve_vcc 0
		.amdhsa_reserve_flat_scratch 0
		.amdhsa_float_round_mode_32 0
		.amdhsa_float_round_mode_16_64 0
		.amdhsa_float_denorm_mode_32 3
		.amdhsa_float_denorm_mode_16_64 3
		.amdhsa_dx10_clamp 1
		.amdhsa_ieee_mode 1
		.amdhsa_fp16_overflow 0
		.amdhsa_exception_fp_ieee_invalid_op 0
		.amdhsa_exception_fp_denorm_src 0
		.amdhsa_exception_fp_ieee_div_zero 0
		.amdhsa_exception_fp_ieee_overflow 0
		.amdhsa_exception_fp_ieee_underflow 0
		.amdhsa_exception_fp_ieee_inexact 0
		.amdhsa_exception_int_div_zero 0
	.end_amdhsa_kernel
	.section	.text._ZN7rocprim17ROCPRIM_400000_NS6detail17trampoline_kernelINS0_14default_configENS1_25partition_config_selectorILNS1_17partition_subalgoE5ElNS0_10empty_typeEbEEZZNS1_14partition_implILS5_5ELb0ES3_mN6hipcub16HIPCUB_304000_NS21CountingInputIteratorIllEEPS6_NSA_22TransformInputIteratorIb7NonZeroIiEPilEENS0_5tupleIJPlS6_EEENSJ_IJSD_SD_EEES6_SK_JS6_EEE10hipError_tPvRmT3_T4_T5_T6_T7_T9_mT8_P12ihipStream_tbDpT10_ENKUlT_T0_E_clISt17integral_constantIbLb0EES16_EEDaS11_S12_EUlS11_E_NS1_11comp_targetILNS1_3genE9ELNS1_11target_archE1100ELNS1_3gpuE3ELNS1_3repE0EEENS1_30default_config_static_selectorELNS0_4arch9wavefront6targetE1EEEvT1_,"axG",@progbits,_ZN7rocprim17ROCPRIM_400000_NS6detail17trampoline_kernelINS0_14default_configENS1_25partition_config_selectorILNS1_17partition_subalgoE5ElNS0_10empty_typeEbEEZZNS1_14partition_implILS5_5ELb0ES3_mN6hipcub16HIPCUB_304000_NS21CountingInputIteratorIllEEPS6_NSA_22TransformInputIteratorIb7NonZeroIiEPilEENS0_5tupleIJPlS6_EEENSJ_IJSD_SD_EEES6_SK_JS6_EEE10hipError_tPvRmT3_T4_T5_T6_T7_T9_mT8_P12ihipStream_tbDpT10_ENKUlT_T0_E_clISt17integral_constantIbLb0EES16_EEDaS11_S12_EUlS11_E_NS1_11comp_targetILNS1_3genE9ELNS1_11target_archE1100ELNS1_3gpuE3ELNS1_3repE0EEENS1_30default_config_static_selectorELNS0_4arch9wavefront6targetE1EEEvT1_,comdat
.Lfunc_end191:
	.size	_ZN7rocprim17ROCPRIM_400000_NS6detail17trampoline_kernelINS0_14default_configENS1_25partition_config_selectorILNS1_17partition_subalgoE5ElNS0_10empty_typeEbEEZZNS1_14partition_implILS5_5ELb0ES3_mN6hipcub16HIPCUB_304000_NS21CountingInputIteratorIllEEPS6_NSA_22TransformInputIteratorIb7NonZeroIiEPilEENS0_5tupleIJPlS6_EEENSJ_IJSD_SD_EEES6_SK_JS6_EEE10hipError_tPvRmT3_T4_T5_T6_T7_T9_mT8_P12ihipStream_tbDpT10_ENKUlT_T0_E_clISt17integral_constantIbLb0EES16_EEDaS11_S12_EUlS11_E_NS1_11comp_targetILNS1_3genE9ELNS1_11target_archE1100ELNS1_3gpuE3ELNS1_3repE0EEENS1_30default_config_static_selectorELNS0_4arch9wavefront6targetE1EEEvT1_, .Lfunc_end191-_ZN7rocprim17ROCPRIM_400000_NS6detail17trampoline_kernelINS0_14default_configENS1_25partition_config_selectorILNS1_17partition_subalgoE5ElNS0_10empty_typeEbEEZZNS1_14partition_implILS5_5ELb0ES3_mN6hipcub16HIPCUB_304000_NS21CountingInputIteratorIllEEPS6_NSA_22TransformInputIteratorIb7NonZeroIiEPilEENS0_5tupleIJPlS6_EEENSJ_IJSD_SD_EEES6_SK_JS6_EEE10hipError_tPvRmT3_T4_T5_T6_T7_T9_mT8_P12ihipStream_tbDpT10_ENKUlT_T0_E_clISt17integral_constantIbLb0EES16_EEDaS11_S12_EUlS11_E_NS1_11comp_targetILNS1_3genE9ELNS1_11target_archE1100ELNS1_3gpuE3ELNS1_3repE0EEENS1_30default_config_static_selectorELNS0_4arch9wavefront6targetE1EEEvT1_
                                        ; -- End function
	.set _ZN7rocprim17ROCPRIM_400000_NS6detail17trampoline_kernelINS0_14default_configENS1_25partition_config_selectorILNS1_17partition_subalgoE5ElNS0_10empty_typeEbEEZZNS1_14partition_implILS5_5ELb0ES3_mN6hipcub16HIPCUB_304000_NS21CountingInputIteratorIllEEPS6_NSA_22TransformInputIteratorIb7NonZeroIiEPilEENS0_5tupleIJPlS6_EEENSJ_IJSD_SD_EEES6_SK_JS6_EEE10hipError_tPvRmT3_T4_T5_T6_T7_T9_mT8_P12ihipStream_tbDpT10_ENKUlT_T0_E_clISt17integral_constantIbLb0EES16_EEDaS11_S12_EUlS11_E_NS1_11comp_targetILNS1_3genE9ELNS1_11target_archE1100ELNS1_3gpuE3ELNS1_3repE0EEENS1_30default_config_static_selectorELNS0_4arch9wavefront6targetE1EEEvT1_.num_vgpr, 0
	.set _ZN7rocprim17ROCPRIM_400000_NS6detail17trampoline_kernelINS0_14default_configENS1_25partition_config_selectorILNS1_17partition_subalgoE5ElNS0_10empty_typeEbEEZZNS1_14partition_implILS5_5ELb0ES3_mN6hipcub16HIPCUB_304000_NS21CountingInputIteratorIllEEPS6_NSA_22TransformInputIteratorIb7NonZeroIiEPilEENS0_5tupleIJPlS6_EEENSJ_IJSD_SD_EEES6_SK_JS6_EEE10hipError_tPvRmT3_T4_T5_T6_T7_T9_mT8_P12ihipStream_tbDpT10_ENKUlT_T0_E_clISt17integral_constantIbLb0EES16_EEDaS11_S12_EUlS11_E_NS1_11comp_targetILNS1_3genE9ELNS1_11target_archE1100ELNS1_3gpuE3ELNS1_3repE0EEENS1_30default_config_static_selectorELNS0_4arch9wavefront6targetE1EEEvT1_.num_agpr, 0
	.set _ZN7rocprim17ROCPRIM_400000_NS6detail17trampoline_kernelINS0_14default_configENS1_25partition_config_selectorILNS1_17partition_subalgoE5ElNS0_10empty_typeEbEEZZNS1_14partition_implILS5_5ELb0ES3_mN6hipcub16HIPCUB_304000_NS21CountingInputIteratorIllEEPS6_NSA_22TransformInputIteratorIb7NonZeroIiEPilEENS0_5tupleIJPlS6_EEENSJ_IJSD_SD_EEES6_SK_JS6_EEE10hipError_tPvRmT3_T4_T5_T6_T7_T9_mT8_P12ihipStream_tbDpT10_ENKUlT_T0_E_clISt17integral_constantIbLb0EES16_EEDaS11_S12_EUlS11_E_NS1_11comp_targetILNS1_3genE9ELNS1_11target_archE1100ELNS1_3gpuE3ELNS1_3repE0EEENS1_30default_config_static_selectorELNS0_4arch9wavefront6targetE1EEEvT1_.numbered_sgpr, 0
	.set _ZN7rocprim17ROCPRIM_400000_NS6detail17trampoline_kernelINS0_14default_configENS1_25partition_config_selectorILNS1_17partition_subalgoE5ElNS0_10empty_typeEbEEZZNS1_14partition_implILS5_5ELb0ES3_mN6hipcub16HIPCUB_304000_NS21CountingInputIteratorIllEEPS6_NSA_22TransformInputIteratorIb7NonZeroIiEPilEENS0_5tupleIJPlS6_EEENSJ_IJSD_SD_EEES6_SK_JS6_EEE10hipError_tPvRmT3_T4_T5_T6_T7_T9_mT8_P12ihipStream_tbDpT10_ENKUlT_T0_E_clISt17integral_constantIbLb0EES16_EEDaS11_S12_EUlS11_E_NS1_11comp_targetILNS1_3genE9ELNS1_11target_archE1100ELNS1_3gpuE3ELNS1_3repE0EEENS1_30default_config_static_selectorELNS0_4arch9wavefront6targetE1EEEvT1_.num_named_barrier, 0
	.set _ZN7rocprim17ROCPRIM_400000_NS6detail17trampoline_kernelINS0_14default_configENS1_25partition_config_selectorILNS1_17partition_subalgoE5ElNS0_10empty_typeEbEEZZNS1_14partition_implILS5_5ELb0ES3_mN6hipcub16HIPCUB_304000_NS21CountingInputIteratorIllEEPS6_NSA_22TransformInputIteratorIb7NonZeroIiEPilEENS0_5tupleIJPlS6_EEENSJ_IJSD_SD_EEES6_SK_JS6_EEE10hipError_tPvRmT3_T4_T5_T6_T7_T9_mT8_P12ihipStream_tbDpT10_ENKUlT_T0_E_clISt17integral_constantIbLb0EES16_EEDaS11_S12_EUlS11_E_NS1_11comp_targetILNS1_3genE9ELNS1_11target_archE1100ELNS1_3gpuE3ELNS1_3repE0EEENS1_30default_config_static_selectorELNS0_4arch9wavefront6targetE1EEEvT1_.private_seg_size, 0
	.set _ZN7rocprim17ROCPRIM_400000_NS6detail17trampoline_kernelINS0_14default_configENS1_25partition_config_selectorILNS1_17partition_subalgoE5ElNS0_10empty_typeEbEEZZNS1_14partition_implILS5_5ELb0ES3_mN6hipcub16HIPCUB_304000_NS21CountingInputIteratorIllEEPS6_NSA_22TransformInputIteratorIb7NonZeroIiEPilEENS0_5tupleIJPlS6_EEENSJ_IJSD_SD_EEES6_SK_JS6_EEE10hipError_tPvRmT3_T4_T5_T6_T7_T9_mT8_P12ihipStream_tbDpT10_ENKUlT_T0_E_clISt17integral_constantIbLb0EES16_EEDaS11_S12_EUlS11_E_NS1_11comp_targetILNS1_3genE9ELNS1_11target_archE1100ELNS1_3gpuE3ELNS1_3repE0EEENS1_30default_config_static_selectorELNS0_4arch9wavefront6targetE1EEEvT1_.uses_vcc, 0
	.set _ZN7rocprim17ROCPRIM_400000_NS6detail17trampoline_kernelINS0_14default_configENS1_25partition_config_selectorILNS1_17partition_subalgoE5ElNS0_10empty_typeEbEEZZNS1_14partition_implILS5_5ELb0ES3_mN6hipcub16HIPCUB_304000_NS21CountingInputIteratorIllEEPS6_NSA_22TransformInputIteratorIb7NonZeroIiEPilEENS0_5tupleIJPlS6_EEENSJ_IJSD_SD_EEES6_SK_JS6_EEE10hipError_tPvRmT3_T4_T5_T6_T7_T9_mT8_P12ihipStream_tbDpT10_ENKUlT_T0_E_clISt17integral_constantIbLb0EES16_EEDaS11_S12_EUlS11_E_NS1_11comp_targetILNS1_3genE9ELNS1_11target_archE1100ELNS1_3gpuE3ELNS1_3repE0EEENS1_30default_config_static_selectorELNS0_4arch9wavefront6targetE1EEEvT1_.uses_flat_scratch, 0
	.set _ZN7rocprim17ROCPRIM_400000_NS6detail17trampoline_kernelINS0_14default_configENS1_25partition_config_selectorILNS1_17partition_subalgoE5ElNS0_10empty_typeEbEEZZNS1_14partition_implILS5_5ELb0ES3_mN6hipcub16HIPCUB_304000_NS21CountingInputIteratorIllEEPS6_NSA_22TransformInputIteratorIb7NonZeroIiEPilEENS0_5tupleIJPlS6_EEENSJ_IJSD_SD_EEES6_SK_JS6_EEE10hipError_tPvRmT3_T4_T5_T6_T7_T9_mT8_P12ihipStream_tbDpT10_ENKUlT_T0_E_clISt17integral_constantIbLb0EES16_EEDaS11_S12_EUlS11_E_NS1_11comp_targetILNS1_3genE9ELNS1_11target_archE1100ELNS1_3gpuE3ELNS1_3repE0EEENS1_30default_config_static_selectorELNS0_4arch9wavefront6targetE1EEEvT1_.has_dyn_sized_stack, 0
	.set _ZN7rocprim17ROCPRIM_400000_NS6detail17trampoline_kernelINS0_14default_configENS1_25partition_config_selectorILNS1_17partition_subalgoE5ElNS0_10empty_typeEbEEZZNS1_14partition_implILS5_5ELb0ES3_mN6hipcub16HIPCUB_304000_NS21CountingInputIteratorIllEEPS6_NSA_22TransformInputIteratorIb7NonZeroIiEPilEENS0_5tupleIJPlS6_EEENSJ_IJSD_SD_EEES6_SK_JS6_EEE10hipError_tPvRmT3_T4_T5_T6_T7_T9_mT8_P12ihipStream_tbDpT10_ENKUlT_T0_E_clISt17integral_constantIbLb0EES16_EEDaS11_S12_EUlS11_E_NS1_11comp_targetILNS1_3genE9ELNS1_11target_archE1100ELNS1_3gpuE3ELNS1_3repE0EEENS1_30default_config_static_selectorELNS0_4arch9wavefront6targetE1EEEvT1_.has_recursion, 0
	.set _ZN7rocprim17ROCPRIM_400000_NS6detail17trampoline_kernelINS0_14default_configENS1_25partition_config_selectorILNS1_17partition_subalgoE5ElNS0_10empty_typeEbEEZZNS1_14partition_implILS5_5ELb0ES3_mN6hipcub16HIPCUB_304000_NS21CountingInputIteratorIllEEPS6_NSA_22TransformInputIteratorIb7NonZeroIiEPilEENS0_5tupleIJPlS6_EEENSJ_IJSD_SD_EEES6_SK_JS6_EEE10hipError_tPvRmT3_T4_T5_T6_T7_T9_mT8_P12ihipStream_tbDpT10_ENKUlT_T0_E_clISt17integral_constantIbLb0EES16_EEDaS11_S12_EUlS11_E_NS1_11comp_targetILNS1_3genE9ELNS1_11target_archE1100ELNS1_3gpuE3ELNS1_3repE0EEENS1_30default_config_static_selectorELNS0_4arch9wavefront6targetE1EEEvT1_.has_indirect_call, 0
	.section	.AMDGPU.csdata,"",@progbits
; Kernel info:
; codeLenInByte = 0
; TotalNumSgprs: 4
; NumVgprs: 0
; ScratchSize: 0
; MemoryBound: 0
; FloatMode: 240
; IeeeMode: 1
; LDSByteSize: 0 bytes/workgroup (compile time only)
; SGPRBlocks: 0
; VGPRBlocks: 0
; NumSGPRsForWavesPerEU: 4
; NumVGPRsForWavesPerEU: 1
; Occupancy: 10
; WaveLimiterHint : 0
; COMPUTE_PGM_RSRC2:SCRATCH_EN: 0
; COMPUTE_PGM_RSRC2:USER_SGPR: 6
; COMPUTE_PGM_RSRC2:TRAP_HANDLER: 0
; COMPUTE_PGM_RSRC2:TGID_X_EN: 1
; COMPUTE_PGM_RSRC2:TGID_Y_EN: 0
; COMPUTE_PGM_RSRC2:TGID_Z_EN: 0
; COMPUTE_PGM_RSRC2:TIDIG_COMP_CNT: 0
	.section	.text._ZN7rocprim17ROCPRIM_400000_NS6detail17trampoline_kernelINS0_14default_configENS1_25partition_config_selectorILNS1_17partition_subalgoE5ElNS0_10empty_typeEbEEZZNS1_14partition_implILS5_5ELb0ES3_mN6hipcub16HIPCUB_304000_NS21CountingInputIteratorIllEEPS6_NSA_22TransformInputIteratorIb7NonZeroIiEPilEENS0_5tupleIJPlS6_EEENSJ_IJSD_SD_EEES6_SK_JS6_EEE10hipError_tPvRmT3_T4_T5_T6_T7_T9_mT8_P12ihipStream_tbDpT10_ENKUlT_T0_E_clISt17integral_constantIbLb0EES16_EEDaS11_S12_EUlS11_E_NS1_11comp_targetILNS1_3genE8ELNS1_11target_archE1030ELNS1_3gpuE2ELNS1_3repE0EEENS1_30default_config_static_selectorELNS0_4arch9wavefront6targetE1EEEvT1_,"axG",@progbits,_ZN7rocprim17ROCPRIM_400000_NS6detail17trampoline_kernelINS0_14default_configENS1_25partition_config_selectorILNS1_17partition_subalgoE5ElNS0_10empty_typeEbEEZZNS1_14partition_implILS5_5ELb0ES3_mN6hipcub16HIPCUB_304000_NS21CountingInputIteratorIllEEPS6_NSA_22TransformInputIteratorIb7NonZeroIiEPilEENS0_5tupleIJPlS6_EEENSJ_IJSD_SD_EEES6_SK_JS6_EEE10hipError_tPvRmT3_T4_T5_T6_T7_T9_mT8_P12ihipStream_tbDpT10_ENKUlT_T0_E_clISt17integral_constantIbLb0EES16_EEDaS11_S12_EUlS11_E_NS1_11comp_targetILNS1_3genE8ELNS1_11target_archE1030ELNS1_3gpuE2ELNS1_3repE0EEENS1_30default_config_static_selectorELNS0_4arch9wavefront6targetE1EEEvT1_,comdat
	.protected	_ZN7rocprim17ROCPRIM_400000_NS6detail17trampoline_kernelINS0_14default_configENS1_25partition_config_selectorILNS1_17partition_subalgoE5ElNS0_10empty_typeEbEEZZNS1_14partition_implILS5_5ELb0ES3_mN6hipcub16HIPCUB_304000_NS21CountingInputIteratorIllEEPS6_NSA_22TransformInputIteratorIb7NonZeroIiEPilEENS0_5tupleIJPlS6_EEENSJ_IJSD_SD_EEES6_SK_JS6_EEE10hipError_tPvRmT3_T4_T5_T6_T7_T9_mT8_P12ihipStream_tbDpT10_ENKUlT_T0_E_clISt17integral_constantIbLb0EES16_EEDaS11_S12_EUlS11_E_NS1_11comp_targetILNS1_3genE8ELNS1_11target_archE1030ELNS1_3gpuE2ELNS1_3repE0EEENS1_30default_config_static_selectorELNS0_4arch9wavefront6targetE1EEEvT1_ ; -- Begin function _ZN7rocprim17ROCPRIM_400000_NS6detail17trampoline_kernelINS0_14default_configENS1_25partition_config_selectorILNS1_17partition_subalgoE5ElNS0_10empty_typeEbEEZZNS1_14partition_implILS5_5ELb0ES3_mN6hipcub16HIPCUB_304000_NS21CountingInputIteratorIllEEPS6_NSA_22TransformInputIteratorIb7NonZeroIiEPilEENS0_5tupleIJPlS6_EEENSJ_IJSD_SD_EEES6_SK_JS6_EEE10hipError_tPvRmT3_T4_T5_T6_T7_T9_mT8_P12ihipStream_tbDpT10_ENKUlT_T0_E_clISt17integral_constantIbLb0EES16_EEDaS11_S12_EUlS11_E_NS1_11comp_targetILNS1_3genE8ELNS1_11target_archE1030ELNS1_3gpuE2ELNS1_3repE0EEENS1_30default_config_static_selectorELNS0_4arch9wavefront6targetE1EEEvT1_
	.globl	_ZN7rocprim17ROCPRIM_400000_NS6detail17trampoline_kernelINS0_14default_configENS1_25partition_config_selectorILNS1_17partition_subalgoE5ElNS0_10empty_typeEbEEZZNS1_14partition_implILS5_5ELb0ES3_mN6hipcub16HIPCUB_304000_NS21CountingInputIteratorIllEEPS6_NSA_22TransformInputIteratorIb7NonZeroIiEPilEENS0_5tupleIJPlS6_EEENSJ_IJSD_SD_EEES6_SK_JS6_EEE10hipError_tPvRmT3_T4_T5_T6_T7_T9_mT8_P12ihipStream_tbDpT10_ENKUlT_T0_E_clISt17integral_constantIbLb0EES16_EEDaS11_S12_EUlS11_E_NS1_11comp_targetILNS1_3genE8ELNS1_11target_archE1030ELNS1_3gpuE2ELNS1_3repE0EEENS1_30default_config_static_selectorELNS0_4arch9wavefront6targetE1EEEvT1_
	.p2align	8
	.type	_ZN7rocprim17ROCPRIM_400000_NS6detail17trampoline_kernelINS0_14default_configENS1_25partition_config_selectorILNS1_17partition_subalgoE5ElNS0_10empty_typeEbEEZZNS1_14partition_implILS5_5ELb0ES3_mN6hipcub16HIPCUB_304000_NS21CountingInputIteratorIllEEPS6_NSA_22TransformInputIteratorIb7NonZeroIiEPilEENS0_5tupleIJPlS6_EEENSJ_IJSD_SD_EEES6_SK_JS6_EEE10hipError_tPvRmT3_T4_T5_T6_T7_T9_mT8_P12ihipStream_tbDpT10_ENKUlT_T0_E_clISt17integral_constantIbLb0EES16_EEDaS11_S12_EUlS11_E_NS1_11comp_targetILNS1_3genE8ELNS1_11target_archE1030ELNS1_3gpuE2ELNS1_3repE0EEENS1_30default_config_static_selectorELNS0_4arch9wavefront6targetE1EEEvT1_,@function
_ZN7rocprim17ROCPRIM_400000_NS6detail17trampoline_kernelINS0_14default_configENS1_25partition_config_selectorILNS1_17partition_subalgoE5ElNS0_10empty_typeEbEEZZNS1_14partition_implILS5_5ELb0ES3_mN6hipcub16HIPCUB_304000_NS21CountingInputIteratorIllEEPS6_NSA_22TransformInputIteratorIb7NonZeroIiEPilEENS0_5tupleIJPlS6_EEENSJ_IJSD_SD_EEES6_SK_JS6_EEE10hipError_tPvRmT3_T4_T5_T6_T7_T9_mT8_P12ihipStream_tbDpT10_ENKUlT_T0_E_clISt17integral_constantIbLb0EES16_EEDaS11_S12_EUlS11_E_NS1_11comp_targetILNS1_3genE8ELNS1_11target_archE1030ELNS1_3gpuE2ELNS1_3repE0EEENS1_30default_config_static_selectorELNS0_4arch9wavefront6targetE1EEEvT1_: ; @_ZN7rocprim17ROCPRIM_400000_NS6detail17trampoline_kernelINS0_14default_configENS1_25partition_config_selectorILNS1_17partition_subalgoE5ElNS0_10empty_typeEbEEZZNS1_14partition_implILS5_5ELb0ES3_mN6hipcub16HIPCUB_304000_NS21CountingInputIteratorIllEEPS6_NSA_22TransformInputIteratorIb7NonZeroIiEPilEENS0_5tupleIJPlS6_EEENSJ_IJSD_SD_EEES6_SK_JS6_EEE10hipError_tPvRmT3_T4_T5_T6_T7_T9_mT8_P12ihipStream_tbDpT10_ENKUlT_T0_E_clISt17integral_constantIbLb0EES16_EEDaS11_S12_EUlS11_E_NS1_11comp_targetILNS1_3genE8ELNS1_11target_archE1030ELNS1_3gpuE2ELNS1_3repE0EEENS1_30default_config_static_selectorELNS0_4arch9wavefront6targetE1EEEvT1_
; %bb.0:
	.section	.rodata,"a",@progbits
	.p2align	6, 0x0
	.amdhsa_kernel _ZN7rocprim17ROCPRIM_400000_NS6detail17trampoline_kernelINS0_14default_configENS1_25partition_config_selectorILNS1_17partition_subalgoE5ElNS0_10empty_typeEbEEZZNS1_14partition_implILS5_5ELb0ES3_mN6hipcub16HIPCUB_304000_NS21CountingInputIteratorIllEEPS6_NSA_22TransformInputIteratorIb7NonZeroIiEPilEENS0_5tupleIJPlS6_EEENSJ_IJSD_SD_EEES6_SK_JS6_EEE10hipError_tPvRmT3_T4_T5_T6_T7_T9_mT8_P12ihipStream_tbDpT10_ENKUlT_T0_E_clISt17integral_constantIbLb0EES16_EEDaS11_S12_EUlS11_E_NS1_11comp_targetILNS1_3genE8ELNS1_11target_archE1030ELNS1_3gpuE2ELNS1_3repE0EEENS1_30default_config_static_selectorELNS0_4arch9wavefront6targetE1EEEvT1_
		.amdhsa_group_segment_fixed_size 0
		.amdhsa_private_segment_fixed_size 0
		.amdhsa_kernarg_size 120
		.amdhsa_user_sgpr_count 6
		.amdhsa_user_sgpr_private_segment_buffer 1
		.amdhsa_user_sgpr_dispatch_ptr 0
		.amdhsa_user_sgpr_queue_ptr 0
		.amdhsa_user_sgpr_kernarg_segment_ptr 1
		.amdhsa_user_sgpr_dispatch_id 0
		.amdhsa_user_sgpr_flat_scratch_init 0
		.amdhsa_user_sgpr_private_segment_size 0
		.amdhsa_uses_dynamic_stack 0
		.amdhsa_system_sgpr_private_segment_wavefront_offset 0
		.amdhsa_system_sgpr_workgroup_id_x 1
		.amdhsa_system_sgpr_workgroup_id_y 0
		.amdhsa_system_sgpr_workgroup_id_z 0
		.amdhsa_system_sgpr_workgroup_info 0
		.amdhsa_system_vgpr_workitem_id 0
		.amdhsa_next_free_vgpr 1
		.amdhsa_next_free_sgpr 0
		.amdhsa_reserve_vcc 0
		.amdhsa_reserve_flat_scratch 0
		.amdhsa_float_round_mode_32 0
		.amdhsa_float_round_mode_16_64 0
		.amdhsa_float_denorm_mode_32 3
		.amdhsa_float_denorm_mode_16_64 3
		.amdhsa_dx10_clamp 1
		.amdhsa_ieee_mode 1
		.amdhsa_fp16_overflow 0
		.amdhsa_exception_fp_ieee_invalid_op 0
		.amdhsa_exception_fp_denorm_src 0
		.amdhsa_exception_fp_ieee_div_zero 0
		.amdhsa_exception_fp_ieee_overflow 0
		.amdhsa_exception_fp_ieee_underflow 0
		.amdhsa_exception_fp_ieee_inexact 0
		.amdhsa_exception_int_div_zero 0
	.end_amdhsa_kernel
	.section	.text._ZN7rocprim17ROCPRIM_400000_NS6detail17trampoline_kernelINS0_14default_configENS1_25partition_config_selectorILNS1_17partition_subalgoE5ElNS0_10empty_typeEbEEZZNS1_14partition_implILS5_5ELb0ES3_mN6hipcub16HIPCUB_304000_NS21CountingInputIteratorIllEEPS6_NSA_22TransformInputIteratorIb7NonZeroIiEPilEENS0_5tupleIJPlS6_EEENSJ_IJSD_SD_EEES6_SK_JS6_EEE10hipError_tPvRmT3_T4_T5_T6_T7_T9_mT8_P12ihipStream_tbDpT10_ENKUlT_T0_E_clISt17integral_constantIbLb0EES16_EEDaS11_S12_EUlS11_E_NS1_11comp_targetILNS1_3genE8ELNS1_11target_archE1030ELNS1_3gpuE2ELNS1_3repE0EEENS1_30default_config_static_selectorELNS0_4arch9wavefront6targetE1EEEvT1_,"axG",@progbits,_ZN7rocprim17ROCPRIM_400000_NS6detail17trampoline_kernelINS0_14default_configENS1_25partition_config_selectorILNS1_17partition_subalgoE5ElNS0_10empty_typeEbEEZZNS1_14partition_implILS5_5ELb0ES3_mN6hipcub16HIPCUB_304000_NS21CountingInputIteratorIllEEPS6_NSA_22TransformInputIteratorIb7NonZeroIiEPilEENS0_5tupleIJPlS6_EEENSJ_IJSD_SD_EEES6_SK_JS6_EEE10hipError_tPvRmT3_T4_T5_T6_T7_T9_mT8_P12ihipStream_tbDpT10_ENKUlT_T0_E_clISt17integral_constantIbLb0EES16_EEDaS11_S12_EUlS11_E_NS1_11comp_targetILNS1_3genE8ELNS1_11target_archE1030ELNS1_3gpuE2ELNS1_3repE0EEENS1_30default_config_static_selectorELNS0_4arch9wavefront6targetE1EEEvT1_,comdat
.Lfunc_end192:
	.size	_ZN7rocprim17ROCPRIM_400000_NS6detail17trampoline_kernelINS0_14default_configENS1_25partition_config_selectorILNS1_17partition_subalgoE5ElNS0_10empty_typeEbEEZZNS1_14partition_implILS5_5ELb0ES3_mN6hipcub16HIPCUB_304000_NS21CountingInputIteratorIllEEPS6_NSA_22TransformInputIteratorIb7NonZeroIiEPilEENS0_5tupleIJPlS6_EEENSJ_IJSD_SD_EEES6_SK_JS6_EEE10hipError_tPvRmT3_T4_T5_T6_T7_T9_mT8_P12ihipStream_tbDpT10_ENKUlT_T0_E_clISt17integral_constantIbLb0EES16_EEDaS11_S12_EUlS11_E_NS1_11comp_targetILNS1_3genE8ELNS1_11target_archE1030ELNS1_3gpuE2ELNS1_3repE0EEENS1_30default_config_static_selectorELNS0_4arch9wavefront6targetE1EEEvT1_, .Lfunc_end192-_ZN7rocprim17ROCPRIM_400000_NS6detail17trampoline_kernelINS0_14default_configENS1_25partition_config_selectorILNS1_17partition_subalgoE5ElNS0_10empty_typeEbEEZZNS1_14partition_implILS5_5ELb0ES3_mN6hipcub16HIPCUB_304000_NS21CountingInputIteratorIllEEPS6_NSA_22TransformInputIteratorIb7NonZeroIiEPilEENS0_5tupleIJPlS6_EEENSJ_IJSD_SD_EEES6_SK_JS6_EEE10hipError_tPvRmT3_T4_T5_T6_T7_T9_mT8_P12ihipStream_tbDpT10_ENKUlT_T0_E_clISt17integral_constantIbLb0EES16_EEDaS11_S12_EUlS11_E_NS1_11comp_targetILNS1_3genE8ELNS1_11target_archE1030ELNS1_3gpuE2ELNS1_3repE0EEENS1_30default_config_static_selectorELNS0_4arch9wavefront6targetE1EEEvT1_
                                        ; -- End function
	.set _ZN7rocprim17ROCPRIM_400000_NS6detail17trampoline_kernelINS0_14default_configENS1_25partition_config_selectorILNS1_17partition_subalgoE5ElNS0_10empty_typeEbEEZZNS1_14partition_implILS5_5ELb0ES3_mN6hipcub16HIPCUB_304000_NS21CountingInputIteratorIllEEPS6_NSA_22TransformInputIteratorIb7NonZeroIiEPilEENS0_5tupleIJPlS6_EEENSJ_IJSD_SD_EEES6_SK_JS6_EEE10hipError_tPvRmT3_T4_T5_T6_T7_T9_mT8_P12ihipStream_tbDpT10_ENKUlT_T0_E_clISt17integral_constantIbLb0EES16_EEDaS11_S12_EUlS11_E_NS1_11comp_targetILNS1_3genE8ELNS1_11target_archE1030ELNS1_3gpuE2ELNS1_3repE0EEENS1_30default_config_static_selectorELNS0_4arch9wavefront6targetE1EEEvT1_.num_vgpr, 0
	.set _ZN7rocprim17ROCPRIM_400000_NS6detail17trampoline_kernelINS0_14default_configENS1_25partition_config_selectorILNS1_17partition_subalgoE5ElNS0_10empty_typeEbEEZZNS1_14partition_implILS5_5ELb0ES3_mN6hipcub16HIPCUB_304000_NS21CountingInputIteratorIllEEPS6_NSA_22TransformInputIteratorIb7NonZeroIiEPilEENS0_5tupleIJPlS6_EEENSJ_IJSD_SD_EEES6_SK_JS6_EEE10hipError_tPvRmT3_T4_T5_T6_T7_T9_mT8_P12ihipStream_tbDpT10_ENKUlT_T0_E_clISt17integral_constantIbLb0EES16_EEDaS11_S12_EUlS11_E_NS1_11comp_targetILNS1_3genE8ELNS1_11target_archE1030ELNS1_3gpuE2ELNS1_3repE0EEENS1_30default_config_static_selectorELNS0_4arch9wavefront6targetE1EEEvT1_.num_agpr, 0
	.set _ZN7rocprim17ROCPRIM_400000_NS6detail17trampoline_kernelINS0_14default_configENS1_25partition_config_selectorILNS1_17partition_subalgoE5ElNS0_10empty_typeEbEEZZNS1_14partition_implILS5_5ELb0ES3_mN6hipcub16HIPCUB_304000_NS21CountingInputIteratorIllEEPS6_NSA_22TransformInputIteratorIb7NonZeroIiEPilEENS0_5tupleIJPlS6_EEENSJ_IJSD_SD_EEES6_SK_JS6_EEE10hipError_tPvRmT3_T4_T5_T6_T7_T9_mT8_P12ihipStream_tbDpT10_ENKUlT_T0_E_clISt17integral_constantIbLb0EES16_EEDaS11_S12_EUlS11_E_NS1_11comp_targetILNS1_3genE8ELNS1_11target_archE1030ELNS1_3gpuE2ELNS1_3repE0EEENS1_30default_config_static_selectorELNS0_4arch9wavefront6targetE1EEEvT1_.numbered_sgpr, 0
	.set _ZN7rocprim17ROCPRIM_400000_NS6detail17trampoline_kernelINS0_14default_configENS1_25partition_config_selectorILNS1_17partition_subalgoE5ElNS0_10empty_typeEbEEZZNS1_14partition_implILS5_5ELb0ES3_mN6hipcub16HIPCUB_304000_NS21CountingInputIteratorIllEEPS6_NSA_22TransformInputIteratorIb7NonZeroIiEPilEENS0_5tupleIJPlS6_EEENSJ_IJSD_SD_EEES6_SK_JS6_EEE10hipError_tPvRmT3_T4_T5_T6_T7_T9_mT8_P12ihipStream_tbDpT10_ENKUlT_T0_E_clISt17integral_constantIbLb0EES16_EEDaS11_S12_EUlS11_E_NS1_11comp_targetILNS1_3genE8ELNS1_11target_archE1030ELNS1_3gpuE2ELNS1_3repE0EEENS1_30default_config_static_selectorELNS0_4arch9wavefront6targetE1EEEvT1_.num_named_barrier, 0
	.set _ZN7rocprim17ROCPRIM_400000_NS6detail17trampoline_kernelINS0_14default_configENS1_25partition_config_selectorILNS1_17partition_subalgoE5ElNS0_10empty_typeEbEEZZNS1_14partition_implILS5_5ELb0ES3_mN6hipcub16HIPCUB_304000_NS21CountingInputIteratorIllEEPS6_NSA_22TransformInputIteratorIb7NonZeroIiEPilEENS0_5tupleIJPlS6_EEENSJ_IJSD_SD_EEES6_SK_JS6_EEE10hipError_tPvRmT3_T4_T5_T6_T7_T9_mT8_P12ihipStream_tbDpT10_ENKUlT_T0_E_clISt17integral_constantIbLb0EES16_EEDaS11_S12_EUlS11_E_NS1_11comp_targetILNS1_3genE8ELNS1_11target_archE1030ELNS1_3gpuE2ELNS1_3repE0EEENS1_30default_config_static_selectorELNS0_4arch9wavefront6targetE1EEEvT1_.private_seg_size, 0
	.set _ZN7rocprim17ROCPRIM_400000_NS6detail17trampoline_kernelINS0_14default_configENS1_25partition_config_selectorILNS1_17partition_subalgoE5ElNS0_10empty_typeEbEEZZNS1_14partition_implILS5_5ELb0ES3_mN6hipcub16HIPCUB_304000_NS21CountingInputIteratorIllEEPS6_NSA_22TransformInputIteratorIb7NonZeroIiEPilEENS0_5tupleIJPlS6_EEENSJ_IJSD_SD_EEES6_SK_JS6_EEE10hipError_tPvRmT3_T4_T5_T6_T7_T9_mT8_P12ihipStream_tbDpT10_ENKUlT_T0_E_clISt17integral_constantIbLb0EES16_EEDaS11_S12_EUlS11_E_NS1_11comp_targetILNS1_3genE8ELNS1_11target_archE1030ELNS1_3gpuE2ELNS1_3repE0EEENS1_30default_config_static_selectorELNS0_4arch9wavefront6targetE1EEEvT1_.uses_vcc, 0
	.set _ZN7rocprim17ROCPRIM_400000_NS6detail17trampoline_kernelINS0_14default_configENS1_25partition_config_selectorILNS1_17partition_subalgoE5ElNS0_10empty_typeEbEEZZNS1_14partition_implILS5_5ELb0ES3_mN6hipcub16HIPCUB_304000_NS21CountingInputIteratorIllEEPS6_NSA_22TransformInputIteratorIb7NonZeroIiEPilEENS0_5tupleIJPlS6_EEENSJ_IJSD_SD_EEES6_SK_JS6_EEE10hipError_tPvRmT3_T4_T5_T6_T7_T9_mT8_P12ihipStream_tbDpT10_ENKUlT_T0_E_clISt17integral_constantIbLb0EES16_EEDaS11_S12_EUlS11_E_NS1_11comp_targetILNS1_3genE8ELNS1_11target_archE1030ELNS1_3gpuE2ELNS1_3repE0EEENS1_30default_config_static_selectorELNS0_4arch9wavefront6targetE1EEEvT1_.uses_flat_scratch, 0
	.set _ZN7rocprim17ROCPRIM_400000_NS6detail17trampoline_kernelINS0_14default_configENS1_25partition_config_selectorILNS1_17partition_subalgoE5ElNS0_10empty_typeEbEEZZNS1_14partition_implILS5_5ELb0ES3_mN6hipcub16HIPCUB_304000_NS21CountingInputIteratorIllEEPS6_NSA_22TransformInputIteratorIb7NonZeroIiEPilEENS0_5tupleIJPlS6_EEENSJ_IJSD_SD_EEES6_SK_JS6_EEE10hipError_tPvRmT3_T4_T5_T6_T7_T9_mT8_P12ihipStream_tbDpT10_ENKUlT_T0_E_clISt17integral_constantIbLb0EES16_EEDaS11_S12_EUlS11_E_NS1_11comp_targetILNS1_3genE8ELNS1_11target_archE1030ELNS1_3gpuE2ELNS1_3repE0EEENS1_30default_config_static_selectorELNS0_4arch9wavefront6targetE1EEEvT1_.has_dyn_sized_stack, 0
	.set _ZN7rocprim17ROCPRIM_400000_NS6detail17trampoline_kernelINS0_14default_configENS1_25partition_config_selectorILNS1_17partition_subalgoE5ElNS0_10empty_typeEbEEZZNS1_14partition_implILS5_5ELb0ES3_mN6hipcub16HIPCUB_304000_NS21CountingInputIteratorIllEEPS6_NSA_22TransformInputIteratorIb7NonZeroIiEPilEENS0_5tupleIJPlS6_EEENSJ_IJSD_SD_EEES6_SK_JS6_EEE10hipError_tPvRmT3_T4_T5_T6_T7_T9_mT8_P12ihipStream_tbDpT10_ENKUlT_T0_E_clISt17integral_constantIbLb0EES16_EEDaS11_S12_EUlS11_E_NS1_11comp_targetILNS1_3genE8ELNS1_11target_archE1030ELNS1_3gpuE2ELNS1_3repE0EEENS1_30default_config_static_selectorELNS0_4arch9wavefront6targetE1EEEvT1_.has_recursion, 0
	.set _ZN7rocprim17ROCPRIM_400000_NS6detail17trampoline_kernelINS0_14default_configENS1_25partition_config_selectorILNS1_17partition_subalgoE5ElNS0_10empty_typeEbEEZZNS1_14partition_implILS5_5ELb0ES3_mN6hipcub16HIPCUB_304000_NS21CountingInputIteratorIllEEPS6_NSA_22TransformInputIteratorIb7NonZeroIiEPilEENS0_5tupleIJPlS6_EEENSJ_IJSD_SD_EEES6_SK_JS6_EEE10hipError_tPvRmT3_T4_T5_T6_T7_T9_mT8_P12ihipStream_tbDpT10_ENKUlT_T0_E_clISt17integral_constantIbLb0EES16_EEDaS11_S12_EUlS11_E_NS1_11comp_targetILNS1_3genE8ELNS1_11target_archE1030ELNS1_3gpuE2ELNS1_3repE0EEENS1_30default_config_static_selectorELNS0_4arch9wavefront6targetE1EEEvT1_.has_indirect_call, 0
	.section	.AMDGPU.csdata,"",@progbits
; Kernel info:
; codeLenInByte = 0
; TotalNumSgprs: 4
; NumVgprs: 0
; ScratchSize: 0
; MemoryBound: 0
; FloatMode: 240
; IeeeMode: 1
; LDSByteSize: 0 bytes/workgroup (compile time only)
; SGPRBlocks: 0
; VGPRBlocks: 0
; NumSGPRsForWavesPerEU: 4
; NumVGPRsForWavesPerEU: 1
; Occupancy: 10
; WaveLimiterHint : 0
; COMPUTE_PGM_RSRC2:SCRATCH_EN: 0
; COMPUTE_PGM_RSRC2:USER_SGPR: 6
; COMPUTE_PGM_RSRC2:TRAP_HANDLER: 0
; COMPUTE_PGM_RSRC2:TGID_X_EN: 1
; COMPUTE_PGM_RSRC2:TGID_Y_EN: 0
; COMPUTE_PGM_RSRC2:TGID_Z_EN: 0
; COMPUTE_PGM_RSRC2:TIDIG_COMP_CNT: 0
	.section	.text._ZN7rocprim17ROCPRIM_400000_NS6detail17trampoline_kernelINS0_14default_configENS1_25partition_config_selectorILNS1_17partition_subalgoE5ElNS0_10empty_typeEbEEZZNS1_14partition_implILS5_5ELb0ES3_mN6hipcub16HIPCUB_304000_NS21CountingInputIteratorIllEEPS6_NSA_22TransformInputIteratorIb7NonZeroIiEPilEENS0_5tupleIJPlS6_EEENSJ_IJSD_SD_EEES6_SK_JS6_EEE10hipError_tPvRmT3_T4_T5_T6_T7_T9_mT8_P12ihipStream_tbDpT10_ENKUlT_T0_E_clISt17integral_constantIbLb1EES16_EEDaS11_S12_EUlS11_E_NS1_11comp_targetILNS1_3genE0ELNS1_11target_archE4294967295ELNS1_3gpuE0ELNS1_3repE0EEENS1_30default_config_static_selectorELNS0_4arch9wavefront6targetE1EEEvT1_,"axG",@progbits,_ZN7rocprim17ROCPRIM_400000_NS6detail17trampoline_kernelINS0_14default_configENS1_25partition_config_selectorILNS1_17partition_subalgoE5ElNS0_10empty_typeEbEEZZNS1_14partition_implILS5_5ELb0ES3_mN6hipcub16HIPCUB_304000_NS21CountingInputIteratorIllEEPS6_NSA_22TransformInputIteratorIb7NonZeroIiEPilEENS0_5tupleIJPlS6_EEENSJ_IJSD_SD_EEES6_SK_JS6_EEE10hipError_tPvRmT3_T4_T5_T6_T7_T9_mT8_P12ihipStream_tbDpT10_ENKUlT_T0_E_clISt17integral_constantIbLb1EES16_EEDaS11_S12_EUlS11_E_NS1_11comp_targetILNS1_3genE0ELNS1_11target_archE4294967295ELNS1_3gpuE0ELNS1_3repE0EEENS1_30default_config_static_selectorELNS0_4arch9wavefront6targetE1EEEvT1_,comdat
	.protected	_ZN7rocprim17ROCPRIM_400000_NS6detail17trampoline_kernelINS0_14default_configENS1_25partition_config_selectorILNS1_17partition_subalgoE5ElNS0_10empty_typeEbEEZZNS1_14partition_implILS5_5ELb0ES3_mN6hipcub16HIPCUB_304000_NS21CountingInputIteratorIllEEPS6_NSA_22TransformInputIteratorIb7NonZeroIiEPilEENS0_5tupleIJPlS6_EEENSJ_IJSD_SD_EEES6_SK_JS6_EEE10hipError_tPvRmT3_T4_T5_T6_T7_T9_mT8_P12ihipStream_tbDpT10_ENKUlT_T0_E_clISt17integral_constantIbLb1EES16_EEDaS11_S12_EUlS11_E_NS1_11comp_targetILNS1_3genE0ELNS1_11target_archE4294967295ELNS1_3gpuE0ELNS1_3repE0EEENS1_30default_config_static_selectorELNS0_4arch9wavefront6targetE1EEEvT1_ ; -- Begin function _ZN7rocprim17ROCPRIM_400000_NS6detail17trampoline_kernelINS0_14default_configENS1_25partition_config_selectorILNS1_17partition_subalgoE5ElNS0_10empty_typeEbEEZZNS1_14partition_implILS5_5ELb0ES3_mN6hipcub16HIPCUB_304000_NS21CountingInputIteratorIllEEPS6_NSA_22TransformInputIteratorIb7NonZeroIiEPilEENS0_5tupleIJPlS6_EEENSJ_IJSD_SD_EEES6_SK_JS6_EEE10hipError_tPvRmT3_T4_T5_T6_T7_T9_mT8_P12ihipStream_tbDpT10_ENKUlT_T0_E_clISt17integral_constantIbLb1EES16_EEDaS11_S12_EUlS11_E_NS1_11comp_targetILNS1_3genE0ELNS1_11target_archE4294967295ELNS1_3gpuE0ELNS1_3repE0EEENS1_30default_config_static_selectorELNS0_4arch9wavefront6targetE1EEEvT1_
	.globl	_ZN7rocprim17ROCPRIM_400000_NS6detail17trampoline_kernelINS0_14default_configENS1_25partition_config_selectorILNS1_17partition_subalgoE5ElNS0_10empty_typeEbEEZZNS1_14partition_implILS5_5ELb0ES3_mN6hipcub16HIPCUB_304000_NS21CountingInputIteratorIllEEPS6_NSA_22TransformInputIteratorIb7NonZeroIiEPilEENS0_5tupleIJPlS6_EEENSJ_IJSD_SD_EEES6_SK_JS6_EEE10hipError_tPvRmT3_T4_T5_T6_T7_T9_mT8_P12ihipStream_tbDpT10_ENKUlT_T0_E_clISt17integral_constantIbLb1EES16_EEDaS11_S12_EUlS11_E_NS1_11comp_targetILNS1_3genE0ELNS1_11target_archE4294967295ELNS1_3gpuE0ELNS1_3repE0EEENS1_30default_config_static_selectorELNS0_4arch9wavefront6targetE1EEEvT1_
	.p2align	8
	.type	_ZN7rocprim17ROCPRIM_400000_NS6detail17trampoline_kernelINS0_14default_configENS1_25partition_config_selectorILNS1_17partition_subalgoE5ElNS0_10empty_typeEbEEZZNS1_14partition_implILS5_5ELb0ES3_mN6hipcub16HIPCUB_304000_NS21CountingInputIteratorIllEEPS6_NSA_22TransformInputIteratorIb7NonZeroIiEPilEENS0_5tupleIJPlS6_EEENSJ_IJSD_SD_EEES6_SK_JS6_EEE10hipError_tPvRmT3_T4_T5_T6_T7_T9_mT8_P12ihipStream_tbDpT10_ENKUlT_T0_E_clISt17integral_constantIbLb1EES16_EEDaS11_S12_EUlS11_E_NS1_11comp_targetILNS1_3genE0ELNS1_11target_archE4294967295ELNS1_3gpuE0ELNS1_3repE0EEENS1_30default_config_static_selectorELNS0_4arch9wavefront6targetE1EEEvT1_,@function
_ZN7rocprim17ROCPRIM_400000_NS6detail17trampoline_kernelINS0_14default_configENS1_25partition_config_selectorILNS1_17partition_subalgoE5ElNS0_10empty_typeEbEEZZNS1_14partition_implILS5_5ELb0ES3_mN6hipcub16HIPCUB_304000_NS21CountingInputIteratorIllEEPS6_NSA_22TransformInputIteratorIb7NonZeroIiEPilEENS0_5tupleIJPlS6_EEENSJ_IJSD_SD_EEES6_SK_JS6_EEE10hipError_tPvRmT3_T4_T5_T6_T7_T9_mT8_P12ihipStream_tbDpT10_ENKUlT_T0_E_clISt17integral_constantIbLb1EES16_EEDaS11_S12_EUlS11_E_NS1_11comp_targetILNS1_3genE0ELNS1_11target_archE4294967295ELNS1_3gpuE0ELNS1_3repE0EEENS1_30default_config_static_selectorELNS0_4arch9wavefront6targetE1EEEvT1_: ; @_ZN7rocprim17ROCPRIM_400000_NS6detail17trampoline_kernelINS0_14default_configENS1_25partition_config_selectorILNS1_17partition_subalgoE5ElNS0_10empty_typeEbEEZZNS1_14partition_implILS5_5ELb0ES3_mN6hipcub16HIPCUB_304000_NS21CountingInputIteratorIllEEPS6_NSA_22TransformInputIteratorIb7NonZeroIiEPilEENS0_5tupleIJPlS6_EEENSJ_IJSD_SD_EEES6_SK_JS6_EEE10hipError_tPvRmT3_T4_T5_T6_T7_T9_mT8_P12ihipStream_tbDpT10_ENKUlT_T0_E_clISt17integral_constantIbLb1EES16_EEDaS11_S12_EUlS11_E_NS1_11comp_targetILNS1_3genE0ELNS1_11target_archE4294967295ELNS1_3gpuE0ELNS1_3repE0EEENS1_30default_config_static_selectorELNS0_4arch9wavefront6targetE1EEEvT1_
; %bb.0:
	.section	.rodata,"a",@progbits
	.p2align	6, 0x0
	.amdhsa_kernel _ZN7rocprim17ROCPRIM_400000_NS6detail17trampoline_kernelINS0_14default_configENS1_25partition_config_selectorILNS1_17partition_subalgoE5ElNS0_10empty_typeEbEEZZNS1_14partition_implILS5_5ELb0ES3_mN6hipcub16HIPCUB_304000_NS21CountingInputIteratorIllEEPS6_NSA_22TransformInputIteratorIb7NonZeroIiEPilEENS0_5tupleIJPlS6_EEENSJ_IJSD_SD_EEES6_SK_JS6_EEE10hipError_tPvRmT3_T4_T5_T6_T7_T9_mT8_P12ihipStream_tbDpT10_ENKUlT_T0_E_clISt17integral_constantIbLb1EES16_EEDaS11_S12_EUlS11_E_NS1_11comp_targetILNS1_3genE0ELNS1_11target_archE4294967295ELNS1_3gpuE0ELNS1_3repE0EEENS1_30default_config_static_selectorELNS0_4arch9wavefront6targetE1EEEvT1_
		.amdhsa_group_segment_fixed_size 0
		.amdhsa_private_segment_fixed_size 0
		.amdhsa_kernarg_size 136
		.amdhsa_user_sgpr_count 6
		.amdhsa_user_sgpr_private_segment_buffer 1
		.amdhsa_user_sgpr_dispatch_ptr 0
		.amdhsa_user_sgpr_queue_ptr 0
		.amdhsa_user_sgpr_kernarg_segment_ptr 1
		.amdhsa_user_sgpr_dispatch_id 0
		.amdhsa_user_sgpr_flat_scratch_init 0
		.amdhsa_user_sgpr_private_segment_size 0
		.amdhsa_uses_dynamic_stack 0
		.amdhsa_system_sgpr_private_segment_wavefront_offset 0
		.amdhsa_system_sgpr_workgroup_id_x 1
		.amdhsa_system_sgpr_workgroup_id_y 0
		.amdhsa_system_sgpr_workgroup_id_z 0
		.amdhsa_system_sgpr_workgroup_info 0
		.amdhsa_system_vgpr_workitem_id 0
		.amdhsa_next_free_vgpr 1
		.amdhsa_next_free_sgpr 0
		.amdhsa_reserve_vcc 0
		.amdhsa_reserve_flat_scratch 0
		.amdhsa_float_round_mode_32 0
		.amdhsa_float_round_mode_16_64 0
		.amdhsa_float_denorm_mode_32 3
		.amdhsa_float_denorm_mode_16_64 3
		.amdhsa_dx10_clamp 1
		.amdhsa_ieee_mode 1
		.amdhsa_fp16_overflow 0
		.amdhsa_exception_fp_ieee_invalid_op 0
		.amdhsa_exception_fp_denorm_src 0
		.amdhsa_exception_fp_ieee_div_zero 0
		.amdhsa_exception_fp_ieee_overflow 0
		.amdhsa_exception_fp_ieee_underflow 0
		.amdhsa_exception_fp_ieee_inexact 0
		.amdhsa_exception_int_div_zero 0
	.end_amdhsa_kernel
	.section	.text._ZN7rocprim17ROCPRIM_400000_NS6detail17trampoline_kernelINS0_14default_configENS1_25partition_config_selectorILNS1_17partition_subalgoE5ElNS0_10empty_typeEbEEZZNS1_14partition_implILS5_5ELb0ES3_mN6hipcub16HIPCUB_304000_NS21CountingInputIteratorIllEEPS6_NSA_22TransformInputIteratorIb7NonZeroIiEPilEENS0_5tupleIJPlS6_EEENSJ_IJSD_SD_EEES6_SK_JS6_EEE10hipError_tPvRmT3_T4_T5_T6_T7_T9_mT8_P12ihipStream_tbDpT10_ENKUlT_T0_E_clISt17integral_constantIbLb1EES16_EEDaS11_S12_EUlS11_E_NS1_11comp_targetILNS1_3genE0ELNS1_11target_archE4294967295ELNS1_3gpuE0ELNS1_3repE0EEENS1_30default_config_static_selectorELNS0_4arch9wavefront6targetE1EEEvT1_,"axG",@progbits,_ZN7rocprim17ROCPRIM_400000_NS6detail17trampoline_kernelINS0_14default_configENS1_25partition_config_selectorILNS1_17partition_subalgoE5ElNS0_10empty_typeEbEEZZNS1_14partition_implILS5_5ELb0ES3_mN6hipcub16HIPCUB_304000_NS21CountingInputIteratorIllEEPS6_NSA_22TransformInputIteratorIb7NonZeroIiEPilEENS0_5tupleIJPlS6_EEENSJ_IJSD_SD_EEES6_SK_JS6_EEE10hipError_tPvRmT3_T4_T5_T6_T7_T9_mT8_P12ihipStream_tbDpT10_ENKUlT_T0_E_clISt17integral_constantIbLb1EES16_EEDaS11_S12_EUlS11_E_NS1_11comp_targetILNS1_3genE0ELNS1_11target_archE4294967295ELNS1_3gpuE0ELNS1_3repE0EEENS1_30default_config_static_selectorELNS0_4arch9wavefront6targetE1EEEvT1_,comdat
.Lfunc_end193:
	.size	_ZN7rocprim17ROCPRIM_400000_NS6detail17trampoline_kernelINS0_14default_configENS1_25partition_config_selectorILNS1_17partition_subalgoE5ElNS0_10empty_typeEbEEZZNS1_14partition_implILS5_5ELb0ES3_mN6hipcub16HIPCUB_304000_NS21CountingInputIteratorIllEEPS6_NSA_22TransformInputIteratorIb7NonZeroIiEPilEENS0_5tupleIJPlS6_EEENSJ_IJSD_SD_EEES6_SK_JS6_EEE10hipError_tPvRmT3_T4_T5_T6_T7_T9_mT8_P12ihipStream_tbDpT10_ENKUlT_T0_E_clISt17integral_constantIbLb1EES16_EEDaS11_S12_EUlS11_E_NS1_11comp_targetILNS1_3genE0ELNS1_11target_archE4294967295ELNS1_3gpuE0ELNS1_3repE0EEENS1_30default_config_static_selectorELNS0_4arch9wavefront6targetE1EEEvT1_, .Lfunc_end193-_ZN7rocprim17ROCPRIM_400000_NS6detail17trampoline_kernelINS0_14default_configENS1_25partition_config_selectorILNS1_17partition_subalgoE5ElNS0_10empty_typeEbEEZZNS1_14partition_implILS5_5ELb0ES3_mN6hipcub16HIPCUB_304000_NS21CountingInputIteratorIllEEPS6_NSA_22TransformInputIteratorIb7NonZeroIiEPilEENS0_5tupleIJPlS6_EEENSJ_IJSD_SD_EEES6_SK_JS6_EEE10hipError_tPvRmT3_T4_T5_T6_T7_T9_mT8_P12ihipStream_tbDpT10_ENKUlT_T0_E_clISt17integral_constantIbLb1EES16_EEDaS11_S12_EUlS11_E_NS1_11comp_targetILNS1_3genE0ELNS1_11target_archE4294967295ELNS1_3gpuE0ELNS1_3repE0EEENS1_30default_config_static_selectorELNS0_4arch9wavefront6targetE1EEEvT1_
                                        ; -- End function
	.set _ZN7rocprim17ROCPRIM_400000_NS6detail17trampoline_kernelINS0_14default_configENS1_25partition_config_selectorILNS1_17partition_subalgoE5ElNS0_10empty_typeEbEEZZNS1_14partition_implILS5_5ELb0ES3_mN6hipcub16HIPCUB_304000_NS21CountingInputIteratorIllEEPS6_NSA_22TransformInputIteratorIb7NonZeroIiEPilEENS0_5tupleIJPlS6_EEENSJ_IJSD_SD_EEES6_SK_JS6_EEE10hipError_tPvRmT3_T4_T5_T6_T7_T9_mT8_P12ihipStream_tbDpT10_ENKUlT_T0_E_clISt17integral_constantIbLb1EES16_EEDaS11_S12_EUlS11_E_NS1_11comp_targetILNS1_3genE0ELNS1_11target_archE4294967295ELNS1_3gpuE0ELNS1_3repE0EEENS1_30default_config_static_selectorELNS0_4arch9wavefront6targetE1EEEvT1_.num_vgpr, 0
	.set _ZN7rocprim17ROCPRIM_400000_NS6detail17trampoline_kernelINS0_14default_configENS1_25partition_config_selectorILNS1_17partition_subalgoE5ElNS0_10empty_typeEbEEZZNS1_14partition_implILS5_5ELb0ES3_mN6hipcub16HIPCUB_304000_NS21CountingInputIteratorIllEEPS6_NSA_22TransformInputIteratorIb7NonZeroIiEPilEENS0_5tupleIJPlS6_EEENSJ_IJSD_SD_EEES6_SK_JS6_EEE10hipError_tPvRmT3_T4_T5_T6_T7_T9_mT8_P12ihipStream_tbDpT10_ENKUlT_T0_E_clISt17integral_constantIbLb1EES16_EEDaS11_S12_EUlS11_E_NS1_11comp_targetILNS1_3genE0ELNS1_11target_archE4294967295ELNS1_3gpuE0ELNS1_3repE0EEENS1_30default_config_static_selectorELNS0_4arch9wavefront6targetE1EEEvT1_.num_agpr, 0
	.set _ZN7rocprim17ROCPRIM_400000_NS6detail17trampoline_kernelINS0_14default_configENS1_25partition_config_selectorILNS1_17partition_subalgoE5ElNS0_10empty_typeEbEEZZNS1_14partition_implILS5_5ELb0ES3_mN6hipcub16HIPCUB_304000_NS21CountingInputIteratorIllEEPS6_NSA_22TransformInputIteratorIb7NonZeroIiEPilEENS0_5tupleIJPlS6_EEENSJ_IJSD_SD_EEES6_SK_JS6_EEE10hipError_tPvRmT3_T4_T5_T6_T7_T9_mT8_P12ihipStream_tbDpT10_ENKUlT_T0_E_clISt17integral_constantIbLb1EES16_EEDaS11_S12_EUlS11_E_NS1_11comp_targetILNS1_3genE0ELNS1_11target_archE4294967295ELNS1_3gpuE0ELNS1_3repE0EEENS1_30default_config_static_selectorELNS0_4arch9wavefront6targetE1EEEvT1_.numbered_sgpr, 0
	.set _ZN7rocprim17ROCPRIM_400000_NS6detail17trampoline_kernelINS0_14default_configENS1_25partition_config_selectorILNS1_17partition_subalgoE5ElNS0_10empty_typeEbEEZZNS1_14partition_implILS5_5ELb0ES3_mN6hipcub16HIPCUB_304000_NS21CountingInputIteratorIllEEPS6_NSA_22TransformInputIteratorIb7NonZeroIiEPilEENS0_5tupleIJPlS6_EEENSJ_IJSD_SD_EEES6_SK_JS6_EEE10hipError_tPvRmT3_T4_T5_T6_T7_T9_mT8_P12ihipStream_tbDpT10_ENKUlT_T0_E_clISt17integral_constantIbLb1EES16_EEDaS11_S12_EUlS11_E_NS1_11comp_targetILNS1_3genE0ELNS1_11target_archE4294967295ELNS1_3gpuE0ELNS1_3repE0EEENS1_30default_config_static_selectorELNS0_4arch9wavefront6targetE1EEEvT1_.num_named_barrier, 0
	.set _ZN7rocprim17ROCPRIM_400000_NS6detail17trampoline_kernelINS0_14default_configENS1_25partition_config_selectorILNS1_17partition_subalgoE5ElNS0_10empty_typeEbEEZZNS1_14partition_implILS5_5ELb0ES3_mN6hipcub16HIPCUB_304000_NS21CountingInputIteratorIllEEPS6_NSA_22TransformInputIteratorIb7NonZeroIiEPilEENS0_5tupleIJPlS6_EEENSJ_IJSD_SD_EEES6_SK_JS6_EEE10hipError_tPvRmT3_T4_T5_T6_T7_T9_mT8_P12ihipStream_tbDpT10_ENKUlT_T0_E_clISt17integral_constantIbLb1EES16_EEDaS11_S12_EUlS11_E_NS1_11comp_targetILNS1_3genE0ELNS1_11target_archE4294967295ELNS1_3gpuE0ELNS1_3repE0EEENS1_30default_config_static_selectorELNS0_4arch9wavefront6targetE1EEEvT1_.private_seg_size, 0
	.set _ZN7rocprim17ROCPRIM_400000_NS6detail17trampoline_kernelINS0_14default_configENS1_25partition_config_selectorILNS1_17partition_subalgoE5ElNS0_10empty_typeEbEEZZNS1_14partition_implILS5_5ELb0ES3_mN6hipcub16HIPCUB_304000_NS21CountingInputIteratorIllEEPS6_NSA_22TransformInputIteratorIb7NonZeroIiEPilEENS0_5tupleIJPlS6_EEENSJ_IJSD_SD_EEES6_SK_JS6_EEE10hipError_tPvRmT3_T4_T5_T6_T7_T9_mT8_P12ihipStream_tbDpT10_ENKUlT_T0_E_clISt17integral_constantIbLb1EES16_EEDaS11_S12_EUlS11_E_NS1_11comp_targetILNS1_3genE0ELNS1_11target_archE4294967295ELNS1_3gpuE0ELNS1_3repE0EEENS1_30default_config_static_selectorELNS0_4arch9wavefront6targetE1EEEvT1_.uses_vcc, 0
	.set _ZN7rocprim17ROCPRIM_400000_NS6detail17trampoline_kernelINS0_14default_configENS1_25partition_config_selectorILNS1_17partition_subalgoE5ElNS0_10empty_typeEbEEZZNS1_14partition_implILS5_5ELb0ES3_mN6hipcub16HIPCUB_304000_NS21CountingInputIteratorIllEEPS6_NSA_22TransformInputIteratorIb7NonZeroIiEPilEENS0_5tupleIJPlS6_EEENSJ_IJSD_SD_EEES6_SK_JS6_EEE10hipError_tPvRmT3_T4_T5_T6_T7_T9_mT8_P12ihipStream_tbDpT10_ENKUlT_T0_E_clISt17integral_constantIbLb1EES16_EEDaS11_S12_EUlS11_E_NS1_11comp_targetILNS1_3genE0ELNS1_11target_archE4294967295ELNS1_3gpuE0ELNS1_3repE0EEENS1_30default_config_static_selectorELNS0_4arch9wavefront6targetE1EEEvT1_.uses_flat_scratch, 0
	.set _ZN7rocprim17ROCPRIM_400000_NS6detail17trampoline_kernelINS0_14default_configENS1_25partition_config_selectorILNS1_17partition_subalgoE5ElNS0_10empty_typeEbEEZZNS1_14partition_implILS5_5ELb0ES3_mN6hipcub16HIPCUB_304000_NS21CountingInputIteratorIllEEPS6_NSA_22TransformInputIteratorIb7NonZeroIiEPilEENS0_5tupleIJPlS6_EEENSJ_IJSD_SD_EEES6_SK_JS6_EEE10hipError_tPvRmT3_T4_T5_T6_T7_T9_mT8_P12ihipStream_tbDpT10_ENKUlT_T0_E_clISt17integral_constantIbLb1EES16_EEDaS11_S12_EUlS11_E_NS1_11comp_targetILNS1_3genE0ELNS1_11target_archE4294967295ELNS1_3gpuE0ELNS1_3repE0EEENS1_30default_config_static_selectorELNS0_4arch9wavefront6targetE1EEEvT1_.has_dyn_sized_stack, 0
	.set _ZN7rocprim17ROCPRIM_400000_NS6detail17trampoline_kernelINS0_14default_configENS1_25partition_config_selectorILNS1_17partition_subalgoE5ElNS0_10empty_typeEbEEZZNS1_14partition_implILS5_5ELb0ES3_mN6hipcub16HIPCUB_304000_NS21CountingInputIteratorIllEEPS6_NSA_22TransformInputIteratorIb7NonZeroIiEPilEENS0_5tupleIJPlS6_EEENSJ_IJSD_SD_EEES6_SK_JS6_EEE10hipError_tPvRmT3_T4_T5_T6_T7_T9_mT8_P12ihipStream_tbDpT10_ENKUlT_T0_E_clISt17integral_constantIbLb1EES16_EEDaS11_S12_EUlS11_E_NS1_11comp_targetILNS1_3genE0ELNS1_11target_archE4294967295ELNS1_3gpuE0ELNS1_3repE0EEENS1_30default_config_static_selectorELNS0_4arch9wavefront6targetE1EEEvT1_.has_recursion, 0
	.set _ZN7rocprim17ROCPRIM_400000_NS6detail17trampoline_kernelINS0_14default_configENS1_25partition_config_selectorILNS1_17partition_subalgoE5ElNS0_10empty_typeEbEEZZNS1_14partition_implILS5_5ELb0ES3_mN6hipcub16HIPCUB_304000_NS21CountingInputIteratorIllEEPS6_NSA_22TransformInputIteratorIb7NonZeroIiEPilEENS0_5tupleIJPlS6_EEENSJ_IJSD_SD_EEES6_SK_JS6_EEE10hipError_tPvRmT3_T4_T5_T6_T7_T9_mT8_P12ihipStream_tbDpT10_ENKUlT_T0_E_clISt17integral_constantIbLb1EES16_EEDaS11_S12_EUlS11_E_NS1_11comp_targetILNS1_3genE0ELNS1_11target_archE4294967295ELNS1_3gpuE0ELNS1_3repE0EEENS1_30default_config_static_selectorELNS0_4arch9wavefront6targetE1EEEvT1_.has_indirect_call, 0
	.section	.AMDGPU.csdata,"",@progbits
; Kernel info:
; codeLenInByte = 0
; TotalNumSgprs: 4
; NumVgprs: 0
; ScratchSize: 0
; MemoryBound: 0
; FloatMode: 240
; IeeeMode: 1
; LDSByteSize: 0 bytes/workgroup (compile time only)
; SGPRBlocks: 0
; VGPRBlocks: 0
; NumSGPRsForWavesPerEU: 4
; NumVGPRsForWavesPerEU: 1
; Occupancy: 10
; WaveLimiterHint : 0
; COMPUTE_PGM_RSRC2:SCRATCH_EN: 0
; COMPUTE_PGM_RSRC2:USER_SGPR: 6
; COMPUTE_PGM_RSRC2:TRAP_HANDLER: 0
; COMPUTE_PGM_RSRC2:TGID_X_EN: 1
; COMPUTE_PGM_RSRC2:TGID_Y_EN: 0
; COMPUTE_PGM_RSRC2:TGID_Z_EN: 0
; COMPUTE_PGM_RSRC2:TIDIG_COMP_CNT: 0
	.section	.text._ZN7rocprim17ROCPRIM_400000_NS6detail17trampoline_kernelINS0_14default_configENS1_25partition_config_selectorILNS1_17partition_subalgoE5ElNS0_10empty_typeEbEEZZNS1_14partition_implILS5_5ELb0ES3_mN6hipcub16HIPCUB_304000_NS21CountingInputIteratorIllEEPS6_NSA_22TransformInputIteratorIb7NonZeroIiEPilEENS0_5tupleIJPlS6_EEENSJ_IJSD_SD_EEES6_SK_JS6_EEE10hipError_tPvRmT3_T4_T5_T6_T7_T9_mT8_P12ihipStream_tbDpT10_ENKUlT_T0_E_clISt17integral_constantIbLb1EES16_EEDaS11_S12_EUlS11_E_NS1_11comp_targetILNS1_3genE5ELNS1_11target_archE942ELNS1_3gpuE9ELNS1_3repE0EEENS1_30default_config_static_selectorELNS0_4arch9wavefront6targetE1EEEvT1_,"axG",@progbits,_ZN7rocprim17ROCPRIM_400000_NS6detail17trampoline_kernelINS0_14default_configENS1_25partition_config_selectorILNS1_17partition_subalgoE5ElNS0_10empty_typeEbEEZZNS1_14partition_implILS5_5ELb0ES3_mN6hipcub16HIPCUB_304000_NS21CountingInputIteratorIllEEPS6_NSA_22TransformInputIteratorIb7NonZeroIiEPilEENS0_5tupleIJPlS6_EEENSJ_IJSD_SD_EEES6_SK_JS6_EEE10hipError_tPvRmT3_T4_T5_T6_T7_T9_mT8_P12ihipStream_tbDpT10_ENKUlT_T0_E_clISt17integral_constantIbLb1EES16_EEDaS11_S12_EUlS11_E_NS1_11comp_targetILNS1_3genE5ELNS1_11target_archE942ELNS1_3gpuE9ELNS1_3repE0EEENS1_30default_config_static_selectorELNS0_4arch9wavefront6targetE1EEEvT1_,comdat
	.protected	_ZN7rocprim17ROCPRIM_400000_NS6detail17trampoline_kernelINS0_14default_configENS1_25partition_config_selectorILNS1_17partition_subalgoE5ElNS0_10empty_typeEbEEZZNS1_14partition_implILS5_5ELb0ES3_mN6hipcub16HIPCUB_304000_NS21CountingInputIteratorIllEEPS6_NSA_22TransformInputIteratorIb7NonZeroIiEPilEENS0_5tupleIJPlS6_EEENSJ_IJSD_SD_EEES6_SK_JS6_EEE10hipError_tPvRmT3_T4_T5_T6_T7_T9_mT8_P12ihipStream_tbDpT10_ENKUlT_T0_E_clISt17integral_constantIbLb1EES16_EEDaS11_S12_EUlS11_E_NS1_11comp_targetILNS1_3genE5ELNS1_11target_archE942ELNS1_3gpuE9ELNS1_3repE0EEENS1_30default_config_static_selectorELNS0_4arch9wavefront6targetE1EEEvT1_ ; -- Begin function _ZN7rocprim17ROCPRIM_400000_NS6detail17trampoline_kernelINS0_14default_configENS1_25partition_config_selectorILNS1_17partition_subalgoE5ElNS0_10empty_typeEbEEZZNS1_14partition_implILS5_5ELb0ES3_mN6hipcub16HIPCUB_304000_NS21CountingInputIteratorIllEEPS6_NSA_22TransformInputIteratorIb7NonZeroIiEPilEENS0_5tupleIJPlS6_EEENSJ_IJSD_SD_EEES6_SK_JS6_EEE10hipError_tPvRmT3_T4_T5_T6_T7_T9_mT8_P12ihipStream_tbDpT10_ENKUlT_T0_E_clISt17integral_constantIbLb1EES16_EEDaS11_S12_EUlS11_E_NS1_11comp_targetILNS1_3genE5ELNS1_11target_archE942ELNS1_3gpuE9ELNS1_3repE0EEENS1_30default_config_static_selectorELNS0_4arch9wavefront6targetE1EEEvT1_
	.globl	_ZN7rocprim17ROCPRIM_400000_NS6detail17trampoline_kernelINS0_14default_configENS1_25partition_config_selectorILNS1_17partition_subalgoE5ElNS0_10empty_typeEbEEZZNS1_14partition_implILS5_5ELb0ES3_mN6hipcub16HIPCUB_304000_NS21CountingInputIteratorIllEEPS6_NSA_22TransformInputIteratorIb7NonZeroIiEPilEENS0_5tupleIJPlS6_EEENSJ_IJSD_SD_EEES6_SK_JS6_EEE10hipError_tPvRmT3_T4_T5_T6_T7_T9_mT8_P12ihipStream_tbDpT10_ENKUlT_T0_E_clISt17integral_constantIbLb1EES16_EEDaS11_S12_EUlS11_E_NS1_11comp_targetILNS1_3genE5ELNS1_11target_archE942ELNS1_3gpuE9ELNS1_3repE0EEENS1_30default_config_static_selectorELNS0_4arch9wavefront6targetE1EEEvT1_
	.p2align	8
	.type	_ZN7rocprim17ROCPRIM_400000_NS6detail17trampoline_kernelINS0_14default_configENS1_25partition_config_selectorILNS1_17partition_subalgoE5ElNS0_10empty_typeEbEEZZNS1_14partition_implILS5_5ELb0ES3_mN6hipcub16HIPCUB_304000_NS21CountingInputIteratorIllEEPS6_NSA_22TransformInputIteratorIb7NonZeroIiEPilEENS0_5tupleIJPlS6_EEENSJ_IJSD_SD_EEES6_SK_JS6_EEE10hipError_tPvRmT3_T4_T5_T6_T7_T9_mT8_P12ihipStream_tbDpT10_ENKUlT_T0_E_clISt17integral_constantIbLb1EES16_EEDaS11_S12_EUlS11_E_NS1_11comp_targetILNS1_3genE5ELNS1_11target_archE942ELNS1_3gpuE9ELNS1_3repE0EEENS1_30default_config_static_selectorELNS0_4arch9wavefront6targetE1EEEvT1_,@function
_ZN7rocprim17ROCPRIM_400000_NS6detail17trampoline_kernelINS0_14default_configENS1_25partition_config_selectorILNS1_17partition_subalgoE5ElNS0_10empty_typeEbEEZZNS1_14partition_implILS5_5ELb0ES3_mN6hipcub16HIPCUB_304000_NS21CountingInputIteratorIllEEPS6_NSA_22TransformInputIteratorIb7NonZeroIiEPilEENS0_5tupleIJPlS6_EEENSJ_IJSD_SD_EEES6_SK_JS6_EEE10hipError_tPvRmT3_T4_T5_T6_T7_T9_mT8_P12ihipStream_tbDpT10_ENKUlT_T0_E_clISt17integral_constantIbLb1EES16_EEDaS11_S12_EUlS11_E_NS1_11comp_targetILNS1_3genE5ELNS1_11target_archE942ELNS1_3gpuE9ELNS1_3repE0EEENS1_30default_config_static_selectorELNS0_4arch9wavefront6targetE1EEEvT1_: ; @_ZN7rocprim17ROCPRIM_400000_NS6detail17trampoline_kernelINS0_14default_configENS1_25partition_config_selectorILNS1_17partition_subalgoE5ElNS0_10empty_typeEbEEZZNS1_14partition_implILS5_5ELb0ES3_mN6hipcub16HIPCUB_304000_NS21CountingInputIteratorIllEEPS6_NSA_22TransformInputIteratorIb7NonZeroIiEPilEENS0_5tupleIJPlS6_EEENSJ_IJSD_SD_EEES6_SK_JS6_EEE10hipError_tPvRmT3_T4_T5_T6_T7_T9_mT8_P12ihipStream_tbDpT10_ENKUlT_T0_E_clISt17integral_constantIbLb1EES16_EEDaS11_S12_EUlS11_E_NS1_11comp_targetILNS1_3genE5ELNS1_11target_archE942ELNS1_3gpuE9ELNS1_3repE0EEENS1_30default_config_static_selectorELNS0_4arch9wavefront6targetE1EEEvT1_
; %bb.0:
	.section	.rodata,"a",@progbits
	.p2align	6, 0x0
	.amdhsa_kernel _ZN7rocprim17ROCPRIM_400000_NS6detail17trampoline_kernelINS0_14default_configENS1_25partition_config_selectorILNS1_17partition_subalgoE5ElNS0_10empty_typeEbEEZZNS1_14partition_implILS5_5ELb0ES3_mN6hipcub16HIPCUB_304000_NS21CountingInputIteratorIllEEPS6_NSA_22TransformInputIteratorIb7NonZeroIiEPilEENS0_5tupleIJPlS6_EEENSJ_IJSD_SD_EEES6_SK_JS6_EEE10hipError_tPvRmT3_T4_T5_T6_T7_T9_mT8_P12ihipStream_tbDpT10_ENKUlT_T0_E_clISt17integral_constantIbLb1EES16_EEDaS11_S12_EUlS11_E_NS1_11comp_targetILNS1_3genE5ELNS1_11target_archE942ELNS1_3gpuE9ELNS1_3repE0EEENS1_30default_config_static_selectorELNS0_4arch9wavefront6targetE1EEEvT1_
		.amdhsa_group_segment_fixed_size 0
		.amdhsa_private_segment_fixed_size 0
		.amdhsa_kernarg_size 136
		.amdhsa_user_sgpr_count 6
		.amdhsa_user_sgpr_private_segment_buffer 1
		.amdhsa_user_sgpr_dispatch_ptr 0
		.amdhsa_user_sgpr_queue_ptr 0
		.amdhsa_user_sgpr_kernarg_segment_ptr 1
		.amdhsa_user_sgpr_dispatch_id 0
		.amdhsa_user_sgpr_flat_scratch_init 0
		.amdhsa_user_sgpr_private_segment_size 0
		.amdhsa_uses_dynamic_stack 0
		.amdhsa_system_sgpr_private_segment_wavefront_offset 0
		.amdhsa_system_sgpr_workgroup_id_x 1
		.amdhsa_system_sgpr_workgroup_id_y 0
		.amdhsa_system_sgpr_workgroup_id_z 0
		.amdhsa_system_sgpr_workgroup_info 0
		.amdhsa_system_vgpr_workitem_id 0
		.amdhsa_next_free_vgpr 1
		.amdhsa_next_free_sgpr 0
		.amdhsa_reserve_vcc 0
		.amdhsa_reserve_flat_scratch 0
		.amdhsa_float_round_mode_32 0
		.amdhsa_float_round_mode_16_64 0
		.amdhsa_float_denorm_mode_32 3
		.amdhsa_float_denorm_mode_16_64 3
		.amdhsa_dx10_clamp 1
		.amdhsa_ieee_mode 1
		.amdhsa_fp16_overflow 0
		.amdhsa_exception_fp_ieee_invalid_op 0
		.amdhsa_exception_fp_denorm_src 0
		.amdhsa_exception_fp_ieee_div_zero 0
		.amdhsa_exception_fp_ieee_overflow 0
		.amdhsa_exception_fp_ieee_underflow 0
		.amdhsa_exception_fp_ieee_inexact 0
		.amdhsa_exception_int_div_zero 0
	.end_amdhsa_kernel
	.section	.text._ZN7rocprim17ROCPRIM_400000_NS6detail17trampoline_kernelINS0_14default_configENS1_25partition_config_selectorILNS1_17partition_subalgoE5ElNS0_10empty_typeEbEEZZNS1_14partition_implILS5_5ELb0ES3_mN6hipcub16HIPCUB_304000_NS21CountingInputIteratorIllEEPS6_NSA_22TransformInputIteratorIb7NonZeroIiEPilEENS0_5tupleIJPlS6_EEENSJ_IJSD_SD_EEES6_SK_JS6_EEE10hipError_tPvRmT3_T4_T5_T6_T7_T9_mT8_P12ihipStream_tbDpT10_ENKUlT_T0_E_clISt17integral_constantIbLb1EES16_EEDaS11_S12_EUlS11_E_NS1_11comp_targetILNS1_3genE5ELNS1_11target_archE942ELNS1_3gpuE9ELNS1_3repE0EEENS1_30default_config_static_selectorELNS0_4arch9wavefront6targetE1EEEvT1_,"axG",@progbits,_ZN7rocprim17ROCPRIM_400000_NS6detail17trampoline_kernelINS0_14default_configENS1_25partition_config_selectorILNS1_17partition_subalgoE5ElNS0_10empty_typeEbEEZZNS1_14partition_implILS5_5ELb0ES3_mN6hipcub16HIPCUB_304000_NS21CountingInputIteratorIllEEPS6_NSA_22TransformInputIteratorIb7NonZeroIiEPilEENS0_5tupleIJPlS6_EEENSJ_IJSD_SD_EEES6_SK_JS6_EEE10hipError_tPvRmT3_T4_T5_T6_T7_T9_mT8_P12ihipStream_tbDpT10_ENKUlT_T0_E_clISt17integral_constantIbLb1EES16_EEDaS11_S12_EUlS11_E_NS1_11comp_targetILNS1_3genE5ELNS1_11target_archE942ELNS1_3gpuE9ELNS1_3repE0EEENS1_30default_config_static_selectorELNS0_4arch9wavefront6targetE1EEEvT1_,comdat
.Lfunc_end194:
	.size	_ZN7rocprim17ROCPRIM_400000_NS6detail17trampoline_kernelINS0_14default_configENS1_25partition_config_selectorILNS1_17partition_subalgoE5ElNS0_10empty_typeEbEEZZNS1_14partition_implILS5_5ELb0ES3_mN6hipcub16HIPCUB_304000_NS21CountingInputIteratorIllEEPS6_NSA_22TransformInputIteratorIb7NonZeroIiEPilEENS0_5tupleIJPlS6_EEENSJ_IJSD_SD_EEES6_SK_JS6_EEE10hipError_tPvRmT3_T4_T5_T6_T7_T9_mT8_P12ihipStream_tbDpT10_ENKUlT_T0_E_clISt17integral_constantIbLb1EES16_EEDaS11_S12_EUlS11_E_NS1_11comp_targetILNS1_3genE5ELNS1_11target_archE942ELNS1_3gpuE9ELNS1_3repE0EEENS1_30default_config_static_selectorELNS0_4arch9wavefront6targetE1EEEvT1_, .Lfunc_end194-_ZN7rocprim17ROCPRIM_400000_NS6detail17trampoline_kernelINS0_14default_configENS1_25partition_config_selectorILNS1_17partition_subalgoE5ElNS0_10empty_typeEbEEZZNS1_14partition_implILS5_5ELb0ES3_mN6hipcub16HIPCUB_304000_NS21CountingInputIteratorIllEEPS6_NSA_22TransformInputIteratorIb7NonZeroIiEPilEENS0_5tupleIJPlS6_EEENSJ_IJSD_SD_EEES6_SK_JS6_EEE10hipError_tPvRmT3_T4_T5_T6_T7_T9_mT8_P12ihipStream_tbDpT10_ENKUlT_T0_E_clISt17integral_constantIbLb1EES16_EEDaS11_S12_EUlS11_E_NS1_11comp_targetILNS1_3genE5ELNS1_11target_archE942ELNS1_3gpuE9ELNS1_3repE0EEENS1_30default_config_static_selectorELNS0_4arch9wavefront6targetE1EEEvT1_
                                        ; -- End function
	.set _ZN7rocprim17ROCPRIM_400000_NS6detail17trampoline_kernelINS0_14default_configENS1_25partition_config_selectorILNS1_17partition_subalgoE5ElNS0_10empty_typeEbEEZZNS1_14partition_implILS5_5ELb0ES3_mN6hipcub16HIPCUB_304000_NS21CountingInputIteratorIllEEPS6_NSA_22TransformInputIteratorIb7NonZeroIiEPilEENS0_5tupleIJPlS6_EEENSJ_IJSD_SD_EEES6_SK_JS6_EEE10hipError_tPvRmT3_T4_T5_T6_T7_T9_mT8_P12ihipStream_tbDpT10_ENKUlT_T0_E_clISt17integral_constantIbLb1EES16_EEDaS11_S12_EUlS11_E_NS1_11comp_targetILNS1_3genE5ELNS1_11target_archE942ELNS1_3gpuE9ELNS1_3repE0EEENS1_30default_config_static_selectorELNS0_4arch9wavefront6targetE1EEEvT1_.num_vgpr, 0
	.set _ZN7rocprim17ROCPRIM_400000_NS6detail17trampoline_kernelINS0_14default_configENS1_25partition_config_selectorILNS1_17partition_subalgoE5ElNS0_10empty_typeEbEEZZNS1_14partition_implILS5_5ELb0ES3_mN6hipcub16HIPCUB_304000_NS21CountingInputIteratorIllEEPS6_NSA_22TransformInputIteratorIb7NonZeroIiEPilEENS0_5tupleIJPlS6_EEENSJ_IJSD_SD_EEES6_SK_JS6_EEE10hipError_tPvRmT3_T4_T5_T6_T7_T9_mT8_P12ihipStream_tbDpT10_ENKUlT_T0_E_clISt17integral_constantIbLb1EES16_EEDaS11_S12_EUlS11_E_NS1_11comp_targetILNS1_3genE5ELNS1_11target_archE942ELNS1_3gpuE9ELNS1_3repE0EEENS1_30default_config_static_selectorELNS0_4arch9wavefront6targetE1EEEvT1_.num_agpr, 0
	.set _ZN7rocprim17ROCPRIM_400000_NS6detail17trampoline_kernelINS0_14default_configENS1_25partition_config_selectorILNS1_17partition_subalgoE5ElNS0_10empty_typeEbEEZZNS1_14partition_implILS5_5ELb0ES3_mN6hipcub16HIPCUB_304000_NS21CountingInputIteratorIllEEPS6_NSA_22TransformInputIteratorIb7NonZeroIiEPilEENS0_5tupleIJPlS6_EEENSJ_IJSD_SD_EEES6_SK_JS6_EEE10hipError_tPvRmT3_T4_T5_T6_T7_T9_mT8_P12ihipStream_tbDpT10_ENKUlT_T0_E_clISt17integral_constantIbLb1EES16_EEDaS11_S12_EUlS11_E_NS1_11comp_targetILNS1_3genE5ELNS1_11target_archE942ELNS1_3gpuE9ELNS1_3repE0EEENS1_30default_config_static_selectorELNS0_4arch9wavefront6targetE1EEEvT1_.numbered_sgpr, 0
	.set _ZN7rocprim17ROCPRIM_400000_NS6detail17trampoline_kernelINS0_14default_configENS1_25partition_config_selectorILNS1_17partition_subalgoE5ElNS0_10empty_typeEbEEZZNS1_14partition_implILS5_5ELb0ES3_mN6hipcub16HIPCUB_304000_NS21CountingInputIteratorIllEEPS6_NSA_22TransformInputIteratorIb7NonZeroIiEPilEENS0_5tupleIJPlS6_EEENSJ_IJSD_SD_EEES6_SK_JS6_EEE10hipError_tPvRmT3_T4_T5_T6_T7_T9_mT8_P12ihipStream_tbDpT10_ENKUlT_T0_E_clISt17integral_constantIbLb1EES16_EEDaS11_S12_EUlS11_E_NS1_11comp_targetILNS1_3genE5ELNS1_11target_archE942ELNS1_3gpuE9ELNS1_3repE0EEENS1_30default_config_static_selectorELNS0_4arch9wavefront6targetE1EEEvT1_.num_named_barrier, 0
	.set _ZN7rocprim17ROCPRIM_400000_NS6detail17trampoline_kernelINS0_14default_configENS1_25partition_config_selectorILNS1_17partition_subalgoE5ElNS0_10empty_typeEbEEZZNS1_14partition_implILS5_5ELb0ES3_mN6hipcub16HIPCUB_304000_NS21CountingInputIteratorIllEEPS6_NSA_22TransformInputIteratorIb7NonZeroIiEPilEENS0_5tupleIJPlS6_EEENSJ_IJSD_SD_EEES6_SK_JS6_EEE10hipError_tPvRmT3_T4_T5_T6_T7_T9_mT8_P12ihipStream_tbDpT10_ENKUlT_T0_E_clISt17integral_constantIbLb1EES16_EEDaS11_S12_EUlS11_E_NS1_11comp_targetILNS1_3genE5ELNS1_11target_archE942ELNS1_3gpuE9ELNS1_3repE0EEENS1_30default_config_static_selectorELNS0_4arch9wavefront6targetE1EEEvT1_.private_seg_size, 0
	.set _ZN7rocprim17ROCPRIM_400000_NS6detail17trampoline_kernelINS0_14default_configENS1_25partition_config_selectorILNS1_17partition_subalgoE5ElNS0_10empty_typeEbEEZZNS1_14partition_implILS5_5ELb0ES3_mN6hipcub16HIPCUB_304000_NS21CountingInputIteratorIllEEPS6_NSA_22TransformInputIteratorIb7NonZeroIiEPilEENS0_5tupleIJPlS6_EEENSJ_IJSD_SD_EEES6_SK_JS6_EEE10hipError_tPvRmT3_T4_T5_T6_T7_T9_mT8_P12ihipStream_tbDpT10_ENKUlT_T0_E_clISt17integral_constantIbLb1EES16_EEDaS11_S12_EUlS11_E_NS1_11comp_targetILNS1_3genE5ELNS1_11target_archE942ELNS1_3gpuE9ELNS1_3repE0EEENS1_30default_config_static_selectorELNS0_4arch9wavefront6targetE1EEEvT1_.uses_vcc, 0
	.set _ZN7rocprim17ROCPRIM_400000_NS6detail17trampoline_kernelINS0_14default_configENS1_25partition_config_selectorILNS1_17partition_subalgoE5ElNS0_10empty_typeEbEEZZNS1_14partition_implILS5_5ELb0ES3_mN6hipcub16HIPCUB_304000_NS21CountingInputIteratorIllEEPS6_NSA_22TransformInputIteratorIb7NonZeroIiEPilEENS0_5tupleIJPlS6_EEENSJ_IJSD_SD_EEES6_SK_JS6_EEE10hipError_tPvRmT3_T4_T5_T6_T7_T9_mT8_P12ihipStream_tbDpT10_ENKUlT_T0_E_clISt17integral_constantIbLb1EES16_EEDaS11_S12_EUlS11_E_NS1_11comp_targetILNS1_3genE5ELNS1_11target_archE942ELNS1_3gpuE9ELNS1_3repE0EEENS1_30default_config_static_selectorELNS0_4arch9wavefront6targetE1EEEvT1_.uses_flat_scratch, 0
	.set _ZN7rocprim17ROCPRIM_400000_NS6detail17trampoline_kernelINS0_14default_configENS1_25partition_config_selectorILNS1_17partition_subalgoE5ElNS0_10empty_typeEbEEZZNS1_14partition_implILS5_5ELb0ES3_mN6hipcub16HIPCUB_304000_NS21CountingInputIteratorIllEEPS6_NSA_22TransformInputIteratorIb7NonZeroIiEPilEENS0_5tupleIJPlS6_EEENSJ_IJSD_SD_EEES6_SK_JS6_EEE10hipError_tPvRmT3_T4_T5_T6_T7_T9_mT8_P12ihipStream_tbDpT10_ENKUlT_T0_E_clISt17integral_constantIbLb1EES16_EEDaS11_S12_EUlS11_E_NS1_11comp_targetILNS1_3genE5ELNS1_11target_archE942ELNS1_3gpuE9ELNS1_3repE0EEENS1_30default_config_static_selectorELNS0_4arch9wavefront6targetE1EEEvT1_.has_dyn_sized_stack, 0
	.set _ZN7rocprim17ROCPRIM_400000_NS6detail17trampoline_kernelINS0_14default_configENS1_25partition_config_selectorILNS1_17partition_subalgoE5ElNS0_10empty_typeEbEEZZNS1_14partition_implILS5_5ELb0ES3_mN6hipcub16HIPCUB_304000_NS21CountingInputIteratorIllEEPS6_NSA_22TransformInputIteratorIb7NonZeroIiEPilEENS0_5tupleIJPlS6_EEENSJ_IJSD_SD_EEES6_SK_JS6_EEE10hipError_tPvRmT3_T4_T5_T6_T7_T9_mT8_P12ihipStream_tbDpT10_ENKUlT_T0_E_clISt17integral_constantIbLb1EES16_EEDaS11_S12_EUlS11_E_NS1_11comp_targetILNS1_3genE5ELNS1_11target_archE942ELNS1_3gpuE9ELNS1_3repE0EEENS1_30default_config_static_selectorELNS0_4arch9wavefront6targetE1EEEvT1_.has_recursion, 0
	.set _ZN7rocprim17ROCPRIM_400000_NS6detail17trampoline_kernelINS0_14default_configENS1_25partition_config_selectorILNS1_17partition_subalgoE5ElNS0_10empty_typeEbEEZZNS1_14partition_implILS5_5ELb0ES3_mN6hipcub16HIPCUB_304000_NS21CountingInputIteratorIllEEPS6_NSA_22TransformInputIteratorIb7NonZeroIiEPilEENS0_5tupleIJPlS6_EEENSJ_IJSD_SD_EEES6_SK_JS6_EEE10hipError_tPvRmT3_T4_T5_T6_T7_T9_mT8_P12ihipStream_tbDpT10_ENKUlT_T0_E_clISt17integral_constantIbLb1EES16_EEDaS11_S12_EUlS11_E_NS1_11comp_targetILNS1_3genE5ELNS1_11target_archE942ELNS1_3gpuE9ELNS1_3repE0EEENS1_30default_config_static_selectorELNS0_4arch9wavefront6targetE1EEEvT1_.has_indirect_call, 0
	.section	.AMDGPU.csdata,"",@progbits
; Kernel info:
; codeLenInByte = 0
; TotalNumSgprs: 4
; NumVgprs: 0
; ScratchSize: 0
; MemoryBound: 0
; FloatMode: 240
; IeeeMode: 1
; LDSByteSize: 0 bytes/workgroup (compile time only)
; SGPRBlocks: 0
; VGPRBlocks: 0
; NumSGPRsForWavesPerEU: 4
; NumVGPRsForWavesPerEU: 1
; Occupancy: 10
; WaveLimiterHint : 0
; COMPUTE_PGM_RSRC2:SCRATCH_EN: 0
; COMPUTE_PGM_RSRC2:USER_SGPR: 6
; COMPUTE_PGM_RSRC2:TRAP_HANDLER: 0
; COMPUTE_PGM_RSRC2:TGID_X_EN: 1
; COMPUTE_PGM_RSRC2:TGID_Y_EN: 0
; COMPUTE_PGM_RSRC2:TGID_Z_EN: 0
; COMPUTE_PGM_RSRC2:TIDIG_COMP_CNT: 0
	.section	.text._ZN7rocprim17ROCPRIM_400000_NS6detail17trampoline_kernelINS0_14default_configENS1_25partition_config_selectorILNS1_17partition_subalgoE5ElNS0_10empty_typeEbEEZZNS1_14partition_implILS5_5ELb0ES3_mN6hipcub16HIPCUB_304000_NS21CountingInputIteratorIllEEPS6_NSA_22TransformInputIteratorIb7NonZeroIiEPilEENS0_5tupleIJPlS6_EEENSJ_IJSD_SD_EEES6_SK_JS6_EEE10hipError_tPvRmT3_T4_T5_T6_T7_T9_mT8_P12ihipStream_tbDpT10_ENKUlT_T0_E_clISt17integral_constantIbLb1EES16_EEDaS11_S12_EUlS11_E_NS1_11comp_targetILNS1_3genE4ELNS1_11target_archE910ELNS1_3gpuE8ELNS1_3repE0EEENS1_30default_config_static_selectorELNS0_4arch9wavefront6targetE1EEEvT1_,"axG",@progbits,_ZN7rocprim17ROCPRIM_400000_NS6detail17trampoline_kernelINS0_14default_configENS1_25partition_config_selectorILNS1_17partition_subalgoE5ElNS0_10empty_typeEbEEZZNS1_14partition_implILS5_5ELb0ES3_mN6hipcub16HIPCUB_304000_NS21CountingInputIteratorIllEEPS6_NSA_22TransformInputIteratorIb7NonZeroIiEPilEENS0_5tupleIJPlS6_EEENSJ_IJSD_SD_EEES6_SK_JS6_EEE10hipError_tPvRmT3_T4_T5_T6_T7_T9_mT8_P12ihipStream_tbDpT10_ENKUlT_T0_E_clISt17integral_constantIbLb1EES16_EEDaS11_S12_EUlS11_E_NS1_11comp_targetILNS1_3genE4ELNS1_11target_archE910ELNS1_3gpuE8ELNS1_3repE0EEENS1_30default_config_static_selectorELNS0_4arch9wavefront6targetE1EEEvT1_,comdat
	.protected	_ZN7rocprim17ROCPRIM_400000_NS6detail17trampoline_kernelINS0_14default_configENS1_25partition_config_selectorILNS1_17partition_subalgoE5ElNS0_10empty_typeEbEEZZNS1_14partition_implILS5_5ELb0ES3_mN6hipcub16HIPCUB_304000_NS21CountingInputIteratorIllEEPS6_NSA_22TransformInputIteratorIb7NonZeroIiEPilEENS0_5tupleIJPlS6_EEENSJ_IJSD_SD_EEES6_SK_JS6_EEE10hipError_tPvRmT3_T4_T5_T6_T7_T9_mT8_P12ihipStream_tbDpT10_ENKUlT_T0_E_clISt17integral_constantIbLb1EES16_EEDaS11_S12_EUlS11_E_NS1_11comp_targetILNS1_3genE4ELNS1_11target_archE910ELNS1_3gpuE8ELNS1_3repE0EEENS1_30default_config_static_selectorELNS0_4arch9wavefront6targetE1EEEvT1_ ; -- Begin function _ZN7rocprim17ROCPRIM_400000_NS6detail17trampoline_kernelINS0_14default_configENS1_25partition_config_selectorILNS1_17partition_subalgoE5ElNS0_10empty_typeEbEEZZNS1_14partition_implILS5_5ELb0ES3_mN6hipcub16HIPCUB_304000_NS21CountingInputIteratorIllEEPS6_NSA_22TransformInputIteratorIb7NonZeroIiEPilEENS0_5tupleIJPlS6_EEENSJ_IJSD_SD_EEES6_SK_JS6_EEE10hipError_tPvRmT3_T4_T5_T6_T7_T9_mT8_P12ihipStream_tbDpT10_ENKUlT_T0_E_clISt17integral_constantIbLb1EES16_EEDaS11_S12_EUlS11_E_NS1_11comp_targetILNS1_3genE4ELNS1_11target_archE910ELNS1_3gpuE8ELNS1_3repE0EEENS1_30default_config_static_selectorELNS0_4arch9wavefront6targetE1EEEvT1_
	.globl	_ZN7rocprim17ROCPRIM_400000_NS6detail17trampoline_kernelINS0_14default_configENS1_25partition_config_selectorILNS1_17partition_subalgoE5ElNS0_10empty_typeEbEEZZNS1_14partition_implILS5_5ELb0ES3_mN6hipcub16HIPCUB_304000_NS21CountingInputIteratorIllEEPS6_NSA_22TransformInputIteratorIb7NonZeroIiEPilEENS0_5tupleIJPlS6_EEENSJ_IJSD_SD_EEES6_SK_JS6_EEE10hipError_tPvRmT3_T4_T5_T6_T7_T9_mT8_P12ihipStream_tbDpT10_ENKUlT_T0_E_clISt17integral_constantIbLb1EES16_EEDaS11_S12_EUlS11_E_NS1_11comp_targetILNS1_3genE4ELNS1_11target_archE910ELNS1_3gpuE8ELNS1_3repE0EEENS1_30default_config_static_selectorELNS0_4arch9wavefront6targetE1EEEvT1_
	.p2align	8
	.type	_ZN7rocprim17ROCPRIM_400000_NS6detail17trampoline_kernelINS0_14default_configENS1_25partition_config_selectorILNS1_17partition_subalgoE5ElNS0_10empty_typeEbEEZZNS1_14partition_implILS5_5ELb0ES3_mN6hipcub16HIPCUB_304000_NS21CountingInputIteratorIllEEPS6_NSA_22TransformInputIteratorIb7NonZeroIiEPilEENS0_5tupleIJPlS6_EEENSJ_IJSD_SD_EEES6_SK_JS6_EEE10hipError_tPvRmT3_T4_T5_T6_T7_T9_mT8_P12ihipStream_tbDpT10_ENKUlT_T0_E_clISt17integral_constantIbLb1EES16_EEDaS11_S12_EUlS11_E_NS1_11comp_targetILNS1_3genE4ELNS1_11target_archE910ELNS1_3gpuE8ELNS1_3repE0EEENS1_30default_config_static_selectorELNS0_4arch9wavefront6targetE1EEEvT1_,@function
_ZN7rocprim17ROCPRIM_400000_NS6detail17trampoline_kernelINS0_14default_configENS1_25partition_config_selectorILNS1_17partition_subalgoE5ElNS0_10empty_typeEbEEZZNS1_14partition_implILS5_5ELb0ES3_mN6hipcub16HIPCUB_304000_NS21CountingInputIteratorIllEEPS6_NSA_22TransformInputIteratorIb7NonZeroIiEPilEENS0_5tupleIJPlS6_EEENSJ_IJSD_SD_EEES6_SK_JS6_EEE10hipError_tPvRmT3_T4_T5_T6_T7_T9_mT8_P12ihipStream_tbDpT10_ENKUlT_T0_E_clISt17integral_constantIbLb1EES16_EEDaS11_S12_EUlS11_E_NS1_11comp_targetILNS1_3genE4ELNS1_11target_archE910ELNS1_3gpuE8ELNS1_3repE0EEENS1_30default_config_static_selectorELNS0_4arch9wavefront6targetE1EEEvT1_: ; @_ZN7rocprim17ROCPRIM_400000_NS6detail17trampoline_kernelINS0_14default_configENS1_25partition_config_selectorILNS1_17partition_subalgoE5ElNS0_10empty_typeEbEEZZNS1_14partition_implILS5_5ELb0ES3_mN6hipcub16HIPCUB_304000_NS21CountingInputIteratorIllEEPS6_NSA_22TransformInputIteratorIb7NonZeroIiEPilEENS0_5tupleIJPlS6_EEENSJ_IJSD_SD_EEES6_SK_JS6_EEE10hipError_tPvRmT3_T4_T5_T6_T7_T9_mT8_P12ihipStream_tbDpT10_ENKUlT_T0_E_clISt17integral_constantIbLb1EES16_EEDaS11_S12_EUlS11_E_NS1_11comp_targetILNS1_3genE4ELNS1_11target_archE910ELNS1_3gpuE8ELNS1_3repE0EEENS1_30default_config_static_selectorELNS0_4arch9wavefront6targetE1EEEvT1_
; %bb.0:
	.section	.rodata,"a",@progbits
	.p2align	6, 0x0
	.amdhsa_kernel _ZN7rocprim17ROCPRIM_400000_NS6detail17trampoline_kernelINS0_14default_configENS1_25partition_config_selectorILNS1_17partition_subalgoE5ElNS0_10empty_typeEbEEZZNS1_14partition_implILS5_5ELb0ES3_mN6hipcub16HIPCUB_304000_NS21CountingInputIteratorIllEEPS6_NSA_22TransformInputIteratorIb7NonZeroIiEPilEENS0_5tupleIJPlS6_EEENSJ_IJSD_SD_EEES6_SK_JS6_EEE10hipError_tPvRmT3_T4_T5_T6_T7_T9_mT8_P12ihipStream_tbDpT10_ENKUlT_T0_E_clISt17integral_constantIbLb1EES16_EEDaS11_S12_EUlS11_E_NS1_11comp_targetILNS1_3genE4ELNS1_11target_archE910ELNS1_3gpuE8ELNS1_3repE0EEENS1_30default_config_static_selectorELNS0_4arch9wavefront6targetE1EEEvT1_
		.amdhsa_group_segment_fixed_size 0
		.amdhsa_private_segment_fixed_size 0
		.amdhsa_kernarg_size 136
		.amdhsa_user_sgpr_count 6
		.amdhsa_user_sgpr_private_segment_buffer 1
		.amdhsa_user_sgpr_dispatch_ptr 0
		.amdhsa_user_sgpr_queue_ptr 0
		.amdhsa_user_sgpr_kernarg_segment_ptr 1
		.amdhsa_user_sgpr_dispatch_id 0
		.amdhsa_user_sgpr_flat_scratch_init 0
		.amdhsa_user_sgpr_private_segment_size 0
		.amdhsa_uses_dynamic_stack 0
		.amdhsa_system_sgpr_private_segment_wavefront_offset 0
		.amdhsa_system_sgpr_workgroup_id_x 1
		.amdhsa_system_sgpr_workgroup_id_y 0
		.amdhsa_system_sgpr_workgroup_id_z 0
		.amdhsa_system_sgpr_workgroup_info 0
		.amdhsa_system_vgpr_workitem_id 0
		.amdhsa_next_free_vgpr 1
		.amdhsa_next_free_sgpr 0
		.amdhsa_reserve_vcc 0
		.amdhsa_reserve_flat_scratch 0
		.amdhsa_float_round_mode_32 0
		.amdhsa_float_round_mode_16_64 0
		.amdhsa_float_denorm_mode_32 3
		.amdhsa_float_denorm_mode_16_64 3
		.amdhsa_dx10_clamp 1
		.amdhsa_ieee_mode 1
		.amdhsa_fp16_overflow 0
		.amdhsa_exception_fp_ieee_invalid_op 0
		.amdhsa_exception_fp_denorm_src 0
		.amdhsa_exception_fp_ieee_div_zero 0
		.amdhsa_exception_fp_ieee_overflow 0
		.amdhsa_exception_fp_ieee_underflow 0
		.amdhsa_exception_fp_ieee_inexact 0
		.amdhsa_exception_int_div_zero 0
	.end_amdhsa_kernel
	.section	.text._ZN7rocprim17ROCPRIM_400000_NS6detail17trampoline_kernelINS0_14default_configENS1_25partition_config_selectorILNS1_17partition_subalgoE5ElNS0_10empty_typeEbEEZZNS1_14partition_implILS5_5ELb0ES3_mN6hipcub16HIPCUB_304000_NS21CountingInputIteratorIllEEPS6_NSA_22TransformInputIteratorIb7NonZeroIiEPilEENS0_5tupleIJPlS6_EEENSJ_IJSD_SD_EEES6_SK_JS6_EEE10hipError_tPvRmT3_T4_T5_T6_T7_T9_mT8_P12ihipStream_tbDpT10_ENKUlT_T0_E_clISt17integral_constantIbLb1EES16_EEDaS11_S12_EUlS11_E_NS1_11comp_targetILNS1_3genE4ELNS1_11target_archE910ELNS1_3gpuE8ELNS1_3repE0EEENS1_30default_config_static_selectorELNS0_4arch9wavefront6targetE1EEEvT1_,"axG",@progbits,_ZN7rocprim17ROCPRIM_400000_NS6detail17trampoline_kernelINS0_14default_configENS1_25partition_config_selectorILNS1_17partition_subalgoE5ElNS0_10empty_typeEbEEZZNS1_14partition_implILS5_5ELb0ES3_mN6hipcub16HIPCUB_304000_NS21CountingInputIteratorIllEEPS6_NSA_22TransformInputIteratorIb7NonZeroIiEPilEENS0_5tupleIJPlS6_EEENSJ_IJSD_SD_EEES6_SK_JS6_EEE10hipError_tPvRmT3_T4_T5_T6_T7_T9_mT8_P12ihipStream_tbDpT10_ENKUlT_T0_E_clISt17integral_constantIbLb1EES16_EEDaS11_S12_EUlS11_E_NS1_11comp_targetILNS1_3genE4ELNS1_11target_archE910ELNS1_3gpuE8ELNS1_3repE0EEENS1_30default_config_static_selectorELNS0_4arch9wavefront6targetE1EEEvT1_,comdat
.Lfunc_end195:
	.size	_ZN7rocprim17ROCPRIM_400000_NS6detail17trampoline_kernelINS0_14default_configENS1_25partition_config_selectorILNS1_17partition_subalgoE5ElNS0_10empty_typeEbEEZZNS1_14partition_implILS5_5ELb0ES3_mN6hipcub16HIPCUB_304000_NS21CountingInputIteratorIllEEPS6_NSA_22TransformInputIteratorIb7NonZeroIiEPilEENS0_5tupleIJPlS6_EEENSJ_IJSD_SD_EEES6_SK_JS6_EEE10hipError_tPvRmT3_T4_T5_T6_T7_T9_mT8_P12ihipStream_tbDpT10_ENKUlT_T0_E_clISt17integral_constantIbLb1EES16_EEDaS11_S12_EUlS11_E_NS1_11comp_targetILNS1_3genE4ELNS1_11target_archE910ELNS1_3gpuE8ELNS1_3repE0EEENS1_30default_config_static_selectorELNS0_4arch9wavefront6targetE1EEEvT1_, .Lfunc_end195-_ZN7rocprim17ROCPRIM_400000_NS6detail17trampoline_kernelINS0_14default_configENS1_25partition_config_selectorILNS1_17partition_subalgoE5ElNS0_10empty_typeEbEEZZNS1_14partition_implILS5_5ELb0ES3_mN6hipcub16HIPCUB_304000_NS21CountingInputIteratorIllEEPS6_NSA_22TransformInputIteratorIb7NonZeroIiEPilEENS0_5tupleIJPlS6_EEENSJ_IJSD_SD_EEES6_SK_JS6_EEE10hipError_tPvRmT3_T4_T5_T6_T7_T9_mT8_P12ihipStream_tbDpT10_ENKUlT_T0_E_clISt17integral_constantIbLb1EES16_EEDaS11_S12_EUlS11_E_NS1_11comp_targetILNS1_3genE4ELNS1_11target_archE910ELNS1_3gpuE8ELNS1_3repE0EEENS1_30default_config_static_selectorELNS0_4arch9wavefront6targetE1EEEvT1_
                                        ; -- End function
	.set _ZN7rocprim17ROCPRIM_400000_NS6detail17trampoline_kernelINS0_14default_configENS1_25partition_config_selectorILNS1_17partition_subalgoE5ElNS0_10empty_typeEbEEZZNS1_14partition_implILS5_5ELb0ES3_mN6hipcub16HIPCUB_304000_NS21CountingInputIteratorIllEEPS6_NSA_22TransformInputIteratorIb7NonZeroIiEPilEENS0_5tupleIJPlS6_EEENSJ_IJSD_SD_EEES6_SK_JS6_EEE10hipError_tPvRmT3_T4_T5_T6_T7_T9_mT8_P12ihipStream_tbDpT10_ENKUlT_T0_E_clISt17integral_constantIbLb1EES16_EEDaS11_S12_EUlS11_E_NS1_11comp_targetILNS1_3genE4ELNS1_11target_archE910ELNS1_3gpuE8ELNS1_3repE0EEENS1_30default_config_static_selectorELNS0_4arch9wavefront6targetE1EEEvT1_.num_vgpr, 0
	.set _ZN7rocprim17ROCPRIM_400000_NS6detail17trampoline_kernelINS0_14default_configENS1_25partition_config_selectorILNS1_17partition_subalgoE5ElNS0_10empty_typeEbEEZZNS1_14partition_implILS5_5ELb0ES3_mN6hipcub16HIPCUB_304000_NS21CountingInputIteratorIllEEPS6_NSA_22TransformInputIteratorIb7NonZeroIiEPilEENS0_5tupleIJPlS6_EEENSJ_IJSD_SD_EEES6_SK_JS6_EEE10hipError_tPvRmT3_T4_T5_T6_T7_T9_mT8_P12ihipStream_tbDpT10_ENKUlT_T0_E_clISt17integral_constantIbLb1EES16_EEDaS11_S12_EUlS11_E_NS1_11comp_targetILNS1_3genE4ELNS1_11target_archE910ELNS1_3gpuE8ELNS1_3repE0EEENS1_30default_config_static_selectorELNS0_4arch9wavefront6targetE1EEEvT1_.num_agpr, 0
	.set _ZN7rocprim17ROCPRIM_400000_NS6detail17trampoline_kernelINS0_14default_configENS1_25partition_config_selectorILNS1_17partition_subalgoE5ElNS0_10empty_typeEbEEZZNS1_14partition_implILS5_5ELb0ES3_mN6hipcub16HIPCUB_304000_NS21CountingInputIteratorIllEEPS6_NSA_22TransformInputIteratorIb7NonZeroIiEPilEENS0_5tupleIJPlS6_EEENSJ_IJSD_SD_EEES6_SK_JS6_EEE10hipError_tPvRmT3_T4_T5_T6_T7_T9_mT8_P12ihipStream_tbDpT10_ENKUlT_T0_E_clISt17integral_constantIbLb1EES16_EEDaS11_S12_EUlS11_E_NS1_11comp_targetILNS1_3genE4ELNS1_11target_archE910ELNS1_3gpuE8ELNS1_3repE0EEENS1_30default_config_static_selectorELNS0_4arch9wavefront6targetE1EEEvT1_.numbered_sgpr, 0
	.set _ZN7rocprim17ROCPRIM_400000_NS6detail17trampoline_kernelINS0_14default_configENS1_25partition_config_selectorILNS1_17partition_subalgoE5ElNS0_10empty_typeEbEEZZNS1_14partition_implILS5_5ELb0ES3_mN6hipcub16HIPCUB_304000_NS21CountingInputIteratorIllEEPS6_NSA_22TransformInputIteratorIb7NonZeroIiEPilEENS0_5tupleIJPlS6_EEENSJ_IJSD_SD_EEES6_SK_JS6_EEE10hipError_tPvRmT3_T4_T5_T6_T7_T9_mT8_P12ihipStream_tbDpT10_ENKUlT_T0_E_clISt17integral_constantIbLb1EES16_EEDaS11_S12_EUlS11_E_NS1_11comp_targetILNS1_3genE4ELNS1_11target_archE910ELNS1_3gpuE8ELNS1_3repE0EEENS1_30default_config_static_selectorELNS0_4arch9wavefront6targetE1EEEvT1_.num_named_barrier, 0
	.set _ZN7rocprim17ROCPRIM_400000_NS6detail17trampoline_kernelINS0_14default_configENS1_25partition_config_selectorILNS1_17partition_subalgoE5ElNS0_10empty_typeEbEEZZNS1_14partition_implILS5_5ELb0ES3_mN6hipcub16HIPCUB_304000_NS21CountingInputIteratorIllEEPS6_NSA_22TransformInputIteratorIb7NonZeroIiEPilEENS0_5tupleIJPlS6_EEENSJ_IJSD_SD_EEES6_SK_JS6_EEE10hipError_tPvRmT3_T4_T5_T6_T7_T9_mT8_P12ihipStream_tbDpT10_ENKUlT_T0_E_clISt17integral_constantIbLb1EES16_EEDaS11_S12_EUlS11_E_NS1_11comp_targetILNS1_3genE4ELNS1_11target_archE910ELNS1_3gpuE8ELNS1_3repE0EEENS1_30default_config_static_selectorELNS0_4arch9wavefront6targetE1EEEvT1_.private_seg_size, 0
	.set _ZN7rocprim17ROCPRIM_400000_NS6detail17trampoline_kernelINS0_14default_configENS1_25partition_config_selectorILNS1_17partition_subalgoE5ElNS0_10empty_typeEbEEZZNS1_14partition_implILS5_5ELb0ES3_mN6hipcub16HIPCUB_304000_NS21CountingInputIteratorIllEEPS6_NSA_22TransformInputIteratorIb7NonZeroIiEPilEENS0_5tupleIJPlS6_EEENSJ_IJSD_SD_EEES6_SK_JS6_EEE10hipError_tPvRmT3_T4_T5_T6_T7_T9_mT8_P12ihipStream_tbDpT10_ENKUlT_T0_E_clISt17integral_constantIbLb1EES16_EEDaS11_S12_EUlS11_E_NS1_11comp_targetILNS1_3genE4ELNS1_11target_archE910ELNS1_3gpuE8ELNS1_3repE0EEENS1_30default_config_static_selectorELNS0_4arch9wavefront6targetE1EEEvT1_.uses_vcc, 0
	.set _ZN7rocprim17ROCPRIM_400000_NS6detail17trampoline_kernelINS0_14default_configENS1_25partition_config_selectorILNS1_17partition_subalgoE5ElNS0_10empty_typeEbEEZZNS1_14partition_implILS5_5ELb0ES3_mN6hipcub16HIPCUB_304000_NS21CountingInputIteratorIllEEPS6_NSA_22TransformInputIteratorIb7NonZeroIiEPilEENS0_5tupleIJPlS6_EEENSJ_IJSD_SD_EEES6_SK_JS6_EEE10hipError_tPvRmT3_T4_T5_T6_T7_T9_mT8_P12ihipStream_tbDpT10_ENKUlT_T0_E_clISt17integral_constantIbLb1EES16_EEDaS11_S12_EUlS11_E_NS1_11comp_targetILNS1_3genE4ELNS1_11target_archE910ELNS1_3gpuE8ELNS1_3repE0EEENS1_30default_config_static_selectorELNS0_4arch9wavefront6targetE1EEEvT1_.uses_flat_scratch, 0
	.set _ZN7rocprim17ROCPRIM_400000_NS6detail17trampoline_kernelINS0_14default_configENS1_25partition_config_selectorILNS1_17partition_subalgoE5ElNS0_10empty_typeEbEEZZNS1_14partition_implILS5_5ELb0ES3_mN6hipcub16HIPCUB_304000_NS21CountingInputIteratorIllEEPS6_NSA_22TransformInputIteratorIb7NonZeroIiEPilEENS0_5tupleIJPlS6_EEENSJ_IJSD_SD_EEES6_SK_JS6_EEE10hipError_tPvRmT3_T4_T5_T6_T7_T9_mT8_P12ihipStream_tbDpT10_ENKUlT_T0_E_clISt17integral_constantIbLb1EES16_EEDaS11_S12_EUlS11_E_NS1_11comp_targetILNS1_3genE4ELNS1_11target_archE910ELNS1_3gpuE8ELNS1_3repE0EEENS1_30default_config_static_selectorELNS0_4arch9wavefront6targetE1EEEvT1_.has_dyn_sized_stack, 0
	.set _ZN7rocprim17ROCPRIM_400000_NS6detail17trampoline_kernelINS0_14default_configENS1_25partition_config_selectorILNS1_17partition_subalgoE5ElNS0_10empty_typeEbEEZZNS1_14partition_implILS5_5ELb0ES3_mN6hipcub16HIPCUB_304000_NS21CountingInputIteratorIllEEPS6_NSA_22TransformInputIteratorIb7NonZeroIiEPilEENS0_5tupleIJPlS6_EEENSJ_IJSD_SD_EEES6_SK_JS6_EEE10hipError_tPvRmT3_T4_T5_T6_T7_T9_mT8_P12ihipStream_tbDpT10_ENKUlT_T0_E_clISt17integral_constantIbLb1EES16_EEDaS11_S12_EUlS11_E_NS1_11comp_targetILNS1_3genE4ELNS1_11target_archE910ELNS1_3gpuE8ELNS1_3repE0EEENS1_30default_config_static_selectorELNS0_4arch9wavefront6targetE1EEEvT1_.has_recursion, 0
	.set _ZN7rocprim17ROCPRIM_400000_NS6detail17trampoline_kernelINS0_14default_configENS1_25partition_config_selectorILNS1_17partition_subalgoE5ElNS0_10empty_typeEbEEZZNS1_14partition_implILS5_5ELb0ES3_mN6hipcub16HIPCUB_304000_NS21CountingInputIteratorIllEEPS6_NSA_22TransformInputIteratorIb7NonZeroIiEPilEENS0_5tupleIJPlS6_EEENSJ_IJSD_SD_EEES6_SK_JS6_EEE10hipError_tPvRmT3_T4_T5_T6_T7_T9_mT8_P12ihipStream_tbDpT10_ENKUlT_T0_E_clISt17integral_constantIbLb1EES16_EEDaS11_S12_EUlS11_E_NS1_11comp_targetILNS1_3genE4ELNS1_11target_archE910ELNS1_3gpuE8ELNS1_3repE0EEENS1_30default_config_static_selectorELNS0_4arch9wavefront6targetE1EEEvT1_.has_indirect_call, 0
	.section	.AMDGPU.csdata,"",@progbits
; Kernel info:
; codeLenInByte = 0
; TotalNumSgprs: 4
; NumVgprs: 0
; ScratchSize: 0
; MemoryBound: 0
; FloatMode: 240
; IeeeMode: 1
; LDSByteSize: 0 bytes/workgroup (compile time only)
; SGPRBlocks: 0
; VGPRBlocks: 0
; NumSGPRsForWavesPerEU: 4
; NumVGPRsForWavesPerEU: 1
; Occupancy: 10
; WaveLimiterHint : 0
; COMPUTE_PGM_RSRC2:SCRATCH_EN: 0
; COMPUTE_PGM_RSRC2:USER_SGPR: 6
; COMPUTE_PGM_RSRC2:TRAP_HANDLER: 0
; COMPUTE_PGM_RSRC2:TGID_X_EN: 1
; COMPUTE_PGM_RSRC2:TGID_Y_EN: 0
; COMPUTE_PGM_RSRC2:TGID_Z_EN: 0
; COMPUTE_PGM_RSRC2:TIDIG_COMP_CNT: 0
	.section	.text._ZN7rocprim17ROCPRIM_400000_NS6detail17trampoline_kernelINS0_14default_configENS1_25partition_config_selectorILNS1_17partition_subalgoE5ElNS0_10empty_typeEbEEZZNS1_14partition_implILS5_5ELb0ES3_mN6hipcub16HIPCUB_304000_NS21CountingInputIteratorIllEEPS6_NSA_22TransformInputIteratorIb7NonZeroIiEPilEENS0_5tupleIJPlS6_EEENSJ_IJSD_SD_EEES6_SK_JS6_EEE10hipError_tPvRmT3_T4_T5_T6_T7_T9_mT8_P12ihipStream_tbDpT10_ENKUlT_T0_E_clISt17integral_constantIbLb1EES16_EEDaS11_S12_EUlS11_E_NS1_11comp_targetILNS1_3genE3ELNS1_11target_archE908ELNS1_3gpuE7ELNS1_3repE0EEENS1_30default_config_static_selectorELNS0_4arch9wavefront6targetE1EEEvT1_,"axG",@progbits,_ZN7rocprim17ROCPRIM_400000_NS6detail17trampoline_kernelINS0_14default_configENS1_25partition_config_selectorILNS1_17partition_subalgoE5ElNS0_10empty_typeEbEEZZNS1_14partition_implILS5_5ELb0ES3_mN6hipcub16HIPCUB_304000_NS21CountingInputIteratorIllEEPS6_NSA_22TransformInputIteratorIb7NonZeroIiEPilEENS0_5tupleIJPlS6_EEENSJ_IJSD_SD_EEES6_SK_JS6_EEE10hipError_tPvRmT3_T4_T5_T6_T7_T9_mT8_P12ihipStream_tbDpT10_ENKUlT_T0_E_clISt17integral_constantIbLb1EES16_EEDaS11_S12_EUlS11_E_NS1_11comp_targetILNS1_3genE3ELNS1_11target_archE908ELNS1_3gpuE7ELNS1_3repE0EEENS1_30default_config_static_selectorELNS0_4arch9wavefront6targetE1EEEvT1_,comdat
	.protected	_ZN7rocprim17ROCPRIM_400000_NS6detail17trampoline_kernelINS0_14default_configENS1_25partition_config_selectorILNS1_17partition_subalgoE5ElNS0_10empty_typeEbEEZZNS1_14partition_implILS5_5ELb0ES3_mN6hipcub16HIPCUB_304000_NS21CountingInputIteratorIllEEPS6_NSA_22TransformInputIteratorIb7NonZeroIiEPilEENS0_5tupleIJPlS6_EEENSJ_IJSD_SD_EEES6_SK_JS6_EEE10hipError_tPvRmT3_T4_T5_T6_T7_T9_mT8_P12ihipStream_tbDpT10_ENKUlT_T0_E_clISt17integral_constantIbLb1EES16_EEDaS11_S12_EUlS11_E_NS1_11comp_targetILNS1_3genE3ELNS1_11target_archE908ELNS1_3gpuE7ELNS1_3repE0EEENS1_30default_config_static_selectorELNS0_4arch9wavefront6targetE1EEEvT1_ ; -- Begin function _ZN7rocprim17ROCPRIM_400000_NS6detail17trampoline_kernelINS0_14default_configENS1_25partition_config_selectorILNS1_17partition_subalgoE5ElNS0_10empty_typeEbEEZZNS1_14partition_implILS5_5ELb0ES3_mN6hipcub16HIPCUB_304000_NS21CountingInputIteratorIllEEPS6_NSA_22TransformInputIteratorIb7NonZeroIiEPilEENS0_5tupleIJPlS6_EEENSJ_IJSD_SD_EEES6_SK_JS6_EEE10hipError_tPvRmT3_T4_T5_T6_T7_T9_mT8_P12ihipStream_tbDpT10_ENKUlT_T0_E_clISt17integral_constantIbLb1EES16_EEDaS11_S12_EUlS11_E_NS1_11comp_targetILNS1_3genE3ELNS1_11target_archE908ELNS1_3gpuE7ELNS1_3repE0EEENS1_30default_config_static_selectorELNS0_4arch9wavefront6targetE1EEEvT1_
	.globl	_ZN7rocprim17ROCPRIM_400000_NS6detail17trampoline_kernelINS0_14default_configENS1_25partition_config_selectorILNS1_17partition_subalgoE5ElNS0_10empty_typeEbEEZZNS1_14partition_implILS5_5ELb0ES3_mN6hipcub16HIPCUB_304000_NS21CountingInputIteratorIllEEPS6_NSA_22TransformInputIteratorIb7NonZeroIiEPilEENS0_5tupleIJPlS6_EEENSJ_IJSD_SD_EEES6_SK_JS6_EEE10hipError_tPvRmT3_T4_T5_T6_T7_T9_mT8_P12ihipStream_tbDpT10_ENKUlT_T0_E_clISt17integral_constantIbLb1EES16_EEDaS11_S12_EUlS11_E_NS1_11comp_targetILNS1_3genE3ELNS1_11target_archE908ELNS1_3gpuE7ELNS1_3repE0EEENS1_30default_config_static_selectorELNS0_4arch9wavefront6targetE1EEEvT1_
	.p2align	8
	.type	_ZN7rocprim17ROCPRIM_400000_NS6detail17trampoline_kernelINS0_14default_configENS1_25partition_config_selectorILNS1_17partition_subalgoE5ElNS0_10empty_typeEbEEZZNS1_14partition_implILS5_5ELb0ES3_mN6hipcub16HIPCUB_304000_NS21CountingInputIteratorIllEEPS6_NSA_22TransformInputIteratorIb7NonZeroIiEPilEENS0_5tupleIJPlS6_EEENSJ_IJSD_SD_EEES6_SK_JS6_EEE10hipError_tPvRmT3_T4_T5_T6_T7_T9_mT8_P12ihipStream_tbDpT10_ENKUlT_T0_E_clISt17integral_constantIbLb1EES16_EEDaS11_S12_EUlS11_E_NS1_11comp_targetILNS1_3genE3ELNS1_11target_archE908ELNS1_3gpuE7ELNS1_3repE0EEENS1_30default_config_static_selectorELNS0_4arch9wavefront6targetE1EEEvT1_,@function
_ZN7rocprim17ROCPRIM_400000_NS6detail17trampoline_kernelINS0_14default_configENS1_25partition_config_selectorILNS1_17partition_subalgoE5ElNS0_10empty_typeEbEEZZNS1_14partition_implILS5_5ELb0ES3_mN6hipcub16HIPCUB_304000_NS21CountingInputIteratorIllEEPS6_NSA_22TransformInputIteratorIb7NonZeroIiEPilEENS0_5tupleIJPlS6_EEENSJ_IJSD_SD_EEES6_SK_JS6_EEE10hipError_tPvRmT3_T4_T5_T6_T7_T9_mT8_P12ihipStream_tbDpT10_ENKUlT_T0_E_clISt17integral_constantIbLb1EES16_EEDaS11_S12_EUlS11_E_NS1_11comp_targetILNS1_3genE3ELNS1_11target_archE908ELNS1_3gpuE7ELNS1_3repE0EEENS1_30default_config_static_selectorELNS0_4arch9wavefront6targetE1EEEvT1_: ; @_ZN7rocprim17ROCPRIM_400000_NS6detail17trampoline_kernelINS0_14default_configENS1_25partition_config_selectorILNS1_17partition_subalgoE5ElNS0_10empty_typeEbEEZZNS1_14partition_implILS5_5ELb0ES3_mN6hipcub16HIPCUB_304000_NS21CountingInputIteratorIllEEPS6_NSA_22TransformInputIteratorIb7NonZeroIiEPilEENS0_5tupleIJPlS6_EEENSJ_IJSD_SD_EEES6_SK_JS6_EEE10hipError_tPvRmT3_T4_T5_T6_T7_T9_mT8_P12ihipStream_tbDpT10_ENKUlT_T0_E_clISt17integral_constantIbLb1EES16_EEDaS11_S12_EUlS11_E_NS1_11comp_targetILNS1_3genE3ELNS1_11target_archE908ELNS1_3gpuE7ELNS1_3repE0EEENS1_30default_config_static_selectorELNS0_4arch9wavefront6targetE1EEEvT1_
; %bb.0:
	.section	.rodata,"a",@progbits
	.p2align	6, 0x0
	.amdhsa_kernel _ZN7rocprim17ROCPRIM_400000_NS6detail17trampoline_kernelINS0_14default_configENS1_25partition_config_selectorILNS1_17partition_subalgoE5ElNS0_10empty_typeEbEEZZNS1_14partition_implILS5_5ELb0ES3_mN6hipcub16HIPCUB_304000_NS21CountingInputIteratorIllEEPS6_NSA_22TransformInputIteratorIb7NonZeroIiEPilEENS0_5tupleIJPlS6_EEENSJ_IJSD_SD_EEES6_SK_JS6_EEE10hipError_tPvRmT3_T4_T5_T6_T7_T9_mT8_P12ihipStream_tbDpT10_ENKUlT_T0_E_clISt17integral_constantIbLb1EES16_EEDaS11_S12_EUlS11_E_NS1_11comp_targetILNS1_3genE3ELNS1_11target_archE908ELNS1_3gpuE7ELNS1_3repE0EEENS1_30default_config_static_selectorELNS0_4arch9wavefront6targetE1EEEvT1_
		.amdhsa_group_segment_fixed_size 0
		.amdhsa_private_segment_fixed_size 0
		.amdhsa_kernarg_size 136
		.amdhsa_user_sgpr_count 6
		.amdhsa_user_sgpr_private_segment_buffer 1
		.amdhsa_user_sgpr_dispatch_ptr 0
		.amdhsa_user_sgpr_queue_ptr 0
		.amdhsa_user_sgpr_kernarg_segment_ptr 1
		.amdhsa_user_sgpr_dispatch_id 0
		.amdhsa_user_sgpr_flat_scratch_init 0
		.amdhsa_user_sgpr_private_segment_size 0
		.amdhsa_uses_dynamic_stack 0
		.amdhsa_system_sgpr_private_segment_wavefront_offset 0
		.amdhsa_system_sgpr_workgroup_id_x 1
		.amdhsa_system_sgpr_workgroup_id_y 0
		.amdhsa_system_sgpr_workgroup_id_z 0
		.amdhsa_system_sgpr_workgroup_info 0
		.amdhsa_system_vgpr_workitem_id 0
		.amdhsa_next_free_vgpr 1
		.amdhsa_next_free_sgpr 0
		.amdhsa_reserve_vcc 0
		.amdhsa_reserve_flat_scratch 0
		.amdhsa_float_round_mode_32 0
		.amdhsa_float_round_mode_16_64 0
		.amdhsa_float_denorm_mode_32 3
		.amdhsa_float_denorm_mode_16_64 3
		.amdhsa_dx10_clamp 1
		.amdhsa_ieee_mode 1
		.amdhsa_fp16_overflow 0
		.amdhsa_exception_fp_ieee_invalid_op 0
		.amdhsa_exception_fp_denorm_src 0
		.amdhsa_exception_fp_ieee_div_zero 0
		.amdhsa_exception_fp_ieee_overflow 0
		.amdhsa_exception_fp_ieee_underflow 0
		.amdhsa_exception_fp_ieee_inexact 0
		.amdhsa_exception_int_div_zero 0
	.end_amdhsa_kernel
	.section	.text._ZN7rocprim17ROCPRIM_400000_NS6detail17trampoline_kernelINS0_14default_configENS1_25partition_config_selectorILNS1_17partition_subalgoE5ElNS0_10empty_typeEbEEZZNS1_14partition_implILS5_5ELb0ES3_mN6hipcub16HIPCUB_304000_NS21CountingInputIteratorIllEEPS6_NSA_22TransformInputIteratorIb7NonZeroIiEPilEENS0_5tupleIJPlS6_EEENSJ_IJSD_SD_EEES6_SK_JS6_EEE10hipError_tPvRmT3_T4_T5_T6_T7_T9_mT8_P12ihipStream_tbDpT10_ENKUlT_T0_E_clISt17integral_constantIbLb1EES16_EEDaS11_S12_EUlS11_E_NS1_11comp_targetILNS1_3genE3ELNS1_11target_archE908ELNS1_3gpuE7ELNS1_3repE0EEENS1_30default_config_static_selectorELNS0_4arch9wavefront6targetE1EEEvT1_,"axG",@progbits,_ZN7rocprim17ROCPRIM_400000_NS6detail17trampoline_kernelINS0_14default_configENS1_25partition_config_selectorILNS1_17partition_subalgoE5ElNS0_10empty_typeEbEEZZNS1_14partition_implILS5_5ELb0ES3_mN6hipcub16HIPCUB_304000_NS21CountingInputIteratorIllEEPS6_NSA_22TransformInputIteratorIb7NonZeroIiEPilEENS0_5tupleIJPlS6_EEENSJ_IJSD_SD_EEES6_SK_JS6_EEE10hipError_tPvRmT3_T4_T5_T6_T7_T9_mT8_P12ihipStream_tbDpT10_ENKUlT_T0_E_clISt17integral_constantIbLb1EES16_EEDaS11_S12_EUlS11_E_NS1_11comp_targetILNS1_3genE3ELNS1_11target_archE908ELNS1_3gpuE7ELNS1_3repE0EEENS1_30default_config_static_selectorELNS0_4arch9wavefront6targetE1EEEvT1_,comdat
.Lfunc_end196:
	.size	_ZN7rocprim17ROCPRIM_400000_NS6detail17trampoline_kernelINS0_14default_configENS1_25partition_config_selectorILNS1_17partition_subalgoE5ElNS0_10empty_typeEbEEZZNS1_14partition_implILS5_5ELb0ES3_mN6hipcub16HIPCUB_304000_NS21CountingInputIteratorIllEEPS6_NSA_22TransformInputIteratorIb7NonZeroIiEPilEENS0_5tupleIJPlS6_EEENSJ_IJSD_SD_EEES6_SK_JS6_EEE10hipError_tPvRmT3_T4_T5_T6_T7_T9_mT8_P12ihipStream_tbDpT10_ENKUlT_T0_E_clISt17integral_constantIbLb1EES16_EEDaS11_S12_EUlS11_E_NS1_11comp_targetILNS1_3genE3ELNS1_11target_archE908ELNS1_3gpuE7ELNS1_3repE0EEENS1_30default_config_static_selectorELNS0_4arch9wavefront6targetE1EEEvT1_, .Lfunc_end196-_ZN7rocprim17ROCPRIM_400000_NS6detail17trampoline_kernelINS0_14default_configENS1_25partition_config_selectorILNS1_17partition_subalgoE5ElNS0_10empty_typeEbEEZZNS1_14partition_implILS5_5ELb0ES3_mN6hipcub16HIPCUB_304000_NS21CountingInputIteratorIllEEPS6_NSA_22TransformInputIteratorIb7NonZeroIiEPilEENS0_5tupleIJPlS6_EEENSJ_IJSD_SD_EEES6_SK_JS6_EEE10hipError_tPvRmT3_T4_T5_T6_T7_T9_mT8_P12ihipStream_tbDpT10_ENKUlT_T0_E_clISt17integral_constantIbLb1EES16_EEDaS11_S12_EUlS11_E_NS1_11comp_targetILNS1_3genE3ELNS1_11target_archE908ELNS1_3gpuE7ELNS1_3repE0EEENS1_30default_config_static_selectorELNS0_4arch9wavefront6targetE1EEEvT1_
                                        ; -- End function
	.set _ZN7rocprim17ROCPRIM_400000_NS6detail17trampoline_kernelINS0_14default_configENS1_25partition_config_selectorILNS1_17partition_subalgoE5ElNS0_10empty_typeEbEEZZNS1_14partition_implILS5_5ELb0ES3_mN6hipcub16HIPCUB_304000_NS21CountingInputIteratorIllEEPS6_NSA_22TransformInputIteratorIb7NonZeroIiEPilEENS0_5tupleIJPlS6_EEENSJ_IJSD_SD_EEES6_SK_JS6_EEE10hipError_tPvRmT3_T4_T5_T6_T7_T9_mT8_P12ihipStream_tbDpT10_ENKUlT_T0_E_clISt17integral_constantIbLb1EES16_EEDaS11_S12_EUlS11_E_NS1_11comp_targetILNS1_3genE3ELNS1_11target_archE908ELNS1_3gpuE7ELNS1_3repE0EEENS1_30default_config_static_selectorELNS0_4arch9wavefront6targetE1EEEvT1_.num_vgpr, 0
	.set _ZN7rocprim17ROCPRIM_400000_NS6detail17trampoline_kernelINS0_14default_configENS1_25partition_config_selectorILNS1_17partition_subalgoE5ElNS0_10empty_typeEbEEZZNS1_14partition_implILS5_5ELb0ES3_mN6hipcub16HIPCUB_304000_NS21CountingInputIteratorIllEEPS6_NSA_22TransformInputIteratorIb7NonZeroIiEPilEENS0_5tupleIJPlS6_EEENSJ_IJSD_SD_EEES6_SK_JS6_EEE10hipError_tPvRmT3_T4_T5_T6_T7_T9_mT8_P12ihipStream_tbDpT10_ENKUlT_T0_E_clISt17integral_constantIbLb1EES16_EEDaS11_S12_EUlS11_E_NS1_11comp_targetILNS1_3genE3ELNS1_11target_archE908ELNS1_3gpuE7ELNS1_3repE0EEENS1_30default_config_static_selectorELNS0_4arch9wavefront6targetE1EEEvT1_.num_agpr, 0
	.set _ZN7rocprim17ROCPRIM_400000_NS6detail17trampoline_kernelINS0_14default_configENS1_25partition_config_selectorILNS1_17partition_subalgoE5ElNS0_10empty_typeEbEEZZNS1_14partition_implILS5_5ELb0ES3_mN6hipcub16HIPCUB_304000_NS21CountingInputIteratorIllEEPS6_NSA_22TransformInputIteratorIb7NonZeroIiEPilEENS0_5tupleIJPlS6_EEENSJ_IJSD_SD_EEES6_SK_JS6_EEE10hipError_tPvRmT3_T4_T5_T6_T7_T9_mT8_P12ihipStream_tbDpT10_ENKUlT_T0_E_clISt17integral_constantIbLb1EES16_EEDaS11_S12_EUlS11_E_NS1_11comp_targetILNS1_3genE3ELNS1_11target_archE908ELNS1_3gpuE7ELNS1_3repE0EEENS1_30default_config_static_selectorELNS0_4arch9wavefront6targetE1EEEvT1_.numbered_sgpr, 0
	.set _ZN7rocprim17ROCPRIM_400000_NS6detail17trampoline_kernelINS0_14default_configENS1_25partition_config_selectorILNS1_17partition_subalgoE5ElNS0_10empty_typeEbEEZZNS1_14partition_implILS5_5ELb0ES3_mN6hipcub16HIPCUB_304000_NS21CountingInputIteratorIllEEPS6_NSA_22TransformInputIteratorIb7NonZeroIiEPilEENS0_5tupleIJPlS6_EEENSJ_IJSD_SD_EEES6_SK_JS6_EEE10hipError_tPvRmT3_T4_T5_T6_T7_T9_mT8_P12ihipStream_tbDpT10_ENKUlT_T0_E_clISt17integral_constantIbLb1EES16_EEDaS11_S12_EUlS11_E_NS1_11comp_targetILNS1_3genE3ELNS1_11target_archE908ELNS1_3gpuE7ELNS1_3repE0EEENS1_30default_config_static_selectorELNS0_4arch9wavefront6targetE1EEEvT1_.num_named_barrier, 0
	.set _ZN7rocprim17ROCPRIM_400000_NS6detail17trampoline_kernelINS0_14default_configENS1_25partition_config_selectorILNS1_17partition_subalgoE5ElNS0_10empty_typeEbEEZZNS1_14partition_implILS5_5ELb0ES3_mN6hipcub16HIPCUB_304000_NS21CountingInputIteratorIllEEPS6_NSA_22TransformInputIteratorIb7NonZeroIiEPilEENS0_5tupleIJPlS6_EEENSJ_IJSD_SD_EEES6_SK_JS6_EEE10hipError_tPvRmT3_T4_T5_T6_T7_T9_mT8_P12ihipStream_tbDpT10_ENKUlT_T0_E_clISt17integral_constantIbLb1EES16_EEDaS11_S12_EUlS11_E_NS1_11comp_targetILNS1_3genE3ELNS1_11target_archE908ELNS1_3gpuE7ELNS1_3repE0EEENS1_30default_config_static_selectorELNS0_4arch9wavefront6targetE1EEEvT1_.private_seg_size, 0
	.set _ZN7rocprim17ROCPRIM_400000_NS6detail17trampoline_kernelINS0_14default_configENS1_25partition_config_selectorILNS1_17partition_subalgoE5ElNS0_10empty_typeEbEEZZNS1_14partition_implILS5_5ELb0ES3_mN6hipcub16HIPCUB_304000_NS21CountingInputIteratorIllEEPS6_NSA_22TransformInputIteratorIb7NonZeroIiEPilEENS0_5tupleIJPlS6_EEENSJ_IJSD_SD_EEES6_SK_JS6_EEE10hipError_tPvRmT3_T4_T5_T6_T7_T9_mT8_P12ihipStream_tbDpT10_ENKUlT_T0_E_clISt17integral_constantIbLb1EES16_EEDaS11_S12_EUlS11_E_NS1_11comp_targetILNS1_3genE3ELNS1_11target_archE908ELNS1_3gpuE7ELNS1_3repE0EEENS1_30default_config_static_selectorELNS0_4arch9wavefront6targetE1EEEvT1_.uses_vcc, 0
	.set _ZN7rocprim17ROCPRIM_400000_NS6detail17trampoline_kernelINS0_14default_configENS1_25partition_config_selectorILNS1_17partition_subalgoE5ElNS0_10empty_typeEbEEZZNS1_14partition_implILS5_5ELb0ES3_mN6hipcub16HIPCUB_304000_NS21CountingInputIteratorIllEEPS6_NSA_22TransformInputIteratorIb7NonZeroIiEPilEENS0_5tupleIJPlS6_EEENSJ_IJSD_SD_EEES6_SK_JS6_EEE10hipError_tPvRmT3_T4_T5_T6_T7_T9_mT8_P12ihipStream_tbDpT10_ENKUlT_T0_E_clISt17integral_constantIbLb1EES16_EEDaS11_S12_EUlS11_E_NS1_11comp_targetILNS1_3genE3ELNS1_11target_archE908ELNS1_3gpuE7ELNS1_3repE0EEENS1_30default_config_static_selectorELNS0_4arch9wavefront6targetE1EEEvT1_.uses_flat_scratch, 0
	.set _ZN7rocprim17ROCPRIM_400000_NS6detail17trampoline_kernelINS0_14default_configENS1_25partition_config_selectorILNS1_17partition_subalgoE5ElNS0_10empty_typeEbEEZZNS1_14partition_implILS5_5ELb0ES3_mN6hipcub16HIPCUB_304000_NS21CountingInputIteratorIllEEPS6_NSA_22TransformInputIteratorIb7NonZeroIiEPilEENS0_5tupleIJPlS6_EEENSJ_IJSD_SD_EEES6_SK_JS6_EEE10hipError_tPvRmT3_T4_T5_T6_T7_T9_mT8_P12ihipStream_tbDpT10_ENKUlT_T0_E_clISt17integral_constantIbLb1EES16_EEDaS11_S12_EUlS11_E_NS1_11comp_targetILNS1_3genE3ELNS1_11target_archE908ELNS1_3gpuE7ELNS1_3repE0EEENS1_30default_config_static_selectorELNS0_4arch9wavefront6targetE1EEEvT1_.has_dyn_sized_stack, 0
	.set _ZN7rocprim17ROCPRIM_400000_NS6detail17trampoline_kernelINS0_14default_configENS1_25partition_config_selectorILNS1_17partition_subalgoE5ElNS0_10empty_typeEbEEZZNS1_14partition_implILS5_5ELb0ES3_mN6hipcub16HIPCUB_304000_NS21CountingInputIteratorIllEEPS6_NSA_22TransformInputIteratorIb7NonZeroIiEPilEENS0_5tupleIJPlS6_EEENSJ_IJSD_SD_EEES6_SK_JS6_EEE10hipError_tPvRmT3_T4_T5_T6_T7_T9_mT8_P12ihipStream_tbDpT10_ENKUlT_T0_E_clISt17integral_constantIbLb1EES16_EEDaS11_S12_EUlS11_E_NS1_11comp_targetILNS1_3genE3ELNS1_11target_archE908ELNS1_3gpuE7ELNS1_3repE0EEENS1_30default_config_static_selectorELNS0_4arch9wavefront6targetE1EEEvT1_.has_recursion, 0
	.set _ZN7rocprim17ROCPRIM_400000_NS6detail17trampoline_kernelINS0_14default_configENS1_25partition_config_selectorILNS1_17partition_subalgoE5ElNS0_10empty_typeEbEEZZNS1_14partition_implILS5_5ELb0ES3_mN6hipcub16HIPCUB_304000_NS21CountingInputIteratorIllEEPS6_NSA_22TransformInputIteratorIb7NonZeroIiEPilEENS0_5tupleIJPlS6_EEENSJ_IJSD_SD_EEES6_SK_JS6_EEE10hipError_tPvRmT3_T4_T5_T6_T7_T9_mT8_P12ihipStream_tbDpT10_ENKUlT_T0_E_clISt17integral_constantIbLb1EES16_EEDaS11_S12_EUlS11_E_NS1_11comp_targetILNS1_3genE3ELNS1_11target_archE908ELNS1_3gpuE7ELNS1_3repE0EEENS1_30default_config_static_selectorELNS0_4arch9wavefront6targetE1EEEvT1_.has_indirect_call, 0
	.section	.AMDGPU.csdata,"",@progbits
; Kernel info:
; codeLenInByte = 0
; TotalNumSgprs: 4
; NumVgprs: 0
; ScratchSize: 0
; MemoryBound: 0
; FloatMode: 240
; IeeeMode: 1
; LDSByteSize: 0 bytes/workgroup (compile time only)
; SGPRBlocks: 0
; VGPRBlocks: 0
; NumSGPRsForWavesPerEU: 4
; NumVGPRsForWavesPerEU: 1
; Occupancy: 10
; WaveLimiterHint : 0
; COMPUTE_PGM_RSRC2:SCRATCH_EN: 0
; COMPUTE_PGM_RSRC2:USER_SGPR: 6
; COMPUTE_PGM_RSRC2:TRAP_HANDLER: 0
; COMPUTE_PGM_RSRC2:TGID_X_EN: 1
; COMPUTE_PGM_RSRC2:TGID_Y_EN: 0
; COMPUTE_PGM_RSRC2:TGID_Z_EN: 0
; COMPUTE_PGM_RSRC2:TIDIG_COMP_CNT: 0
	.section	.text._ZN7rocprim17ROCPRIM_400000_NS6detail17trampoline_kernelINS0_14default_configENS1_25partition_config_selectorILNS1_17partition_subalgoE5ElNS0_10empty_typeEbEEZZNS1_14partition_implILS5_5ELb0ES3_mN6hipcub16HIPCUB_304000_NS21CountingInputIteratorIllEEPS6_NSA_22TransformInputIteratorIb7NonZeroIiEPilEENS0_5tupleIJPlS6_EEENSJ_IJSD_SD_EEES6_SK_JS6_EEE10hipError_tPvRmT3_T4_T5_T6_T7_T9_mT8_P12ihipStream_tbDpT10_ENKUlT_T0_E_clISt17integral_constantIbLb1EES16_EEDaS11_S12_EUlS11_E_NS1_11comp_targetILNS1_3genE2ELNS1_11target_archE906ELNS1_3gpuE6ELNS1_3repE0EEENS1_30default_config_static_selectorELNS0_4arch9wavefront6targetE1EEEvT1_,"axG",@progbits,_ZN7rocprim17ROCPRIM_400000_NS6detail17trampoline_kernelINS0_14default_configENS1_25partition_config_selectorILNS1_17partition_subalgoE5ElNS0_10empty_typeEbEEZZNS1_14partition_implILS5_5ELb0ES3_mN6hipcub16HIPCUB_304000_NS21CountingInputIteratorIllEEPS6_NSA_22TransformInputIteratorIb7NonZeroIiEPilEENS0_5tupleIJPlS6_EEENSJ_IJSD_SD_EEES6_SK_JS6_EEE10hipError_tPvRmT3_T4_T5_T6_T7_T9_mT8_P12ihipStream_tbDpT10_ENKUlT_T0_E_clISt17integral_constantIbLb1EES16_EEDaS11_S12_EUlS11_E_NS1_11comp_targetILNS1_3genE2ELNS1_11target_archE906ELNS1_3gpuE6ELNS1_3repE0EEENS1_30default_config_static_selectorELNS0_4arch9wavefront6targetE1EEEvT1_,comdat
	.protected	_ZN7rocprim17ROCPRIM_400000_NS6detail17trampoline_kernelINS0_14default_configENS1_25partition_config_selectorILNS1_17partition_subalgoE5ElNS0_10empty_typeEbEEZZNS1_14partition_implILS5_5ELb0ES3_mN6hipcub16HIPCUB_304000_NS21CountingInputIteratorIllEEPS6_NSA_22TransformInputIteratorIb7NonZeroIiEPilEENS0_5tupleIJPlS6_EEENSJ_IJSD_SD_EEES6_SK_JS6_EEE10hipError_tPvRmT3_T4_T5_T6_T7_T9_mT8_P12ihipStream_tbDpT10_ENKUlT_T0_E_clISt17integral_constantIbLb1EES16_EEDaS11_S12_EUlS11_E_NS1_11comp_targetILNS1_3genE2ELNS1_11target_archE906ELNS1_3gpuE6ELNS1_3repE0EEENS1_30default_config_static_selectorELNS0_4arch9wavefront6targetE1EEEvT1_ ; -- Begin function _ZN7rocprim17ROCPRIM_400000_NS6detail17trampoline_kernelINS0_14default_configENS1_25partition_config_selectorILNS1_17partition_subalgoE5ElNS0_10empty_typeEbEEZZNS1_14partition_implILS5_5ELb0ES3_mN6hipcub16HIPCUB_304000_NS21CountingInputIteratorIllEEPS6_NSA_22TransformInputIteratorIb7NonZeroIiEPilEENS0_5tupleIJPlS6_EEENSJ_IJSD_SD_EEES6_SK_JS6_EEE10hipError_tPvRmT3_T4_T5_T6_T7_T9_mT8_P12ihipStream_tbDpT10_ENKUlT_T0_E_clISt17integral_constantIbLb1EES16_EEDaS11_S12_EUlS11_E_NS1_11comp_targetILNS1_3genE2ELNS1_11target_archE906ELNS1_3gpuE6ELNS1_3repE0EEENS1_30default_config_static_selectorELNS0_4arch9wavefront6targetE1EEEvT1_
	.globl	_ZN7rocprim17ROCPRIM_400000_NS6detail17trampoline_kernelINS0_14default_configENS1_25partition_config_selectorILNS1_17partition_subalgoE5ElNS0_10empty_typeEbEEZZNS1_14partition_implILS5_5ELb0ES3_mN6hipcub16HIPCUB_304000_NS21CountingInputIteratorIllEEPS6_NSA_22TransformInputIteratorIb7NonZeroIiEPilEENS0_5tupleIJPlS6_EEENSJ_IJSD_SD_EEES6_SK_JS6_EEE10hipError_tPvRmT3_T4_T5_T6_T7_T9_mT8_P12ihipStream_tbDpT10_ENKUlT_T0_E_clISt17integral_constantIbLb1EES16_EEDaS11_S12_EUlS11_E_NS1_11comp_targetILNS1_3genE2ELNS1_11target_archE906ELNS1_3gpuE6ELNS1_3repE0EEENS1_30default_config_static_selectorELNS0_4arch9wavefront6targetE1EEEvT1_
	.p2align	8
	.type	_ZN7rocprim17ROCPRIM_400000_NS6detail17trampoline_kernelINS0_14default_configENS1_25partition_config_selectorILNS1_17partition_subalgoE5ElNS0_10empty_typeEbEEZZNS1_14partition_implILS5_5ELb0ES3_mN6hipcub16HIPCUB_304000_NS21CountingInputIteratorIllEEPS6_NSA_22TransformInputIteratorIb7NonZeroIiEPilEENS0_5tupleIJPlS6_EEENSJ_IJSD_SD_EEES6_SK_JS6_EEE10hipError_tPvRmT3_T4_T5_T6_T7_T9_mT8_P12ihipStream_tbDpT10_ENKUlT_T0_E_clISt17integral_constantIbLb1EES16_EEDaS11_S12_EUlS11_E_NS1_11comp_targetILNS1_3genE2ELNS1_11target_archE906ELNS1_3gpuE6ELNS1_3repE0EEENS1_30default_config_static_selectorELNS0_4arch9wavefront6targetE1EEEvT1_,@function
_ZN7rocprim17ROCPRIM_400000_NS6detail17trampoline_kernelINS0_14default_configENS1_25partition_config_selectorILNS1_17partition_subalgoE5ElNS0_10empty_typeEbEEZZNS1_14partition_implILS5_5ELb0ES3_mN6hipcub16HIPCUB_304000_NS21CountingInputIteratorIllEEPS6_NSA_22TransformInputIteratorIb7NonZeroIiEPilEENS0_5tupleIJPlS6_EEENSJ_IJSD_SD_EEES6_SK_JS6_EEE10hipError_tPvRmT3_T4_T5_T6_T7_T9_mT8_P12ihipStream_tbDpT10_ENKUlT_T0_E_clISt17integral_constantIbLb1EES16_EEDaS11_S12_EUlS11_E_NS1_11comp_targetILNS1_3genE2ELNS1_11target_archE906ELNS1_3gpuE6ELNS1_3repE0EEENS1_30default_config_static_selectorELNS0_4arch9wavefront6targetE1EEEvT1_: ; @_ZN7rocprim17ROCPRIM_400000_NS6detail17trampoline_kernelINS0_14default_configENS1_25partition_config_selectorILNS1_17partition_subalgoE5ElNS0_10empty_typeEbEEZZNS1_14partition_implILS5_5ELb0ES3_mN6hipcub16HIPCUB_304000_NS21CountingInputIteratorIllEEPS6_NSA_22TransformInputIteratorIb7NonZeroIiEPilEENS0_5tupleIJPlS6_EEENSJ_IJSD_SD_EEES6_SK_JS6_EEE10hipError_tPvRmT3_T4_T5_T6_T7_T9_mT8_P12ihipStream_tbDpT10_ENKUlT_T0_E_clISt17integral_constantIbLb1EES16_EEDaS11_S12_EUlS11_E_NS1_11comp_targetILNS1_3genE2ELNS1_11target_archE906ELNS1_3gpuE6ELNS1_3repE0EEENS1_30default_config_static_selectorELNS0_4arch9wavefront6targetE1EEEvT1_
; %bb.0:
	s_endpgm
	.section	.rodata,"a",@progbits
	.p2align	6, 0x0
	.amdhsa_kernel _ZN7rocprim17ROCPRIM_400000_NS6detail17trampoline_kernelINS0_14default_configENS1_25partition_config_selectorILNS1_17partition_subalgoE5ElNS0_10empty_typeEbEEZZNS1_14partition_implILS5_5ELb0ES3_mN6hipcub16HIPCUB_304000_NS21CountingInputIteratorIllEEPS6_NSA_22TransformInputIteratorIb7NonZeroIiEPilEENS0_5tupleIJPlS6_EEENSJ_IJSD_SD_EEES6_SK_JS6_EEE10hipError_tPvRmT3_T4_T5_T6_T7_T9_mT8_P12ihipStream_tbDpT10_ENKUlT_T0_E_clISt17integral_constantIbLb1EES16_EEDaS11_S12_EUlS11_E_NS1_11comp_targetILNS1_3genE2ELNS1_11target_archE906ELNS1_3gpuE6ELNS1_3repE0EEENS1_30default_config_static_selectorELNS0_4arch9wavefront6targetE1EEEvT1_
		.amdhsa_group_segment_fixed_size 0
		.amdhsa_private_segment_fixed_size 0
		.amdhsa_kernarg_size 136
		.amdhsa_user_sgpr_count 6
		.amdhsa_user_sgpr_private_segment_buffer 1
		.amdhsa_user_sgpr_dispatch_ptr 0
		.amdhsa_user_sgpr_queue_ptr 0
		.amdhsa_user_sgpr_kernarg_segment_ptr 1
		.amdhsa_user_sgpr_dispatch_id 0
		.amdhsa_user_sgpr_flat_scratch_init 0
		.amdhsa_user_sgpr_private_segment_size 0
		.amdhsa_uses_dynamic_stack 0
		.amdhsa_system_sgpr_private_segment_wavefront_offset 0
		.amdhsa_system_sgpr_workgroup_id_x 1
		.amdhsa_system_sgpr_workgroup_id_y 0
		.amdhsa_system_sgpr_workgroup_id_z 0
		.amdhsa_system_sgpr_workgroup_info 0
		.amdhsa_system_vgpr_workitem_id 0
		.amdhsa_next_free_vgpr 1
		.amdhsa_next_free_sgpr 0
		.amdhsa_reserve_vcc 0
		.amdhsa_reserve_flat_scratch 0
		.amdhsa_float_round_mode_32 0
		.amdhsa_float_round_mode_16_64 0
		.amdhsa_float_denorm_mode_32 3
		.amdhsa_float_denorm_mode_16_64 3
		.amdhsa_dx10_clamp 1
		.amdhsa_ieee_mode 1
		.amdhsa_fp16_overflow 0
		.amdhsa_exception_fp_ieee_invalid_op 0
		.amdhsa_exception_fp_denorm_src 0
		.amdhsa_exception_fp_ieee_div_zero 0
		.amdhsa_exception_fp_ieee_overflow 0
		.amdhsa_exception_fp_ieee_underflow 0
		.amdhsa_exception_fp_ieee_inexact 0
		.amdhsa_exception_int_div_zero 0
	.end_amdhsa_kernel
	.section	.text._ZN7rocprim17ROCPRIM_400000_NS6detail17trampoline_kernelINS0_14default_configENS1_25partition_config_selectorILNS1_17partition_subalgoE5ElNS0_10empty_typeEbEEZZNS1_14partition_implILS5_5ELb0ES3_mN6hipcub16HIPCUB_304000_NS21CountingInputIteratorIllEEPS6_NSA_22TransformInputIteratorIb7NonZeroIiEPilEENS0_5tupleIJPlS6_EEENSJ_IJSD_SD_EEES6_SK_JS6_EEE10hipError_tPvRmT3_T4_T5_T6_T7_T9_mT8_P12ihipStream_tbDpT10_ENKUlT_T0_E_clISt17integral_constantIbLb1EES16_EEDaS11_S12_EUlS11_E_NS1_11comp_targetILNS1_3genE2ELNS1_11target_archE906ELNS1_3gpuE6ELNS1_3repE0EEENS1_30default_config_static_selectorELNS0_4arch9wavefront6targetE1EEEvT1_,"axG",@progbits,_ZN7rocprim17ROCPRIM_400000_NS6detail17trampoline_kernelINS0_14default_configENS1_25partition_config_selectorILNS1_17partition_subalgoE5ElNS0_10empty_typeEbEEZZNS1_14partition_implILS5_5ELb0ES3_mN6hipcub16HIPCUB_304000_NS21CountingInputIteratorIllEEPS6_NSA_22TransformInputIteratorIb7NonZeroIiEPilEENS0_5tupleIJPlS6_EEENSJ_IJSD_SD_EEES6_SK_JS6_EEE10hipError_tPvRmT3_T4_T5_T6_T7_T9_mT8_P12ihipStream_tbDpT10_ENKUlT_T0_E_clISt17integral_constantIbLb1EES16_EEDaS11_S12_EUlS11_E_NS1_11comp_targetILNS1_3genE2ELNS1_11target_archE906ELNS1_3gpuE6ELNS1_3repE0EEENS1_30default_config_static_selectorELNS0_4arch9wavefront6targetE1EEEvT1_,comdat
.Lfunc_end197:
	.size	_ZN7rocprim17ROCPRIM_400000_NS6detail17trampoline_kernelINS0_14default_configENS1_25partition_config_selectorILNS1_17partition_subalgoE5ElNS0_10empty_typeEbEEZZNS1_14partition_implILS5_5ELb0ES3_mN6hipcub16HIPCUB_304000_NS21CountingInputIteratorIllEEPS6_NSA_22TransformInputIteratorIb7NonZeroIiEPilEENS0_5tupleIJPlS6_EEENSJ_IJSD_SD_EEES6_SK_JS6_EEE10hipError_tPvRmT3_T4_T5_T6_T7_T9_mT8_P12ihipStream_tbDpT10_ENKUlT_T0_E_clISt17integral_constantIbLb1EES16_EEDaS11_S12_EUlS11_E_NS1_11comp_targetILNS1_3genE2ELNS1_11target_archE906ELNS1_3gpuE6ELNS1_3repE0EEENS1_30default_config_static_selectorELNS0_4arch9wavefront6targetE1EEEvT1_, .Lfunc_end197-_ZN7rocprim17ROCPRIM_400000_NS6detail17trampoline_kernelINS0_14default_configENS1_25partition_config_selectorILNS1_17partition_subalgoE5ElNS0_10empty_typeEbEEZZNS1_14partition_implILS5_5ELb0ES3_mN6hipcub16HIPCUB_304000_NS21CountingInputIteratorIllEEPS6_NSA_22TransformInputIteratorIb7NonZeroIiEPilEENS0_5tupleIJPlS6_EEENSJ_IJSD_SD_EEES6_SK_JS6_EEE10hipError_tPvRmT3_T4_T5_T6_T7_T9_mT8_P12ihipStream_tbDpT10_ENKUlT_T0_E_clISt17integral_constantIbLb1EES16_EEDaS11_S12_EUlS11_E_NS1_11comp_targetILNS1_3genE2ELNS1_11target_archE906ELNS1_3gpuE6ELNS1_3repE0EEENS1_30default_config_static_selectorELNS0_4arch9wavefront6targetE1EEEvT1_
                                        ; -- End function
	.set _ZN7rocprim17ROCPRIM_400000_NS6detail17trampoline_kernelINS0_14default_configENS1_25partition_config_selectorILNS1_17partition_subalgoE5ElNS0_10empty_typeEbEEZZNS1_14partition_implILS5_5ELb0ES3_mN6hipcub16HIPCUB_304000_NS21CountingInputIteratorIllEEPS6_NSA_22TransformInputIteratorIb7NonZeroIiEPilEENS0_5tupleIJPlS6_EEENSJ_IJSD_SD_EEES6_SK_JS6_EEE10hipError_tPvRmT3_T4_T5_T6_T7_T9_mT8_P12ihipStream_tbDpT10_ENKUlT_T0_E_clISt17integral_constantIbLb1EES16_EEDaS11_S12_EUlS11_E_NS1_11comp_targetILNS1_3genE2ELNS1_11target_archE906ELNS1_3gpuE6ELNS1_3repE0EEENS1_30default_config_static_selectorELNS0_4arch9wavefront6targetE1EEEvT1_.num_vgpr, 0
	.set _ZN7rocprim17ROCPRIM_400000_NS6detail17trampoline_kernelINS0_14default_configENS1_25partition_config_selectorILNS1_17partition_subalgoE5ElNS0_10empty_typeEbEEZZNS1_14partition_implILS5_5ELb0ES3_mN6hipcub16HIPCUB_304000_NS21CountingInputIteratorIllEEPS6_NSA_22TransformInputIteratorIb7NonZeroIiEPilEENS0_5tupleIJPlS6_EEENSJ_IJSD_SD_EEES6_SK_JS6_EEE10hipError_tPvRmT3_T4_T5_T6_T7_T9_mT8_P12ihipStream_tbDpT10_ENKUlT_T0_E_clISt17integral_constantIbLb1EES16_EEDaS11_S12_EUlS11_E_NS1_11comp_targetILNS1_3genE2ELNS1_11target_archE906ELNS1_3gpuE6ELNS1_3repE0EEENS1_30default_config_static_selectorELNS0_4arch9wavefront6targetE1EEEvT1_.num_agpr, 0
	.set _ZN7rocprim17ROCPRIM_400000_NS6detail17trampoline_kernelINS0_14default_configENS1_25partition_config_selectorILNS1_17partition_subalgoE5ElNS0_10empty_typeEbEEZZNS1_14partition_implILS5_5ELb0ES3_mN6hipcub16HIPCUB_304000_NS21CountingInputIteratorIllEEPS6_NSA_22TransformInputIteratorIb7NonZeroIiEPilEENS0_5tupleIJPlS6_EEENSJ_IJSD_SD_EEES6_SK_JS6_EEE10hipError_tPvRmT3_T4_T5_T6_T7_T9_mT8_P12ihipStream_tbDpT10_ENKUlT_T0_E_clISt17integral_constantIbLb1EES16_EEDaS11_S12_EUlS11_E_NS1_11comp_targetILNS1_3genE2ELNS1_11target_archE906ELNS1_3gpuE6ELNS1_3repE0EEENS1_30default_config_static_selectorELNS0_4arch9wavefront6targetE1EEEvT1_.numbered_sgpr, 0
	.set _ZN7rocprim17ROCPRIM_400000_NS6detail17trampoline_kernelINS0_14default_configENS1_25partition_config_selectorILNS1_17partition_subalgoE5ElNS0_10empty_typeEbEEZZNS1_14partition_implILS5_5ELb0ES3_mN6hipcub16HIPCUB_304000_NS21CountingInputIteratorIllEEPS6_NSA_22TransformInputIteratorIb7NonZeroIiEPilEENS0_5tupleIJPlS6_EEENSJ_IJSD_SD_EEES6_SK_JS6_EEE10hipError_tPvRmT3_T4_T5_T6_T7_T9_mT8_P12ihipStream_tbDpT10_ENKUlT_T0_E_clISt17integral_constantIbLb1EES16_EEDaS11_S12_EUlS11_E_NS1_11comp_targetILNS1_3genE2ELNS1_11target_archE906ELNS1_3gpuE6ELNS1_3repE0EEENS1_30default_config_static_selectorELNS0_4arch9wavefront6targetE1EEEvT1_.num_named_barrier, 0
	.set _ZN7rocprim17ROCPRIM_400000_NS6detail17trampoline_kernelINS0_14default_configENS1_25partition_config_selectorILNS1_17partition_subalgoE5ElNS0_10empty_typeEbEEZZNS1_14partition_implILS5_5ELb0ES3_mN6hipcub16HIPCUB_304000_NS21CountingInputIteratorIllEEPS6_NSA_22TransformInputIteratorIb7NonZeroIiEPilEENS0_5tupleIJPlS6_EEENSJ_IJSD_SD_EEES6_SK_JS6_EEE10hipError_tPvRmT3_T4_T5_T6_T7_T9_mT8_P12ihipStream_tbDpT10_ENKUlT_T0_E_clISt17integral_constantIbLb1EES16_EEDaS11_S12_EUlS11_E_NS1_11comp_targetILNS1_3genE2ELNS1_11target_archE906ELNS1_3gpuE6ELNS1_3repE0EEENS1_30default_config_static_selectorELNS0_4arch9wavefront6targetE1EEEvT1_.private_seg_size, 0
	.set _ZN7rocprim17ROCPRIM_400000_NS6detail17trampoline_kernelINS0_14default_configENS1_25partition_config_selectorILNS1_17partition_subalgoE5ElNS0_10empty_typeEbEEZZNS1_14partition_implILS5_5ELb0ES3_mN6hipcub16HIPCUB_304000_NS21CountingInputIteratorIllEEPS6_NSA_22TransformInputIteratorIb7NonZeroIiEPilEENS0_5tupleIJPlS6_EEENSJ_IJSD_SD_EEES6_SK_JS6_EEE10hipError_tPvRmT3_T4_T5_T6_T7_T9_mT8_P12ihipStream_tbDpT10_ENKUlT_T0_E_clISt17integral_constantIbLb1EES16_EEDaS11_S12_EUlS11_E_NS1_11comp_targetILNS1_3genE2ELNS1_11target_archE906ELNS1_3gpuE6ELNS1_3repE0EEENS1_30default_config_static_selectorELNS0_4arch9wavefront6targetE1EEEvT1_.uses_vcc, 0
	.set _ZN7rocprim17ROCPRIM_400000_NS6detail17trampoline_kernelINS0_14default_configENS1_25partition_config_selectorILNS1_17partition_subalgoE5ElNS0_10empty_typeEbEEZZNS1_14partition_implILS5_5ELb0ES3_mN6hipcub16HIPCUB_304000_NS21CountingInputIteratorIllEEPS6_NSA_22TransformInputIteratorIb7NonZeroIiEPilEENS0_5tupleIJPlS6_EEENSJ_IJSD_SD_EEES6_SK_JS6_EEE10hipError_tPvRmT3_T4_T5_T6_T7_T9_mT8_P12ihipStream_tbDpT10_ENKUlT_T0_E_clISt17integral_constantIbLb1EES16_EEDaS11_S12_EUlS11_E_NS1_11comp_targetILNS1_3genE2ELNS1_11target_archE906ELNS1_3gpuE6ELNS1_3repE0EEENS1_30default_config_static_selectorELNS0_4arch9wavefront6targetE1EEEvT1_.uses_flat_scratch, 0
	.set _ZN7rocprim17ROCPRIM_400000_NS6detail17trampoline_kernelINS0_14default_configENS1_25partition_config_selectorILNS1_17partition_subalgoE5ElNS0_10empty_typeEbEEZZNS1_14partition_implILS5_5ELb0ES3_mN6hipcub16HIPCUB_304000_NS21CountingInputIteratorIllEEPS6_NSA_22TransformInputIteratorIb7NonZeroIiEPilEENS0_5tupleIJPlS6_EEENSJ_IJSD_SD_EEES6_SK_JS6_EEE10hipError_tPvRmT3_T4_T5_T6_T7_T9_mT8_P12ihipStream_tbDpT10_ENKUlT_T0_E_clISt17integral_constantIbLb1EES16_EEDaS11_S12_EUlS11_E_NS1_11comp_targetILNS1_3genE2ELNS1_11target_archE906ELNS1_3gpuE6ELNS1_3repE0EEENS1_30default_config_static_selectorELNS0_4arch9wavefront6targetE1EEEvT1_.has_dyn_sized_stack, 0
	.set _ZN7rocprim17ROCPRIM_400000_NS6detail17trampoline_kernelINS0_14default_configENS1_25partition_config_selectorILNS1_17partition_subalgoE5ElNS0_10empty_typeEbEEZZNS1_14partition_implILS5_5ELb0ES3_mN6hipcub16HIPCUB_304000_NS21CountingInputIteratorIllEEPS6_NSA_22TransformInputIteratorIb7NonZeroIiEPilEENS0_5tupleIJPlS6_EEENSJ_IJSD_SD_EEES6_SK_JS6_EEE10hipError_tPvRmT3_T4_T5_T6_T7_T9_mT8_P12ihipStream_tbDpT10_ENKUlT_T0_E_clISt17integral_constantIbLb1EES16_EEDaS11_S12_EUlS11_E_NS1_11comp_targetILNS1_3genE2ELNS1_11target_archE906ELNS1_3gpuE6ELNS1_3repE0EEENS1_30default_config_static_selectorELNS0_4arch9wavefront6targetE1EEEvT1_.has_recursion, 0
	.set _ZN7rocprim17ROCPRIM_400000_NS6detail17trampoline_kernelINS0_14default_configENS1_25partition_config_selectorILNS1_17partition_subalgoE5ElNS0_10empty_typeEbEEZZNS1_14partition_implILS5_5ELb0ES3_mN6hipcub16HIPCUB_304000_NS21CountingInputIteratorIllEEPS6_NSA_22TransformInputIteratorIb7NonZeroIiEPilEENS0_5tupleIJPlS6_EEENSJ_IJSD_SD_EEES6_SK_JS6_EEE10hipError_tPvRmT3_T4_T5_T6_T7_T9_mT8_P12ihipStream_tbDpT10_ENKUlT_T0_E_clISt17integral_constantIbLb1EES16_EEDaS11_S12_EUlS11_E_NS1_11comp_targetILNS1_3genE2ELNS1_11target_archE906ELNS1_3gpuE6ELNS1_3repE0EEENS1_30default_config_static_selectorELNS0_4arch9wavefront6targetE1EEEvT1_.has_indirect_call, 0
	.section	.AMDGPU.csdata,"",@progbits
; Kernel info:
; codeLenInByte = 4
; TotalNumSgprs: 4
; NumVgprs: 0
; ScratchSize: 0
; MemoryBound: 0
; FloatMode: 240
; IeeeMode: 1
; LDSByteSize: 0 bytes/workgroup (compile time only)
; SGPRBlocks: 0
; VGPRBlocks: 0
; NumSGPRsForWavesPerEU: 4
; NumVGPRsForWavesPerEU: 1
; Occupancy: 10
; WaveLimiterHint : 0
; COMPUTE_PGM_RSRC2:SCRATCH_EN: 0
; COMPUTE_PGM_RSRC2:USER_SGPR: 6
; COMPUTE_PGM_RSRC2:TRAP_HANDLER: 0
; COMPUTE_PGM_RSRC2:TGID_X_EN: 1
; COMPUTE_PGM_RSRC2:TGID_Y_EN: 0
; COMPUTE_PGM_RSRC2:TGID_Z_EN: 0
; COMPUTE_PGM_RSRC2:TIDIG_COMP_CNT: 0
	.section	.text._ZN7rocprim17ROCPRIM_400000_NS6detail17trampoline_kernelINS0_14default_configENS1_25partition_config_selectorILNS1_17partition_subalgoE5ElNS0_10empty_typeEbEEZZNS1_14partition_implILS5_5ELb0ES3_mN6hipcub16HIPCUB_304000_NS21CountingInputIteratorIllEEPS6_NSA_22TransformInputIteratorIb7NonZeroIiEPilEENS0_5tupleIJPlS6_EEENSJ_IJSD_SD_EEES6_SK_JS6_EEE10hipError_tPvRmT3_T4_T5_T6_T7_T9_mT8_P12ihipStream_tbDpT10_ENKUlT_T0_E_clISt17integral_constantIbLb1EES16_EEDaS11_S12_EUlS11_E_NS1_11comp_targetILNS1_3genE10ELNS1_11target_archE1200ELNS1_3gpuE4ELNS1_3repE0EEENS1_30default_config_static_selectorELNS0_4arch9wavefront6targetE1EEEvT1_,"axG",@progbits,_ZN7rocprim17ROCPRIM_400000_NS6detail17trampoline_kernelINS0_14default_configENS1_25partition_config_selectorILNS1_17partition_subalgoE5ElNS0_10empty_typeEbEEZZNS1_14partition_implILS5_5ELb0ES3_mN6hipcub16HIPCUB_304000_NS21CountingInputIteratorIllEEPS6_NSA_22TransformInputIteratorIb7NonZeroIiEPilEENS0_5tupleIJPlS6_EEENSJ_IJSD_SD_EEES6_SK_JS6_EEE10hipError_tPvRmT3_T4_T5_T6_T7_T9_mT8_P12ihipStream_tbDpT10_ENKUlT_T0_E_clISt17integral_constantIbLb1EES16_EEDaS11_S12_EUlS11_E_NS1_11comp_targetILNS1_3genE10ELNS1_11target_archE1200ELNS1_3gpuE4ELNS1_3repE0EEENS1_30default_config_static_selectorELNS0_4arch9wavefront6targetE1EEEvT1_,comdat
	.protected	_ZN7rocprim17ROCPRIM_400000_NS6detail17trampoline_kernelINS0_14default_configENS1_25partition_config_selectorILNS1_17partition_subalgoE5ElNS0_10empty_typeEbEEZZNS1_14partition_implILS5_5ELb0ES3_mN6hipcub16HIPCUB_304000_NS21CountingInputIteratorIllEEPS6_NSA_22TransformInputIteratorIb7NonZeroIiEPilEENS0_5tupleIJPlS6_EEENSJ_IJSD_SD_EEES6_SK_JS6_EEE10hipError_tPvRmT3_T4_T5_T6_T7_T9_mT8_P12ihipStream_tbDpT10_ENKUlT_T0_E_clISt17integral_constantIbLb1EES16_EEDaS11_S12_EUlS11_E_NS1_11comp_targetILNS1_3genE10ELNS1_11target_archE1200ELNS1_3gpuE4ELNS1_3repE0EEENS1_30default_config_static_selectorELNS0_4arch9wavefront6targetE1EEEvT1_ ; -- Begin function _ZN7rocprim17ROCPRIM_400000_NS6detail17trampoline_kernelINS0_14default_configENS1_25partition_config_selectorILNS1_17partition_subalgoE5ElNS0_10empty_typeEbEEZZNS1_14partition_implILS5_5ELb0ES3_mN6hipcub16HIPCUB_304000_NS21CountingInputIteratorIllEEPS6_NSA_22TransformInputIteratorIb7NonZeroIiEPilEENS0_5tupleIJPlS6_EEENSJ_IJSD_SD_EEES6_SK_JS6_EEE10hipError_tPvRmT3_T4_T5_T6_T7_T9_mT8_P12ihipStream_tbDpT10_ENKUlT_T0_E_clISt17integral_constantIbLb1EES16_EEDaS11_S12_EUlS11_E_NS1_11comp_targetILNS1_3genE10ELNS1_11target_archE1200ELNS1_3gpuE4ELNS1_3repE0EEENS1_30default_config_static_selectorELNS0_4arch9wavefront6targetE1EEEvT1_
	.globl	_ZN7rocprim17ROCPRIM_400000_NS6detail17trampoline_kernelINS0_14default_configENS1_25partition_config_selectorILNS1_17partition_subalgoE5ElNS0_10empty_typeEbEEZZNS1_14partition_implILS5_5ELb0ES3_mN6hipcub16HIPCUB_304000_NS21CountingInputIteratorIllEEPS6_NSA_22TransformInputIteratorIb7NonZeroIiEPilEENS0_5tupleIJPlS6_EEENSJ_IJSD_SD_EEES6_SK_JS6_EEE10hipError_tPvRmT3_T4_T5_T6_T7_T9_mT8_P12ihipStream_tbDpT10_ENKUlT_T0_E_clISt17integral_constantIbLb1EES16_EEDaS11_S12_EUlS11_E_NS1_11comp_targetILNS1_3genE10ELNS1_11target_archE1200ELNS1_3gpuE4ELNS1_3repE0EEENS1_30default_config_static_selectorELNS0_4arch9wavefront6targetE1EEEvT1_
	.p2align	8
	.type	_ZN7rocprim17ROCPRIM_400000_NS6detail17trampoline_kernelINS0_14default_configENS1_25partition_config_selectorILNS1_17partition_subalgoE5ElNS0_10empty_typeEbEEZZNS1_14partition_implILS5_5ELb0ES3_mN6hipcub16HIPCUB_304000_NS21CountingInputIteratorIllEEPS6_NSA_22TransformInputIteratorIb7NonZeroIiEPilEENS0_5tupleIJPlS6_EEENSJ_IJSD_SD_EEES6_SK_JS6_EEE10hipError_tPvRmT3_T4_T5_T6_T7_T9_mT8_P12ihipStream_tbDpT10_ENKUlT_T0_E_clISt17integral_constantIbLb1EES16_EEDaS11_S12_EUlS11_E_NS1_11comp_targetILNS1_3genE10ELNS1_11target_archE1200ELNS1_3gpuE4ELNS1_3repE0EEENS1_30default_config_static_selectorELNS0_4arch9wavefront6targetE1EEEvT1_,@function
_ZN7rocprim17ROCPRIM_400000_NS6detail17trampoline_kernelINS0_14default_configENS1_25partition_config_selectorILNS1_17partition_subalgoE5ElNS0_10empty_typeEbEEZZNS1_14partition_implILS5_5ELb0ES3_mN6hipcub16HIPCUB_304000_NS21CountingInputIteratorIllEEPS6_NSA_22TransformInputIteratorIb7NonZeroIiEPilEENS0_5tupleIJPlS6_EEENSJ_IJSD_SD_EEES6_SK_JS6_EEE10hipError_tPvRmT3_T4_T5_T6_T7_T9_mT8_P12ihipStream_tbDpT10_ENKUlT_T0_E_clISt17integral_constantIbLb1EES16_EEDaS11_S12_EUlS11_E_NS1_11comp_targetILNS1_3genE10ELNS1_11target_archE1200ELNS1_3gpuE4ELNS1_3repE0EEENS1_30default_config_static_selectorELNS0_4arch9wavefront6targetE1EEEvT1_: ; @_ZN7rocprim17ROCPRIM_400000_NS6detail17trampoline_kernelINS0_14default_configENS1_25partition_config_selectorILNS1_17partition_subalgoE5ElNS0_10empty_typeEbEEZZNS1_14partition_implILS5_5ELb0ES3_mN6hipcub16HIPCUB_304000_NS21CountingInputIteratorIllEEPS6_NSA_22TransformInputIteratorIb7NonZeroIiEPilEENS0_5tupleIJPlS6_EEENSJ_IJSD_SD_EEES6_SK_JS6_EEE10hipError_tPvRmT3_T4_T5_T6_T7_T9_mT8_P12ihipStream_tbDpT10_ENKUlT_T0_E_clISt17integral_constantIbLb1EES16_EEDaS11_S12_EUlS11_E_NS1_11comp_targetILNS1_3genE10ELNS1_11target_archE1200ELNS1_3gpuE4ELNS1_3repE0EEENS1_30default_config_static_selectorELNS0_4arch9wavefront6targetE1EEEvT1_
; %bb.0:
	.section	.rodata,"a",@progbits
	.p2align	6, 0x0
	.amdhsa_kernel _ZN7rocprim17ROCPRIM_400000_NS6detail17trampoline_kernelINS0_14default_configENS1_25partition_config_selectorILNS1_17partition_subalgoE5ElNS0_10empty_typeEbEEZZNS1_14partition_implILS5_5ELb0ES3_mN6hipcub16HIPCUB_304000_NS21CountingInputIteratorIllEEPS6_NSA_22TransformInputIteratorIb7NonZeroIiEPilEENS0_5tupleIJPlS6_EEENSJ_IJSD_SD_EEES6_SK_JS6_EEE10hipError_tPvRmT3_T4_T5_T6_T7_T9_mT8_P12ihipStream_tbDpT10_ENKUlT_T0_E_clISt17integral_constantIbLb1EES16_EEDaS11_S12_EUlS11_E_NS1_11comp_targetILNS1_3genE10ELNS1_11target_archE1200ELNS1_3gpuE4ELNS1_3repE0EEENS1_30default_config_static_selectorELNS0_4arch9wavefront6targetE1EEEvT1_
		.amdhsa_group_segment_fixed_size 0
		.amdhsa_private_segment_fixed_size 0
		.amdhsa_kernarg_size 136
		.amdhsa_user_sgpr_count 6
		.amdhsa_user_sgpr_private_segment_buffer 1
		.amdhsa_user_sgpr_dispatch_ptr 0
		.amdhsa_user_sgpr_queue_ptr 0
		.amdhsa_user_sgpr_kernarg_segment_ptr 1
		.amdhsa_user_sgpr_dispatch_id 0
		.amdhsa_user_sgpr_flat_scratch_init 0
		.amdhsa_user_sgpr_private_segment_size 0
		.amdhsa_uses_dynamic_stack 0
		.amdhsa_system_sgpr_private_segment_wavefront_offset 0
		.amdhsa_system_sgpr_workgroup_id_x 1
		.amdhsa_system_sgpr_workgroup_id_y 0
		.amdhsa_system_sgpr_workgroup_id_z 0
		.amdhsa_system_sgpr_workgroup_info 0
		.amdhsa_system_vgpr_workitem_id 0
		.amdhsa_next_free_vgpr 1
		.amdhsa_next_free_sgpr 0
		.amdhsa_reserve_vcc 0
		.amdhsa_reserve_flat_scratch 0
		.amdhsa_float_round_mode_32 0
		.amdhsa_float_round_mode_16_64 0
		.amdhsa_float_denorm_mode_32 3
		.amdhsa_float_denorm_mode_16_64 3
		.amdhsa_dx10_clamp 1
		.amdhsa_ieee_mode 1
		.amdhsa_fp16_overflow 0
		.amdhsa_exception_fp_ieee_invalid_op 0
		.amdhsa_exception_fp_denorm_src 0
		.amdhsa_exception_fp_ieee_div_zero 0
		.amdhsa_exception_fp_ieee_overflow 0
		.amdhsa_exception_fp_ieee_underflow 0
		.amdhsa_exception_fp_ieee_inexact 0
		.amdhsa_exception_int_div_zero 0
	.end_amdhsa_kernel
	.section	.text._ZN7rocprim17ROCPRIM_400000_NS6detail17trampoline_kernelINS0_14default_configENS1_25partition_config_selectorILNS1_17partition_subalgoE5ElNS0_10empty_typeEbEEZZNS1_14partition_implILS5_5ELb0ES3_mN6hipcub16HIPCUB_304000_NS21CountingInputIteratorIllEEPS6_NSA_22TransformInputIteratorIb7NonZeroIiEPilEENS0_5tupleIJPlS6_EEENSJ_IJSD_SD_EEES6_SK_JS6_EEE10hipError_tPvRmT3_T4_T5_T6_T7_T9_mT8_P12ihipStream_tbDpT10_ENKUlT_T0_E_clISt17integral_constantIbLb1EES16_EEDaS11_S12_EUlS11_E_NS1_11comp_targetILNS1_3genE10ELNS1_11target_archE1200ELNS1_3gpuE4ELNS1_3repE0EEENS1_30default_config_static_selectorELNS0_4arch9wavefront6targetE1EEEvT1_,"axG",@progbits,_ZN7rocprim17ROCPRIM_400000_NS6detail17trampoline_kernelINS0_14default_configENS1_25partition_config_selectorILNS1_17partition_subalgoE5ElNS0_10empty_typeEbEEZZNS1_14partition_implILS5_5ELb0ES3_mN6hipcub16HIPCUB_304000_NS21CountingInputIteratorIllEEPS6_NSA_22TransformInputIteratorIb7NonZeroIiEPilEENS0_5tupleIJPlS6_EEENSJ_IJSD_SD_EEES6_SK_JS6_EEE10hipError_tPvRmT3_T4_T5_T6_T7_T9_mT8_P12ihipStream_tbDpT10_ENKUlT_T0_E_clISt17integral_constantIbLb1EES16_EEDaS11_S12_EUlS11_E_NS1_11comp_targetILNS1_3genE10ELNS1_11target_archE1200ELNS1_3gpuE4ELNS1_3repE0EEENS1_30default_config_static_selectorELNS0_4arch9wavefront6targetE1EEEvT1_,comdat
.Lfunc_end198:
	.size	_ZN7rocprim17ROCPRIM_400000_NS6detail17trampoline_kernelINS0_14default_configENS1_25partition_config_selectorILNS1_17partition_subalgoE5ElNS0_10empty_typeEbEEZZNS1_14partition_implILS5_5ELb0ES3_mN6hipcub16HIPCUB_304000_NS21CountingInputIteratorIllEEPS6_NSA_22TransformInputIteratorIb7NonZeroIiEPilEENS0_5tupleIJPlS6_EEENSJ_IJSD_SD_EEES6_SK_JS6_EEE10hipError_tPvRmT3_T4_T5_T6_T7_T9_mT8_P12ihipStream_tbDpT10_ENKUlT_T0_E_clISt17integral_constantIbLb1EES16_EEDaS11_S12_EUlS11_E_NS1_11comp_targetILNS1_3genE10ELNS1_11target_archE1200ELNS1_3gpuE4ELNS1_3repE0EEENS1_30default_config_static_selectorELNS0_4arch9wavefront6targetE1EEEvT1_, .Lfunc_end198-_ZN7rocprim17ROCPRIM_400000_NS6detail17trampoline_kernelINS0_14default_configENS1_25partition_config_selectorILNS1_17partition_subalgoE5ElNS0_10empty_typeEbEEZZNS1_14partition_implILS5_5ELb0ES3_mN6hipcub16HIPCUB_304000_NS21CountingInputIteratorIllEEPS6_NSA_22TransformInputIteratorIb7NonZeroIiEPilEENS0_5tupleIJPlS6_EEENSJ_IJSD_SD_EEES6_SK_JS6_EEE10hipError_tPvRmT3_T4_T5_T6_T7_T9_mT8_P12ihipStream_tbDpT10_ENKUlT_T0_E_clISt17integral_constantIbLb1EES16_EEDaS11_S12_EUlS11_E_NS1_11comp_targetILNS1_3genE10ELNS1_11target_archE1200ELNS1_3gpuE4ELNS1_3repE0EEENS1_30default_config_static_selectorELNS0_4arch9wavefront6targetE1EEEvT1_
                                        ; -- End function
	.set _ZN7rocprim17ROCPRIM_400000_NS6detail17trampoline_kernelINS0_14default_configENS1_25partition_config_selectorILNS1_17partition_subalgoE5ElNS0_10empty_typeEbEEZZNS1_14partition_implILS5_5ELb0ES3_mN6hipcub16HIPCUB_304000_NS21CountingInputIteratorIllEEPS6_NSA_22TransformInputIteratorIb7NonZeroIiEPilEENS0_5tupleIJPlS6_EEENSJ_IJSD_SD_EEES6_SK_JS6_EEE10hipError_tPvRmT3_T4_T5_T6_T7_T9_mT8_P12ihipStream_tbDpT10_ENKUlT_T0_E_clISt17integral_constantIbLb1EES16_EEDaS11_S12_EUlS11_E_NS1_11comp_targetILNS1_3genE10ELNS1_11target_archE1200ELNS1_3gpuE4ELNS1_3repE0EEENS1_30default_config_static_selectorELNS0_4arch9wavefront6targetE1EEEvT1_.num_vgpr, 0
	.set _ZN7rocprim17ROCPRIM_400000_NS6detail17trampoline_kernelINS0_14default_configENS1_25partition_config_selectorILNS1_17partition_subalgoE5ElNS0_10empty_typeEbEEZZNS1_14partition_implILS5_5ELb0ES3_mN6hipcub16HIPCUB_304000_NS21CountingInputIteratorIllEEPS6_NSA_22TransformInputIteratorIb7NonZeroIiEPilEENS0_5tupleIJPlS6_EEENSJ_IJSD_SD_EEES6_SK_JS6_EEE10hipError_tPvRmT3_T4_T5_T6_T7_T9_mT8_P12ihipStream_tbDpT10_ENKUlT_T0_E_clISt17integral_constantIbLb1EES16_EEDaS11_S12_EUlS11_E_NS1_11comp_targetILNS1_3genE10ELNS1_11target_archE1200ELNS1_3gpuE4ELNS1_3repE0EEENS1_30default_config_static_selectorELNS0_4arch9wavefront6targetE1EEEvT1_.num_agpr, 0
	.set _ZN7rocprim17ROCPRIM_400000_NS6detail17trampoline_kernelINS0_14default_configENS1_25partition_config_selectorILNS1_17partition_subalgoE5ElNS0_10empty_typeEbEEZZNS1_14partition_implILS5_5ELb0ES3_mN6hipcub16HIPCUB_304000_NS21CountingInputIteratorIllEEPS6_NSA_22TransformInputIteratorIb7NonZeroIiEPilEENS0_5tupleIJPlS6_EEENSJ_IJSD_SD_EEES6_SK_JS6_EEE10hipError_tPvRmT3_T4_T5_T6_T7_T9_mT8_P12ihipStream_tbDpT10_ENKUlT_T0_E_clISt17integral_constantIbLb1EES16_EEDaS11_S12_EUlS11_E_NS1_11comp_targetILNS1_3genE10ELNS1_11target_archE1200ELNS1_3gpuE4ELNS1_3repE0EEENS1_30default_config_static_selectorELNS0_4arch9wavefront6targetE1EEEvT1_.numbered_sgpr, 0
	.set _ZN7rocprim17ROCPRIM_400000_NS6detail17trampoline_kernelINS0_14default_configENS1_25partition_config_selectorILNS1_17partition_subalgoE5ElNS0_10empty_typeEbEEZZNS1_14partition_implILS5_5ELb0ES3_mN6hipcub16HIPCUB_304000_NS21CountingInputIteratorIllEEPS6_NSA_22TransformInputIteratorIb7NonZeroIiEPilEENS0_5tupleIJPlS6_EEENSJ_IJSD_SD_EEES6_SK_JS6_EEE10hipError_tPvRmT3_T4_T5_T6_T7_T9_mT8_P12ihipStream_tbDpT10_ENKUlT_T0_E_clISt17integral_constantIbLb1EES16_EEDaS11_S12_EUlS11_E_NS1_11comp_targetILNS1_3genE10ELNS1_11target_archE1200ELNS1_3gpuE4ELNS1_3repE0EEENS1_30default_config_static_selectorELNS0_4arch9wavefront6targetE1EEEvT1_.num_named_barrier, 0
	.set _ZN7rocprim17ROCPRIM_400000_NS6detail17trampoline_kernelINS0_14default_configENS1_25partition_config_selectorILNS1_17partition_subalgoE5ElNS0_10empty_typeEbEEZZNS1_14partition_implILS5_5ELb0ES3_mN6hipcub16HIPCUB_304000_NS21CountingInputIteratorIllEEPS6_NSA_22TransformInputIteratorIb7NonZeroIiEPilEENS0_5tupleIJPlS6_EEENSJ_IJSD_SD_EEES6_SK_JS6_EEE10hipError_tPvRmT3_T4_T5_T6_T7_T9_mT8_P12ihipStream_tbDpT10_ENKUlT_T0_E_clISt17integral_constantIbLb1EES16_EEDaS11_S12_EUlS11_E_NS1_11comp_targetILNS1_3genE10ELNS1_11target_archE1200ELNS1_3gpuE4ELNS1_3repE0EEENS1_30default_config_static_selectorELNS0_4arch9wavefront6targetE1EEEvT1_.private_seg_size, 0
	.set _ZN7rocprim17ROCPRIM_400000_NS6detail17trampoline_kernelINS0_14default_configENS1_25partition_config_selectorILNS1_17partition_subalgoE5ElNS0_10empty_typeEbEEZZNS1_14partition_implILS5_5ELb0ES3_mN6hipcub16HIPCUB_304000_NS21CountingInputIteratorIllEEPS6_NSA_22TransformInputIteratorIb7NonZeroIiEPilEENS0_5tupleIJPlS6_EEENSJ_IJSD_SD_EEES6_SK_JS6_EEE10hipError_tPvRmT3_T4_T5_T6_T7_T9_mT8_P12ihipStream_tbDpT10_ENKUlT_T0_E_clISt17integral_constantIbLb1EES16_EEDaS11_S12_EUlS11_E_NS1_11comp_targetILNS1_3genE10ELNS1_11target_archE1200ELNS1_3gpuE4ELNS1_3repE0EEENS1_30default_config_static_selectorELNS0_4arch9wavefront6targetE1EEEvT1_.uses_vcc, 0
	.set _ZN7rocprim17ROCPRIM_400000_NS6detail17trampoline_kernelINS0_14default_configENS1_25partition_config_selectorILNS1_17partition_subalgoE5ElNS0_10empty_typeEbEEZZNS1_14partition_implILS5_5ELb0ES3_mN6hipcub16HIPCUB_304000_NS21CountingInputIteratorIllEEPS6_NSA_22TransformInputIteratorIb7NonZeroIiEPilEENS0_5tupleIJPlS6_EEENSJ_IJSD_SD_EEES6_SK_JS6_EEE10hipError_tPvRmT3_T4_T5_T6_T7_T9_mT8_P12ihipStream_tbDpT10_ENKUlT_T0_E_clISt17integral_constantIbLb1EES16_EEDaS11_S12_EUlS11_E_NS1_11comp_targetILNS1_3genE10ELNS1_11target_archE1200ELNS1_3gpuE4ELNS1_3repE0EEENS1_30default_config_static_selectorELNS0_4arch9wavefront6targetE1EEEvT1_.uses_flat_scratch, 0
	.set _ZN7rocprim17ROCPRIM_400000_NS6detail17trampoline_kernelINS0_14default_configENS1_25partition_config_selectorILNS1_17partition_subalgoE5ElNS0_10empty_typeEbEEZZNS1_14partition_implILS5_5ELb0ES3_mN6hipcub16HIPCUB_304000_NS21CountingInputIteratorIllEEPS6_NSA_22TransformInputIteratorIb7NonZeroIiEPilEENS0_5tupleIJPlS6_EEENSJ_IJSD_SD_EEES6_SK_JS6_EEE10hipError_tPvRmT3_T4_T5_T6_T7_T9_mT8_P12ihipStream_tbDpT10_ENKUlT_T0_E_clISt17integral_constantIbLb1EES16_EEDaS11_S12_EUlS11_E_NS1_11comp_targetILNS1_3genE10ELNS1_11target_archE1200ELNS1_3gpuE4ELNS1_3repE0EEENS1_30default_config_static_selectorELNS0_4arch9wavefront6targetE1EEEvT1_.has_dyn_sized_stack, 0
	.set _ZN7rocprim17ROCPRIM_400000_NS6detail17trampoline_kernelINS0_14default_configENS1_25partition_config_selectorILNS1_17partition_subalgoE5ElNS0_10empty_typeEbEEZZNS1_14partition_implILS5_5ELb0ES3_mN6hipcub16HIPCUB_304000_NS21CountingInputIteratorIllEEPS6_NSA_22TransformInputIteratorIb7NonZeroIiEPilEENS0_5tupleIJPlS6_EEENSJ_IJSD_SD_EEES6_SK_JS6_EEE10hipError_tPvRmT3_T4_T5_T6_T7_T9_mT8_P12ihipStream_tbDpT10_ENKUlT_T0_E_clISt17integral_constantIbLb1EES16_EEDaS11_S12_EUlS11_E_NS1_11comp_targetILNS1_3genE10ELNS1_11target_archE1200ELNS1_3gpuE4ELNS1_3repE0EEENS1_30default_config_static_selectorELNS0_4arch9wavefront6targetE1EEEvT1_.has_recursion, 0
	.set _ZN7rocprim17ROCPRIM_400000_NS6detail17trampoline_kernelINS0_14default_configENS1_25partition_config_selectorILNS1_17partition_subalgoE5ElNS0_10empty_typeEbEEZZNS1_14partition_implILS5_5ELb0ES3_mN6hipcub16HIPCUB_304000_NS21CountingInputIteratorIllEEPS6_NSA_22TransformInputIteratorIb7NonZeroIiEPilEENS0_5tupleIJPlS6_EEENSJ_IJSD_SD_EEES6_SK_JS6_EEE10hipError_tPvRmT3_T4_T5_T6_T7_T9_mT8_P12ihipStream_tbDpT10_ENKUlT_T0_E_clISt17integral_constantIbLb1EES16_EEDaS11_S12_EUlS11_E_NS1_11comp_targetILNS1_3genE10ELNS1_11target_archE1200ELNS1_3gpuE4ELNS1_3repE0EEENS1_30default_config_static_selectorELNS0_4arch9wavefront6targetE1EEEvT1_.has_indirect_call, 0
	.section	.AMDGPU.csdata,"",@progbits
; Kernel info:
; codeLenInByte = 0
; TotalNumSgprs: 4
; NumVgprs: 0
; ScratchSize: 0
; MemoryBound: 0
; FloatMode: 240
; IeeeMode: 1
; LDSByteSize: 0 bytes/workgroup (compile time only)
; SGPRBlocks: 0
; VGPRBlocks: 0
; NumSGPRsForWavesPerEU: 4
; NumVGPRsForWavesPerEU: 1
; Occupancy: 10
; WaveLimiterHint : 0
; COMPUTE_PGM_RSRC2:SCRATCH_EN: 0
; COMPUTE_PGM_RSRC2:USER_SGPR: 6
; COMPUTE_PGM_RSRC2:TRAP_HANDLER: 0
; COMPUTE_PGM_RSRC2:TGID_X_EN: 1
; COMPUTE_PGM_RSRC2:TGID_Y_EN: 0
; COMPUTE_PGM_RSRC2:TGID_Z_EN: 0
; COMPUTE_PGM_RSRC2:TIDIG_COMP_CNT: 0
	.section	.text._ZN7rocprim17ROCPRIM_400000_NS6detail17trampoline_kernelINS0_14default_configENS1_25partition_config_selectorILNS1_17partition_subalgoE5ElNS0_10empty_typeEbEEZZNS1_14partition_implILS5_5ELb0ES3_mN6hipcub16HIPCUB_304000_NS21CountingInputIteratorIllEEPS6_NSA_22TransformInputIteratorIb7NonZeroIiEPilEENS0_5tupleIJPlS6_EEENSJ_IJSD_SD_EEES6_SK_JS6_EEE10hipError_tPvRmT3_T4_T5_T6_T7_T9_mT8_P12ihipStream_tbDpT10_ENKUlT_T0_E_clISt17integral_constantIbLb1EES16_EEDaS11_S12_EUlS11_E_NS1_11comp_targetILNS1_3genE9ELNS1_11target_archE1100ELNS1_3gpuE3ELNS1_3repE0EEENS1_30default_config_static_selectorELNS0_4arch9wavefront6targetE1EEEvT1_,"axG",@progbits,_ZN7rocprim17ROCPRIM_400000_NS6detail17trampoline_kernelINS0_14default_configENS1_25partition_config_selectorILNS1_17partition_subalgoE5ElNS0_10empty_typeEbEEZZNS1_14partition_implILS5_5ELb0ES3_mN6hipcub16HIPCUB_304000_NS21CountingInputIteratorIllEEPS6_NSA_22TransformInputIteratorIb7NonZeroIiEPilEENS0_5tupleIJPlS6_EEENSJ_IJSD_SD_EEES6_SK_JS6_EEE10hipError_tPvRmT3_T4_T5_T6_T7_T9_mT8_P12ihipStream_tbDpT10_ENKUlT_T0_E_clISt17integral_constantIbLb1EES16_EEDaS11_S12_EUlS11_E_NS1_11comp_targetILNS1_3genE9ELNS1_11target_archE1100ELNS1_3gpuE3ELNS1_3repE0EEENS1_30default_config_static_selectorELNS0_4arch9wavefront6targetE1EEEvT1_,comdat
	.protected	_ZN7rocprim17ROCPRIM_400000_NS6detail17trampoline_kernelINS0_14default_configENS1_25partition_config_selectorILNS1_17partition_subalgoE5ElNS0_10empty_typeEbEEZZNS1_14partition_implILS5_5ELb0ES3_mN6hipcub16HIPCUB_304000_NS21CountingInputIteratorIllEEPS6_NSA_22TransformInputIteratorIb7NonZeroIiEPilEENS0_5tupleIJPlS6_EEENSJ_IJSD_SD_EEES6_SK_JS6_EEE10hipError_tPvRmT3_T4_T5_T6_T7_T9_mT8_P12ihipStream_tbDpT10_ENKUlT_T0_E_clISt17integral_constantIbLb1EES16_EEDaS11_S12_EUlS11_E_NS1_11comp_targetILNS1_3genE9ELNS1_11target_archE1100ELNS1_3gpuE3ELNS1_3repE0EEENS1_30default_config_static_selectorELNS0_4arch9wavefront6targetE1EEEvT1_ ; -- Begin function _ZN7rocprim17ROCPRIM_400000_NS6detail17trampoline_kernelINS0_14default_configENS1_25partition_config_selectorILNS1_17partition_subalgoE5ElNS0_10empty_typeEbEEZZNS1_14partition_implILS5_5ELb0ES3_mN6hipcub16HIPCUB_304000_NS21CountingInputIteratorIllEEPS6_NSA_22TransformInputIteratorIb7NonZeroIiEPilEENS0_5tupleIJPlS6_EEENSJ_IJSD_SD_EEES6_SK_JS6_EEE10hipError_tPvRmT3_T4_T5_T6_T7_T9_mT8_P12ihipStream_tbDpT10_ENKUlT_T0_E_clISt17integral_constantIbLb1EES16_EEDaS11_S12_EUlS11_E_NS1_11comp_targetILNS1_3genE9ELNS1_11target_archE1100ELNS1_3gpuE3ELNS1_3repE0EEENS1_30default_config_static_selectorELNS0_4arch9wavefront6targetE1EEEvT1_
	.globl	_ZN7rocprim17ROCPRIM_400000_NS6detail17trampoline_kernelINS0_14default_configENS1_25partition_config_selectorILNS1_17partition_subalgoE5ElNS0_10empty_typeEbEEZZNS1_14partition_implILS5_5ELb0ES3_mN6hipcub16HIPCUB_304000_NS21CountingInputIteratorIllEEPS6_NSA_22TransformInputIteratorIb7NonZeroIiEPilEENS0_5tupleIJPlS6_EEENSJ_IJSD_SD_EEES6_SK_JS6_EEE10hipError_tPvRmT3_T4_T5_T6_T7_T9_mT8_P12ihipStream_tbDpT10_ENKUlT_T0_E_clISt17integral_constantIbLb1EES16_EEDaS11_S12_EUlS11_E_NS1_11comp_targetILNS1_3genE9ELNS1_11target_archE1100ELNS1_3gpuE3ELNS1_3repE0EEENS1_30default_config_static_selectorELNS0_4arch9wavefront6targetE1EEEvT1_
	.p2align	8
	.type	_ZN7rocprim17ROCPRIM_400000_NS6detail17trampoline_kernelINS0_14default_configENS1_25partition_config_selectorILNS1_17partition_subalgoE5ElNS0_10empty_typeEbEEZZNS1_14partition_implILS5_5ELb0ES3_mN6hipcub16HIPCUB_304000_NS21CountingInputIteratorIllEEPS6_NSA_22TransformInputIteratorIb7NonZeroIiEPilEENS0_5tupleIJPlS6_EEENSJ_IJSD_SD_EEES6_SK_JS6_EEE10hipError_tPvRmT3_T4_T5_T6_T7_T9_mT8_P12ihipStream_tbDpT10_ENKUlT_T0_E_clISt17integral_constantIbLb1EES16_EEDaS11_S12_EUlS11_E_NS1_11comp_targetILNS1_3genE9ELNS1_11target_archE1100ELNS1_3gpuE3ELNS1_3repE0EEENS1_30default_config_static_selectorELNS0_4arch9wavefront6targetE1EEEvT1_,@function
_ZN7rocprim17ROCPRIM_400000_NS6detail17trampoline_kernelINS0_14default_configENS1_25partition_config_selectorILNS1_17partition_subalgoE5ElNS0_10empty_typeEbEEZZNS1_14partition_implILS5_5ELb0ES3_mN6hipcub16HIPCUB_304000_NS21CountingInputIteratorIllEEPS6_NSA_22TransformInputIteratorIb7NonZeroIiEPilEENS0_5tupleIJPlS6_EEENSJ_IJSD_SD_EEES6_SK_JS6_EEE10hipError_tPvRmT3_T4_T5_T6_T7_T9_mT8_P12ihipStream_tbDpT10_ENKUlT_T0_E_clISt17integral_constantIbLb1EES16_EEDaS11_S12_EUlS11_E_NS1_11comp_targetILNS1_3genE9ELNS1_11target_archE1100ELNS1_3gpuE3ELNS1_3repE0EEENS1_30default_config_static_selectorELNS0_4arch9wavefront6targetE1EEEvT1_: ; @_ZN7rocprim17ROCPRIM_400000_NS6detail17trampoline_kernelINS0_14default_configENS1_25partition_config_selectorILNS1_17partition_subalgoE5ElNS0_10empty_typeEbEEZZNS1_14partition_implILS5_5ELb0ES3_mN6hipcub16HIPCUB_304000_NS21CountingInputIteratorIllEEPS6_NSA_22TransformInputIteratorIb7NonZeroIiEPilEENS0_5tupleIJPlS6_EEENSJ_IJSD_SD_EEES6_SK_JS6_EEE10hipError_tPvRmT3_T4_T5_T6_T7_T9_mT8_P12ihipStream_tbDpT10_ENKUlT_T0_E_clISt17integral_constantIbLb1EES16_EEDaS11_S12_EUlS11_E_NS1_11comp_targetILNS1_3genE9ELNS1_11target_archE1100ELNS1_3gpuE3ELNS1_3repE0EEENS1_30default_config_static_selectorELNS0_4arch9wavefront6targetE1EEEvT1_
; %bb.0:
	.section	.rodata,"a",@progbits
	.p2align	6, 0x0
	.amdhsa_kernel _ZN7rocprim17ROCPRIM_400000_NS6detail17trampoline_kernelINS0_14default_configENS1_25partition_config_selectorILNS1_17partition_subalgoE5ElNS0_10empty_typeEbEEZZNS1_14partition_implILS5_5ELb0ES3_mN6hipcub16HIPCUB_304000_NS21CountingInputIteratorIllEEPS6_NSA_22TransformInputIteratorIb7NonZeroIiEPilEENS0_5tupleIJPlS6_EEENSJ_IJSD_SD_EEES6_SK_JS6_EEE10hipError_tPvRmT3_T4_T5_T6_T7_T9_mT8_P12ihipStream_tbDpT10_ENKUlT_T0_E_clISt17integral_constantIbLb1EES16_EEDaS11_S12_EUlS11_E_NS1_11comp_targetILNS1_3genE9ELNS1_11target_archE1100ELNS1_3gpuE3ELNS1_3repE0EEENS1_30default_config_static_selectorELNS0_4arch9wavefront6targetE1EEEvT1_
		.amdhsa_group_segment_fixed_size 0
		.amdhsa_private_segment_fixed_size 0
		.amdhsa_kernarg_size 136
		.amdhsa_user_sgpr_count 6
		.amdhsa_user_sgpr_private_segment_buffer 1
		.amdhsa_user_sgpr_dispatch_ptr 0
		.amdhsa_user_sgpr_queue_ptr 0
		.amdhsa_user_sgpr_kernarg_segment_ptr 1
		.amdhsa_user_sgpr_dispatch_id 0
		.amdhsa_user_sgpr_flat_scratch_init 0
		.amdhsa_user_sgpr_private_segment_size 0
		.amdhsa_uses_dynamic_stack 0
		.amdhsa_system_sgpr_private_segment_wavefront_offset 0
		.amdhsa_system_sgpr_workgroup_id_x 1
		.amdhsa_system_sgpr_workgroup_id_y 0
		.amdhsa_system_sgpr_workgroup_id_z 0
		.amdhsa_system_sgpr_workgroup_info 0
		.amdhsa_system_vgpr_workitem_id 0
		.amdhsa_next_free_vgpr 1
		.amdhsa_next_free_sgpr 0
		.amdhsa_reserve_vcc 0
		.amdhsa_reserve_flat_scratch 0
		.amdhsa_float_round_mode_32 0
		.amdhsa_float_round_mode_16_64 0
		.amdhsa_float_denorm_mode_32 3
		.amdhsa_float_denorm_mode_16_64 3
		.amdhsa_dx10_clamp 1
		.amdhsa_ieee_mode 1
		.amdhsa_fp16_overflow 0
		.amdhsa_exception_fp_ieee_invalid_op 0
		.amdhsa_exception_fp_denorm_src 0
		.amdhsa_exception_fp_ieee_div_zero 0
		.amdhsa_exception_fp_ieee_overflow 0
		.amdhsa_exception_fp_ieee_underflow 0
		.amdhsa_exception_fp_ieee_inexact 0
		.amdhsa_exception_int_div_zero 0
	.end_amdhsa_kernel
	.section	.text._ZN7rocprim17ROCPRIM_400000_NS6detail17trampoline_kernelINS0_14default_configENS1_25partition_config_selectorILNS1_17partition_subalgoE5ElNS0_10empty_typeEbEEZZNS1_14partition_implILS5_5ELb0ES3_mN6hipcub16HIPCUB_304000_NS21CountingInputIteratorIllEEPS6_NSA_22TransformInputIteratorIb7NonZeroIiEPilEENS0_5tupleIJPlS6_EEENSJ_IJSD_SD_EEES6_SK_JS6_EEE10hipError_tPvRmT3_T4_T5_T6_T7_T9_mT8_P12ihipStream_tbDpT10_ENKUlT_T0_E_clISt17integral_constantIbLb1EES16_EEDaS11_S12_EUlS11_E_NS1_11comp_targetILNS1_3genE9ELNS1_11target_archE1100ELNS1_3gpuE3ELNS1_3repE0EEENS1_30default_config_static_selectorELNS0_4arch9wavefront6targetE1EEEvT1_,"axG",@progbits,_ZN7rocprim17ROCPRIM_400000_NS6detail17trampoline_kernelINS0_14default_configENS1_25partition_config_selectorILNS1_17partition_subalgoE5ElNS0_10empty_typeEbEEZZNS1_14partition_implILS5_5ELb0ES3_mN6hipcub16HIPCUB_304000_NS21CountingInputIteratorIllEEPS6_NSA_22TransformInputIteratorIb7NonZeroIiEPilEENS0_5tupleIJPlS6_EEENSJ_IJSD_SD_EEES6_SK_JS6_EEE10hipError_tPvRmT3_T4_T5_T6_T7_T9_mT8_P12ihipStream_tbDpT10_ENKUlT_T0_E_clISt17integral_constantIbLb1EES16_EEDaS11_S12_EUlS11_E_NS1_11comp_targetILNS1_3genE9ELNS1_11target_archE1100ELNS1_3gpuE3ELNS1_3repE0EEENS1_30default_config_static_selectorELNS0_4arch9wavefront6targetE1EEEvT1_,comdat
.Lfunc_end199:
	.size	_ZN7rocprim17ROCPRIM_400000_NS6detail17trampoline_kernelINS0_14default_configENS1_25partition_config_selectorILNS1_17partition_subalgoE5ElNS0_10empty_typeEbEEZZNS1_14partition_implILS5_5ELb0ES3_mN6hipcub16HIPCUB_304000_NS21CountingInputIteratorIllEEPS6_NSA_22TransformInputIteratorIb7NonZeroIiEPilEENS0_5tupleIJPlS6_EEENSJ_IJSD_SD_EEES6_SK_JS6_EEE10hipError_tPvRmT3_T4_T5_T6_T7_T9_mT8_P12ihipStream_tbDpT10_ENKUlT_T0_E_clISt17integral_constantIbLb1EES16_EEDaS11_S12_EUlS11_E_NS1_11comp_targetILNS1_3genE9ELNS1_11target_archE1100ELNS1_3gpuE3ELNS1_3repE0EEENS1_30default_config_static_selectorELNS0_4arch9wavefront6targetE1EEEvT1_, .Lfunc_end199-_ZN7rocprim17ROCPRIM_400000_NS6detail17trampoline_kernelINS0_14default_configENS1_25partition_config_selectorILNS1_17partition_subalgoE5ElNS0_10empty_typeEbEEZZNS1_14partition_implILS5_5ELb0ES3_mN6hipcub16HIPCUB_304000_NS21CountingInputIteratorIllEEPS6_NSA_22TransformInputIteratorIb7NonZeroIiEPilEENS0_5tupleIJPlS6_EEENSJ_IJSD_SD_EEES6_SK_JS6_EEE10hipError_tPvRmT3_T4_T5_T6_T7_T9_mT8_P12ihipStream_tbDpT10_ENKUlT_T0_E_clISt17integral_constantIbLb1EES16_EEDaS11_S12_EUlS11_E_NS1_11comp_targetILNS1_3genE9ELNS1_11target_archE1100ELNS1_3gpuE3ELNS1_3repE0EEENS1_30default_config_static_selectorELNS0_4arch9wavefront6targetE1EEEvT1_
                                        ; -- End function
	.set _ZN7rocprim17ROCPRIM_400000_NS6detail17trampoline_kernelINS0_14default_configENS1_25partition_config_selectorILNS1_17partition_subalgoE5ElNS0_10empty_typeEbEEZZNS1_14partition_implILS5_5ELb0ES3_mN6hipcub16HIPCUB_304000_NS21CountingInputIteratorIllEEPS6_NSA_22TransformInputIteratorIb7NonZeroIiEPilEENS0_5tupleIJPlS6_EEENSJ_IJSD_SD_EEES6_SK_JS6_EEE10hipError_tPvRmT3_T4_T5_T6_T7_T9_mT8_P12ihipStream_tbDpT10_ENKUlT_T0_E_clISt17integral_constantIbLb1EES16_EEDaS11_S12_EUlS11_E_NS1_11comp_targetILNS1_3genE9ELNS1_11target_archE1100ELNS1_3gpuE3ELNS1_3repE0EEENS1_30default_config_static_selectorELNS0_4arch9wavefront6targetE1EEEvT1_.num_vgpr, 0
	.set _ZN7rocprim17ROCPRIM_400000_NS6detail17trampoline_kernelINS0_14default_configENS1_25partition_config_selectorILNS1_17partition_subalgoE5ElNS0_10empty_typeEbEEZZNS1_14partition_implILS5_5ELb0ES3_mN6hipcub16HIPCUB_304000_NS21CountingInputIteratorIllEEPS6_NSA_22TransformInputIteratorIb7NonZeroIiEPilEENS0_5tupleIJPlS6_EEENSJ_IJSD_SD_EEES6_SK_JS6_EEE10hipError_tPvRmT3_T4_T5_T6_T7_T9_mT8_P12ihipStream_tbDpT10_ENKUlT_T0_E_clISt17integral_constantIbLb1EES16_EEDaS11_S12_EUlS11_E_NS1_11comp_targetILNS1_3genE9ELNS1_11target_archE1100ELNS1_3gpuE3ELNS1_3repE0EEENS1_30default_config_static_selectorELNS0_4arch9wavefront6targetE1EEEvT1_.num_agpr, 0
	.set _ZN7rocprim17ROCPRIM_400000_NS6detail17trampoline_kernelINS0_14default_configENS1_25partition_config_selectorILNS1_17partition_subalgoE5ElNS0_10empty_typeEbEEZZNS1_14partition_implILS5_5ELb0ES3_mN6hipcub16HIPCUB_304000_NS21CountingInputIteratorIllEEPS6_NSA_22TransformInputIteratorIb7NonZeroIiEPilEENS0_5tupleIJPlS6_EEENSJ_IJSD_SD_EEES6_SK_JS6_EEE10hipError_tPvRmT3_T4_T5_T6_T7_T9_mT8_P12ihipStream_tbDpT10_ENKUlT_T0_E_clISt17integral_constantIbLb1EES16_EEDaS11_S12_EUlS11_E_NS1_11comp_targetILNS1_3genE9ELNS1_11target_archE1100ELNS1_3gpuE3ELNS1_3repE0EEENS1_30default_config_static_selectorELNS0_4arch9wavefront6targetE1EEEvT1_.numbered_sgpr, 0
	.set _ZN7rocprim17ROCPRIM_400000_NS6detail17trampoline_kernelINS0_14default_configENS1_25partition_config_selectorILNS1_17partition_subalgoE5ElNS0_10empty_typeEbEEZZNS1_14partition_implILS5_5ELb0ES3_mN6hipcub16HIPCUB_304000_NS21CountingInputIteratorIllEEPS6_NSA_22TransformInputIteratorIb7NonZeroIiEPilEENS0_5tupleIJPlS6_EEENSJ_IJSD_SD_EEES6_SK_JS6_EEE10hipError_tPvRmT3_T4_T5_T6_T7_T9_mT8_P12ihipStream_tbDpT10_ENKUlT_T0_E_clISt17integral_constantIbLb1EES16_EEDaS11_S12_EUlS11_E_NS1_11comp_targetILNS1_3genE9ELNS1_11target_archE1100ELNS1_3gpuE3ELNS1_3repE0EEENS1_30default_config_static_selectorELNS0_4arch9wavefront6targetE1EEEvT1_.num_named_barrier, 0
	.set _ZN7rocprim17ROCPRIM_400000_NS6detail17trampoline_kernelINS0_14default_configENS1_25partition_config_selectorILNS1_17partition_subalgoE5ElNS0_10empty_typeEbEEZZNS1_14partition_implILS5_5ELb0ES3_mN6hipcub16HIPCUB_304000_NS21CountingInputIteratorIllEEPS6_NSA_22TransformInputIteratorIb7NonZeroIiEPilEENS0_5tupleIJPlS6_EEENSJ_IJSD_SD_EEES6_SK_JS6_EEE10hipError_tPvRmT3_T4_T5_T6_T7_T9_mT8_P12ihipStream_tbDpT10_ENKUlT_T0_E_clISt17integral_constantIbLb1EES16_EEDaS11_S12_EUlS11_E_NS1_11comp_targetILNS1_3genE9ELNS1_11target_archE1100ELNS1_3gpuE3ELNS1_3repE0EEENS1_30default_config_static_selectorELNS0_4arch9wavefront6targetE1EEEvT1_.private_seg_size, 0
	.set _ZN7rocprim17ROCPRIM_400000_NS6detail17trampoline_kernelINS0_14default_configENS1_25partition_config_selectorILNS1_17partition_subalgoE5ElNS0_10empty_typeEbEEZZNS1_14partition_implILS5_5ELb0ES3_mN6hipcub16HIPCUB_304000_NS21CountingInputIteratorIllEEPS6_NSA_22TransformInputIteratorIb7NonZeroIiEPilEENS0_5tupleIJPlS6_EEENSJ_IJSD_SD_EEES6_SK_JS6_EEE10hipError_tPvRmT3_T4_T5_T6_T7_T9_mT8_P12ihipStream_tbDpT10_ENKUlT_T0_E_clISt17integral_constantIbLb1EES16_EEDaS11_S12_EUlS11_E_NS1_11comp_targetILNS1_3genE9ELNS1_11target_archE1100ELNS1_3gpuE3ELNS1_3repE0EEENS1_30default_config_static_selectorELNS0_4arch9wavefront6targetE1EEEvT1_.uses_vcc, 0
	.set _ZN7rocprim17ROCPRIM_400000_NS6detail17trampoline_kernelINS0_14default_configENS1_25partition_config_selectorILNS1_17partition_subalgoE5ElNS0_10empty_typeEbEEZZNS1_14partition_implILS5_5ELb0ES3_mN6hipcub16HIPCUB_304000_NS21CountingInputIteratorIllEEPS6_NSA_22TransformInputIteratorIb7NonZeroIiEPilEENS0_5tupleIJPlS6_EEENSJ_IJSD_SD_EEES6_SK_JS6_EEE10hipError_tPvRmT3_T4_T5_T6_T7_T9_mT8_P12ihipStream_tbDpT10_ENKUlT_T0_E_clISt17integral_constantIbLb1EES16_EEDaS11_S12_EUlS11_E_NS1_11comp_targetILNS1_3genE9ELNS1_11target_archE1100ELNS1_3gpuE3ELNS1_3repE0EEENS1_30default_config_static_selectorELNS0_4arch9wavefront6targetE1EEEvT1_.uses_flat_scratch, 0
	.set _ZN7rocprim17ROCPRIM_400000_NS6detail17trampoline_kernelINS0_14default_configENS1_25partition_config_selectorILNS1_17partition_subalgoE5ElNS0_10empty_typeEbEEZZNS1_14partition_implILS5_5ELb0ES3_mN6hipcub16HIPCUB_304000_NS21CountingInputIteratorIllEEPS6_NSA_22TransformInputIteratorIb7NonZeroIiEPilEENS0_5tupleIJPlS6_EEENSJ_IJSD_SD_EEES6_SK_JS6_EEE10hipError_tPvRmT3_T4_T5_T6_T7_T9_mT8_P12ihipStream_tbDpT10_ENKUlT_T0_E_clISt17integral_constantIbLb1EES16_EEDaS11_S12_EUlS11_E_NS1_11comp_targetILNS1_3genE9ELNS1_11target_archE1100ELNS1_3gpuE3ELNS1_3repE0EEENS1_30default_config_static_selectorELNS0_4arch9wavefront6targetE1EEEvT1_.has_dyn_sized_stack, 0
	.set _ZN7rocprim17ROCPRIM_400000_NS6detail17trampoline_kernelINS0_14default_configENS1_25partition_config_selectorILNS1_17partition_subalgoE5ElNS0_10empty_typeEbEEZZNS1_14partition_implILS5_5ELb0ES3_mN6hipcub16HIPCUB_304000_NS21CountingInputIteratorIllEEPS6_NSA_22TransformInputIteratorIb7NonZeroIiEPilEENS0_5tupleIJPlS6_EEENSJ_IJSD_SD_EEES6_SK_JS6_EEE10hipError_tPvRmT3_T4_T5_T6_T7_T9_mT8_P12ihipStream_tbDpT10_ENKUlT_T0_E_clISt17integral_constantIbLb1EES16_EEDaS11_S12_EUlS11_E_NS1_11comp_targetILNS1_3genE9ELNS1_11target_archE1100ELNS1_3gpuE3ELNS1_3repE0EEENS1_30default_config_static_selectorELNS0_4arch9wavefront6targetE1EEEvT1_.has_recursion, 0
	.set _ZN7rocprim17ROCPRIM_400000_NS6detail17trampoline_kernelINS0_14default_configENS1_25partition_config_selectorILNS1_17partition_subalgoE5ElNS0_10empty_typeEbEEZZNS1_14partition_implILS5_5ELb0ES3_mN6hipcub16HIPCUB_304000_NS21CountingInputIteratorIllEEPS6_NSA_22TransformInputIteratorIb7NonZeroIiEPilEENS0_5tupleIJPlS6_EEENSJ_IJSD_SD_EEES6_SK_JS6_EEE10hipError_tPvRmT3_T4_T5_T6_T7_T9_mT8_P12ihipStream_tbDpT10_ENKUlT_T0_E_clISt17integral_constantIbLb1EES16_EEDaS11_S12_EUlS11_E_NS1_11comp_targetILNS1_3genE9ELNS1_11target_archE1100ELNS1_3gpuE3ELNS1_3repE0EEENS1_30default_config_static_selectorELNS0_4arch9wavefront6targetE1EEEvT1_.has_indirect_call, 0
	.section	.AMDGPU.csdata,"",@progbits
; Kernel info:
; codeLenInByte = 0
; TotalNumSgprs: 4
; NumVgprs: 0
; ScratchSize: 0
; MemoryBound: 0
; FloatMode: 240
; IeeeMode: 1
; LDSByteSize: 0 bytes/workgroup (compile time only)
; SGPRBlocks: 0
; VGPRBlocks: 0
; NumSGPRsForWavesPerEU: 4
; NumVGPRsForWavesPerEU: 1
; Occupancy: 10
; WaveLimiterHint : 0
; COMPUTE_PGM_RSRC2:SCRATCH_EN: 0
; COMPUTE_PGM_RSRC2:USER_SGPR: 6
; COMPUTE_PGM_RSRC2:TRAP_HANDLER: 0
; COMPUTE_PGM_RSRC2:TGID_X_EN: 1
; COMPUTE_PGM_RSRC2:TGID_Y_EN: 0
; COMPUTE_PGM_RSRC2:TGID_Z_EN: 0
; COMPUTE_PGM_RSRC2:TIDIG_COMP_CNT: 0
	.section	.text._ZN7rocprim17ROCPRIM_400000_NS6detail17trampoline_kernelINS0_14default_configENS1_25partition_config_selectorILNS1_17partition_subalgoE5ElNS0_10empty_typeEbEEZZNS1_14partition_implILS5_5ELb0ES3_mN6hipcub16HIPCUB_304000_NS21CountingInputIteratorIllEEPS6_NSA_22TransformInputIteratorIb7NonZeroIiEPilEENS0_5tupleIJPlS6_EEENSJ_IJSD_SD_EEES6_SK_JS6_EEE10hipError_tPvRmT3_T4_T5_T6_T7_T9_mT8_P12ihipStream_tbDpT10_ENKUlT_T0_E_clISt17integral_constantIbLb1EES16_EEDaS11_S12_EUlS11_E_NS1_11comp_targetILNS1_3genE8ELNS1_11target_archE1030ELNS1_3gpuE2ELNS1_3repE0EEENS1_30default_config_static_selectorELNS0_4arch9wavefront6targetE1EEEvT1_,"axG",@progbits,_ZN7rocprim17ROCPRIM_400000_NS6detail17trampoline_kernelINS0_14default_configENS1_25partition_config_selectorILNS1_17partition_subalgoE5ElNS0_10empty_typeEbEEZZNS1_14partition_implILS5_5ELb0ES3_mN6hipcub16HIPCUB_304000_NS21CountingInputIteratorIllEEPS6_NSA_22TransformInputIteratorIb7NonZeroIiEPilEENS0_5tupleIJPlS6_EEENSJ_IJSD_SD_EEES6_SK_JS6_EEE10hipError_tPvRmT3_T4_T5_T6_T7_T9_mT8_P12ihipStream_tbDpT10_ENKUlT_T0_E_clISt17integral_constantIbLb1EES16_EEDaS11_S12_EUlS11_E_NS1_11comp_targetILNS1_3genE8ELNS1_11target_archE1030ELNS1_3gpuE2ELNS1_3repE0EEENS1_30default_config_static_selectorELNS0_4arch9wavefront6targetE1EEEvT1_,comdat
	.protected	_ZN7rocprim17ROCPRIM_400000_NS6detail17trampoline_kernelINS0_14default_configENS1_25partition_config_selectorILNS1_17partition_subalgoE5ElNS0_10empty_typeEbEEZZNS1_14partition_implILS5_5ELb0ES3_mN6hipcub16HIPCUB_304000_NS21CountingInputIteratorIllEEPS6_NSA_22TransformInputIteratorIb7NonZeroIiEPilEENS0_5tupleIJPlS6_EEENSJ_IJSD_SD_EEES6_SK_JS6_EEE10hipError_tPvRmT3_T4_T5_T6_T7_T9_mT8_P12ihipStream_tbDpT10_ENKUlT_T0_E_clISt17integral_constantIbLb1EES16_EEDaS11_S12_EUlS11_E_NS1_11comp_targetILNS1_3genE8ELNS1_11target_archE1030ELNS1_3gpuE2ELNS1_3repE0EEENS1_30default_config_static_selectorELNS0_4arch9wavefront6targetE1EEEvT1_ ; -- Begin function _ZN7rocprim17ROCPRIM_400000_NS6detail17trampoline_kernelINS0_14default_configENS1_25partition_config_selectorILNS1_17partition_subalgoE5ElNS0_10empty_typeEbEEZZNS1_14partition_implILS5_5ELb0ES3_mN6hipcub16HIPCUB_304000_NS21CountingInputIteratorIllEEPS6_NSA_22TransformInputIteratorIb7NonZeroIiEPilEENS0_5tupleIJPlS6_EEENSJ_IJSD_SD_EEES6_SK_JS6_EEE10hipError_tPvRmT3_T4_T5_T6_T7_T9_mT8_P12ihipStream_tbDpT10_ENKUlT_T0_E_clISt17integral_constantIbLb1EES16_EEDaS11_S12_EUlS11_E_NS1_11comp_targetILNS1_3genE8ELNS1_11target_archE1030ELNS1_3gpuE2ELNS1_3repE0EEENS1_30default_config_static_selectorELNS0_4arch9wavefront6targetE1EEEvT1_
	.globl	_ZN7rocprim17ROCPRIM_400000_NS6detail17trampoline_kernelINS0_14default_configENS1_25partition_config_selectorILNS1_17partition_subalgoE5ElNS0_10empty_typeEbEEZZNS1_14partition_implILS5_5ELb0ES3_mN6hipcub16HIPCUB_304000_NS21CountingInputIteratorIllEEPS6_NSA_22TransformInputIteratorIb7NonZeroIiEPilEENS0_5tupleIJPlS6_EEENSJ_IJSD_SD_EEES6_SK_JS6_EEE10hipError_tPvRmT3_T4_T5_T6_T7_T9_mT8_P12ihipStream_tbDpT10_ENKUlT_T0_E_clISt17integral_constantIbLb1EES16_EEDaS11_S12_EUlS11_E_NS1_11comp_targetILNS1_3genE8ELNS1_11target_archE1030ELNS1_3gpuE2ELNS1_3repE0EEENS1_30default_config_static_selectorELNS0_4arch9wavefront6targetE1EEEvT1_
	.p2align	8
	.type	_ZN7rocprim17ROCPRIM_400000_NS6detail17trampoline_kernelINS0_14default_configENS1_25partition_config_selectorILNS1_17partition_subalgoE5ElNS0_10empty_typeEbEEZZNS1_14partition_implILS5_5ELb0ES3_mN6hipcub16HIPCUB_304000_NS21CountingInputIteratorIllEEPS6_NSA_22TransformInputIteratorIb7NonZeroIiEPilEENS0_5tupleIJPlS6_EEENSJ_IJSD_SD_EEES6_SK_JS6_EEE10hipError_tPvRmT3_T4_T5_T6_T7_T9_mT8_P12ihipStream_tbDpT10_ENKUlT_T0_E_clISt17integral_constantIbLb1EES16_EEDaS11_S12_EUlS11_E_NS1_11comp_targetILNS1_3genE8ELNS1_11target_archE1030ELNS1_3gpuE2ELNS1_3repE0EEENS1_30default_config_static_selectorELNS0_4arch9wavefront6targetE1EEEvT1_,@function
_ZN7rocprim17ROCPRIM_400000_NS6detail17trampoline_kernelINS0_14default_configENS1_25partition_config_selectorILNS1_17partition_subalgoE5ElNS0_10empty_typeEbEEZZNS1_14partition_implILS5_5ELb0ES3_mN6hipcub16HIPCUB_304000_NS21CountingInputIteratorIllEEPS6_NSA_22TransformInputIteratorIb7NonZeroIiEPilEENS0_5tupleIJPlS6_EEENSJ_IJSD_SD_EEES6_SK_JS6_EEE10hipError_tPvRmT3_T4_T5_T6_T7_T9_mT8_P12ihipStream_tbDpT10_ENKUlT_T0_E_clISt17integral_constantIbLb1EES16_EEDaS11_S12_EUlS11_E_NS1_11comp_targetILNS1_3genE8ELNS1_11target_archE1030ELNS1_3gpuE2ELNS1_3repE0EEENS1_30default_config_static_selectorELNS0_4arch9wavefront6targetE1EEEvT1_: ; @_ZN7rocprim17ROCPRIM_400000_NS6detail17trampoline_kernelINS0_14default_configENS1_25partition_config_selectorILNS1_17partition_subalgoE5ElNS0_10empty_typeEbEEZZNS1_14partition_implILS5_5ELb0ES3_mN6hipcub16HIPCUB_304000_NS21CountingInputIteratorIllEEPS6_NSA_22TransformInputIteratorIb7NonZeroIiEPilEENS0_5tupleIJPlS6_EEENSJ_IJSD_SD_EEES6_SK_JS6_EEE10hipError_tPvRmT3_T4_T5_T6_T7_T9_mT8_P12ihipStream_tbDpT10_ENKUlT_T0_E_clISt17integral_constantIbLb1EES16_EEDaS11_S12_EUlS11_E_NS1_11comp_targetILNS1_3genE8ELNS1_11target_archE1030ELNS1_3gpuE2ELNS1_3repE0EEENS1_30default_config_static_selectorELNS0_4arch9wavefront6targetE1EEEvT1_
; %bb.0:
	.section	.rodata,"a",@progbits
	.p2align	6, 0x0
	.amdhsa_kernel _ZN7rocprim17ROCPRIM_400000_NS6detail17trampoline_kernelINS0_14default_configENS1_25partition_config_selectorILNS1_17partition_subalgoE5ElNS0_10empty_typeEbEEZZNS1_14partition_implILS5_5ELb0ES3_mN6hipcub16HIPCUB_304000_NS21CountingInputIteratorIllEEPS6_NSA_22TransformInputIteratorIb7NonZeroIiEPilEENS0_5tupleIJPlS6_EEENSJ_IJSD_SD_EEES6_SK_JS6_EEE10hipError_tPvRmT3_T4_T5_T6_T7_T9_mT8_P12ihipStream_tbDpT10_ENKUlT_T0_E_clISt17integral_constantIbLb1EES16_EEDaS11_S12_EUlS11_E_NS1_11comp_targetILNS1_3genE8ELNS1_11target_archE1030ELNS1_3gpuE2ELNS1_3repE0EEENS1_30default_config_static_selectorELNS0_4arch9wavefront6targetE1EEEvT1_
		.amdhsa_group_segment_fixed_size 0
		.amdhsa_private_segment_fixed_size 0
		.amdhsa_kernarg_size 136
		.amdhsa_user_sgpr_count 6
		.amdhsa_user_sgpr_private_segment_buffer 1
		.amdhsa_user_sgpr_dispatch_ptr 0
		.amdhsa_user_sgpr_queue_ptr 0
		.amdhsa_user_sgpr_kernarg_segment_ptr 1
		.amdhsa_user_sgpr_dispatch_id 0
		.amdhsa_user_sgpr_flat_scratch_init 0
		.amdhsa_user_sgpr_private_segment_size 0
		.amdhsa_uses_dynamic_stack 0
		.amdhsa_system_sgpr_private_segment_wavefront_offset 0
		.amdhsa_system_sgpr_workgroup_id_x 1
		.amdhsa_system_sgpr_workgroup_id_y 0
		.amdhsa_system_sgpr_workgroup_id_z 0
		.amdhsa_system_sgpr_workgroup_info 0
		.amdhsa_system_vgpr_workitem_id 0
		.amdhsa_next_free_vgpr 1
		.amdhsa_next_free_sgpr 0
		.amdhsa_reserve_vcc 0
		.amdhsa_reserve_flat_scratch 0
		.amdhsa_float_round_mode_32 0
		.amdhsa_float_round_mode_16_64 0
		.amdhsa_float_denorm_mode_32 3
		.amdhsa_float_denorm_mode_16_64 3
		.amdhsa_dx10_clamp 1
		.amdhsa_ieee_mode 1
		.amdhsa_fp16_overflow 0
		.amdhsa_exception_fp_ieee_invalid_op 0
		.amdhsa_exception_fp_denorm_src 0
		.amdhsa_exception_fp_ieee_div_zero 0
		.amdhsa_exception_fp_ieee_overflow 0
		.amdhsa_exception_fp_ieee_underflow 0
		.amdhsa_exception_fp_ieee_inexact 0
		.amdhsa_exception_int_div_zero 0
	.end_amdhsa_kernel
	.section	.text._ZN7rocprim17ROCPRIM_400000_NS6detail17trampoline_kernelINS0_14default_configENS1_25partition_config_selectorILNS1_17partition_subalgoE5ElNS0_10empty_typeEbEEZZNS1_14partition_implILS5_5ELb0ES3_mN6hipcub16HIPCUB_304000_NS21CountingInputIteratorIllEEPS6_NSA_22TransformInputIteratorIb7NonZeroIiEPilEENS0_5tupleIJPlS6_EEENSJ_IJSD_SD_EEES6_SK_JS6_EEE10hipError_tPvRmT3_T4_T5_T6_T7_T9_mT8_P12ihipStream_tbDpT10_ENKUlT_T0_E_clISt17integral_constantIbLb1EES16_EEDaS11_S12_EUlS11_E_NS1_11comp_targetILNS1_3genE8ELNS1_11target_archE1030ELNS1_3gpuE2ELNS1_3repE0EEENS1_30default_config_static_selectorELNS0_4arch9wavefront6targetE1EEEvT1_,"axG",@progbits,_ZN7rocprim17ROCPRIM_400000_NS6detail17trampoline_kernelINS0_14default_configENS1_25partition_config_selectorILNS1_17partition_subalgoE5ElNS0_10empty_typeEbEEZZNS1_14partition_implILS5_5ELb0ES3_mN6hipcub16HIPCUB_304000_NS21CountingInputIteratorIllEEPS6_NSA_22TransformInputIteratorIb7NonZeroIiEPilEENS0_5tupleIJPlS6_EEENSJ_IJSD_SD_EEES6_SK_JS6_EEE10hipError_tPvRmT3_T4_T5_T6_T7_T9_mT8_P12ihipStream_tbDpT10_ENKUlT_T0_E_clISt17integral_constantIbLb1EES16_EEDaS11_S12_EUlS11_E_NS1_11comp_targetILNS1_3genE8ELNS1_11target_archE1030ELNS1_3gpuE2ELNS1_3repE0EEENS1_30default_config_static_selectorELNS0_4arch9wavefront6targetE1EEEvT1_,comdat
.Lfunc_end200:
	.size	_ZN7rocprim17ROCPRIM_400000_NS6detail17trampoline_kernelINS0_14default_configENS1_25partition_config_selectorILNS1_17partition_subalgoE5ElNS0_10empty_typeEbEEZZNS1_14partition_implILS5_5ELb0ES3_mN6hipcub16HIPCUB_304000_NS21CountingInputIteratorIllEEPS6_NSA_22TransformInputIteratorIb7NonZeroIiEPilEENS0_5tupleIJPlS6_EEENSJ_IJSD_SD_EEES6_SK_JS6_EEE10hipError_tPvRmT3_T4_T5_T6_T7_T9_mT8_P12ihipStream_tbDpT10_ENKUlT_T0_E_clISt17integral_constantIbLb1EES16_EEDaS11_S12_EUlS11_E_NS1_11comp_targetILNS1_3genE8ELNS1_11target_archE1030ELNS1_3gpuE2ELNS1_3repE0EEENS1_30default_config_static_selectorELNS0_4arch9wavefront6targetE1EEEvT1_, .Lfunc_end200-_ZN7rocprim17ROCPRIM_400000_NS6detail17trampoline_kernelINS0_14default_configENS1_25partition_config_selectorILNS1_17partition_subalgoE5ElNS0_10empty_typeEbEEZZNS1_14partition_implILS5_5ELb0ES3_mN6hipcub16HIPCUB_304000_NS21CountingInputIteratorIllEEPS6_NSA_22TransformInputIteratorIb7NonZeroIiEPilEENS0_5tupleIJPlS6_EEENSJ_IJSD_SD_EEES6_SK_JS6_EEE10hipError_tPvRmT3_T4_T5_T6_T7_T9_mT8_P12ihipStream_tbDpT10_ENKUlT_T0_E_clISt17integral_constantIbLb1EES16_EEDaS11_S12_EUlS11_E_NS1_11comp_targetILNS1_3genE8ELNS1_11target_archE1030ELNS1_3gpuE2ELNS1_3repE0EEENS1_30default_config_static_selectorELNS0_4arch9wavefront6targetE1EEEvT1_
                                        ; -- End function
	.set _ZN7rocprim17ROCPRIM_400000_NS6detail17trampoline_kernelINS0_14default_configENS1_25partition_config_selectorILNS1_17partition_subalgoE5ElNS0_10empty_typeEbEEZZNS1_14partition_implILS5_5ELb0ES3_mN6hipcub16HIPCUB_304000_NS21CountingInputIteratorIllEEPS6_NSA_22TransformInputIteratorIb7NonZeroIiEPilEENS0_5tupleIJPlS6_EEENSJ_IJSD_SD_EEES6_SK_JS6_EEE10hipError_tPvRmT3_T4_T5_T6_T7_T9_mT8_P12ihipStream_tbDpT10_ENKUlT_T0_E_clISt17integral_constantIbLb1EES16_EEDaS11_S12_EUlS11_E_NS1_11comp_targetILNS1_3genE8ELNS1_11target_archE1030ELNS1_3gpuE2ELNS1_3repE0EEENS1_30default_config_static_selectorELNS0_4arch9wavefront6targetE1EEEvT1_.num_vgpr, 0
	.set _ZN7rocprim17ROCPRIM_400000_NS6detail17trampoline_kernelINS0_14default_configENS1_25partition_config_selectorILNS1_17partition_subalgoE5ElNS0_10empty_typeEbEEZZNS1_14partition_implILS5_5ELb0ES3_mN6hipcub16HIPCUB_304000_NS21CountingInputIteratorIllEEPS6_NSA_22TransformInputIteratorIb7NonZeroIiEPilEENS0_5tupleIJPlS6_EEENSJ_IJSD_SD_EEES6_SK_JS6_EEE10hipError_tPvRmT3_T4_T5_T6_T7_T9_mT8_P12ihipStream_tbDpT10_ENKUlT_T0_E_clISt17integral_constantIbLb1EES16_EEDaS11_S12_EUlS11_E_NS1_11comp_targetILNS1_3genE8ELNS1_11target_archE1030ELNS1_3gpuE2ELNS1_3repE0EEENS1_30default_config_static_selectorELNS0_4arch9wavefront6targetE1EEEvT1_.num_agpr, 0
	.set _ZN7rocprim17ROCPRIM_400000_NS6detail17trampoline_kernelINS0_14default_configENS1_25partition_config_selectorILNS1_17partition_subalgoE5ElNS0_10empty_typeEbEEZZNS1_14partition_implILS5_5ELb0ES3_mN6hipcub16HIPCUB_304000_NS21CountingInputIteratorIllEEPS6_NSA_22TransformInputIteratorIb7NonZeroIiEPilEENS0_5tupleIJPlS6_EEENSJ_IJSD_SD_EEES6_SK_JS6_EEE10hipError_tPvRmT3_T4_T5_T6_T7_T9_mT8_P12ihipStream_tbDpT10_ENKUlT_T0_E_clISt17integral_constantIbLb1EES16_EEDaS11_S12_EUlS11_E_NS1_11comp_targetILNS1_3genE8ELNS1_11target_archE1030ELNS1_3gpuE2ELNS1_3repE0EEENS1_30default_config_static_selectorELNS0_4arch9wavefront6targetE1EEEvT1_.numbered_sgpr, 0
	.set _ZN7rocprim17ROCPRIM_400000_NS6detail17trampoline_kernelINS0_14default_configENS1_25partition_config_selectorILNS1_17partition_subalgoE5ElNS0_10empty_typeEbEEZZNS1_14partition_implILS5_5ELb0ES3_mN6hipcub16HIPCUB_304000_NS21CountingInputIteratorIllEEPS6_NSA_22TransformInputIteratorIb7NonZeroIiEPilEENS0_5tupleIJPlS6_EEENSJ_IJSD_SD_EEES6_SK_JS6_EEE10hipError_tPvRmT3_T4_T5_T6_T7_T9_mT8_P12ihipStream_tbDpT10_ENKUlT_T0_E_clISt17integral_constantIbLb1EES16_EEDaS11_S12_EUlS11_E_NS1_11comp_targetILNS1_3genE8ELNS1_11target_archE1030ELNS1_3gpuE2ELNS1_3repE0EEENS1_30default_config_static_selectorELNS0_4arch9wavefront6targetE1EEEvT1_.num_named_barrier, 0
	.set _ZN7rocprim17ROCPRIM_400000_NS6detail17trampoline_kernelINS0_14default_configENS1_25partition_config_selectorILNS1_17partition_subalgoE5ElNS0_10empty_typeEbEEZZNS1_14partition_implILS5_5ELb0ES3_mN6hipcub16HIPCUB_304000_NS21CountingInputIteratorIllEEPS6_NSA_22TransformInputIteratorIb7NonZeroIiEPilEENS0_5tupleIJPlS6_EEENSJ_IJSD_SD_EEES6_SK_JS6_EEE10hipError_tPvRmT3_T4_T5_T6_T7_T9_mT8_P12ihipStream_tbDpT10_ENKUlT_T0_E_clISt17integral_constantIbLb1EES16_EEDaS11_S12_EUlS11_E_NS1_11comp_targetILNS1_3genE8ELNS1_11target_archE1030ELNS1_3gpuE2ELNS1_3repE0EEENS1_30default_config_static_selectorELNS0_4arch9wavefront6targetE1EEEvT1_.private_seg_size, 0
	.set _ZN7rocprim17ROCPRIM_400000_NS6detail17trampoline_kernelINS0_14default_configENS1_25partition_config_selectorILNS1_17partition_subalgoE5ElNS0_10empty_typeEbEEZZNS1_14partition_implILS5_5ELb0ES3_mN6hipcub16HIPCUB_304000_NS21CountingInputIteratorIllEEPS6_NSA_22TransformInputIteratorIb7NonZeroIiEPilEENS0_5tupleIJPlS6_EEENSJ_IJSD_SD_EEES6_SK_JS6_EEE10hipError_tPvRmT3_T4_T5_T6_T7_T9_mT8_P12ihipStream_tbDpT10_ENKUlT_T0_E_clISt17integral_constantIbLb1EES16_EEDaS11_S12_EUlS11_E_NS1_11comp_targetILNS1_3genE8ELNS1_11target_archE1030ELNS1_3gpuE2ELNS1_3repE0EEENS1_30default_config_static_selectorELNS0_4arch9wavefront6targetE1EEEvT1_.uses_vcc, 0
	.set _ZN7rocprim17ROCPRIM_400000_NS6detail17trampoline_kernelINS0_14default_configENS1_25partition_config_selectorILNS1_17partition_subalgoE5ElNS0_10empty_typeEbEEZZNS1_14partition_implILS5_5ELb0ES3_mN6hipcub16HIPCUB_304000_NS21CountingInputIteratorIllEEPS6_NSA_22TransformInputIteratorIb7NonZeroIiEPilEENS0_5tupleIJPlS6_EEENSJ_IJSD_SD_EEES6_SK_JS6_EEE10hipError_tPvRmT3_T4_T5_T6_T7_T9_mT8_P12ihipStream_tbDpT10_ENKUlT_T0_E_clISt17integral_constantIbLb1EES16_EEDaS11_S12_EUlS11_E_NS1_11comp_targetILNS1_3genE8ELNS1_11target_archE1030ELNS1_3gpuE2ELNS1_3repE0EEENS1_30default_config_static_selectorELNS0_4arch9wavefront6targetE1EEEvT1_.uses_flat_scratch, 0
	.set _ZN7rocprim17ROCPRIM_400000_NS6detail17trampoline_kernelINS0_14default_configENS1_25partition_config_selectorILNS1_17partition_subalgoE5ElNS0_10empty_typeEbEEZZNS1_14partition_implILS5_5ELb0ES3_mN6hipcub16HIPCUB_304000_NS21CountingInputIteratorIllEEPS6_NSA_22TransformInputIteratorIb7NonZeroIiEPilEENS0_5tupleIJPlS6_EEENSJ_IJSD_SD_EEES6_SK_JS6_EEE10hipError_tPvRmT3_T4_T5_T6_T7_T9_mT8_P12ihipStream_tbDpT10_ENKUlT_T0_E_clISt17integral_constantIbLb1EES16_EEDaS11_S12_EUlS11_E_NS1_11comp_targetILNS1_3genE8ELNS1_11target_archE1030ELNS1_3gpuE2ELNS1_3repE0EEENS1_30default_config_static_selectorELNS0_4arch9wavefront6targetE1EEEvT1_.has_dyn_sized_stack, 0
	.set _ZN7rocprim17ROCPRIM_400000_NS6detail17trampoline_kernelINS0_14default_configENS1_25partition_config_selectorILNS1_17partition_subalgoE5ElNS0_10empty_typeEbEEZZNS1_14partition_implILS5_5ELb0ES3_mN6hipcub16HIPCUB_304000_NS21CountingInputIteratorIllEEPS6_NSA_22TransformInputIteratorIb7NonZeroIiEPilEENS0_5tupleIJPlS6_EEENSJ_IJSD_SD_EEES6_SK_JS6_EEE10hipError_tPvRmT3_T4_T5_T6_T7_T9_mT8_P12ihipStream_tbDpT10_ENKUlT_T0_E_clISt17integral_constantIbLb1EES16_EEDaS11_S12_EUlS11_E_NS1_11comp_targetILNS1_3genE8ELNS1_11target_archE1030ELNS1_3gpuE2ELNS1_3repE0EEENS1_30default_config_static_selectorELNS0_4arch9wavefront6targetE1EEEvT1_.has_recursion, 0
	.set _ZN7rocprim17ROCPRIM_400000_NS6detail17trampoline_kernelINS0_14default_configENS1_25partition_config_selectorILNS1_17partition_subalgoE5ElNS0_10empty_typeEbEEZZNS1_14partition_implILS5_5ELb0ES3_mN6hipcub16HIPCUB_304000_NS21CountingInputIteratorIllEEPS6_NSA_22TransformInputIteratorIb7NonZeroIiEPilEENS0_5tupleIJPlS6_EEENSJ_IJSD_SD_EEES6_SK_JS6_EEE10hipError_tPvRmT3_T4_T5_T6_T7_T9_mT8_P12ihipStream_tbDpT10_ENKUlT_T0_E_clISt17integral_constantIbLb1EES16_EEDaS11_S12_EUlS11_E_NS1_11comp_targetILNS1_3genE8ELNS1_11target_archE1030ELNS1_3gpuE2ELNS1_3repE0EEENS1_30default_config_static_selectorELNS0_4arch9wavefront6targetE1EEEvT1_.has_indirect_call, 0
	.section	.AMDGPU.csdata,"",@progbits
; Kernel info:
; codeLenInByte = 0
; TotalNumSgprs: 4
; NumVgprs: 0
; ScratchSize: 0
; MemoryBound: 0
; FloatMode: 240
; IeeeMode: 1
; LDSByteSize: 0 bytes/workgroup (compile time only)
; SGPRBlocks: 0
; VGPRBlocks: 0
; NumSGPRsForWavesPerEU: 4
; NumVGPRsForWavesPerEU: 1
; Occupancy: 10
; WaveLimiterHint : 0
; COMPUTE_PGM_RSRC2:SCRATCH_EN: 0
; COMPUTE_PGM_RSRC2:USER_SGPR: 6
; COMPUTE_PGM_RSRC2:TRAP_HANDLER: 0
; COMPUTE_PGM_RSRC2:TGID_X_EN: 1
; COMPUTE_PGM_RSRC2:TGID_Y_EN: 0
; COMPUTE_PGM_RSRC2:TGID_Z_EN: 0
; COMPUTE_PGM_RSRC2:TIDIG_COMP_CNT: 0
	.section	.text._ZN7rocprim17ROCPRIM_400000_NS6detail17trampoline_kernelINS0_14default_configENS1_25partition_config_selectorILNS1_17partition_subalgoE5ElNS0_10empty_typeEbEEZZNS1_14partition_implILS5_5ELb0ES3_mN6hipcub16HIPCUB_304000_NS21CountingInputIteratorIllEEPS6_NSA_22TransformInputIteratorIb7NonZeroIiEPilEENS0_5tupleIJPlS6_EEENSJ_IJSD_SD_EEES6_SK_JS6_EEE10hipError_tPvRmT3_T4_T5_T6_T7_T9_mT8_P12ihipStream_tbDpT10_ENKUlT_T0_E_clISt17integral_constantIbLb1EES15_IbLb0EEEEDaS11_S12_EUlS11_E_NS1_11comp_targetILNS1_3genE0ELNS1_11target_archE4294967295ELNS1_3gpuE0ELNS1_3repE0EEENS1_30default_config_static_selectorELNS0_4arch9wavefront6targetE1EEEvT1_,"axG",@progbits,_ZN7rocprim17ROCPRIM_400000_NS6detail17trampoline_kernelINS0_14default_configENS1_25partition_config_selectorILNS1_17partition_subalgoE5ElNS0_10empty_typeEbEEZZNS1_14partition_implILS5_5ELb0ES3_mN6hipcub16HIPCUB_304000_NS21CountingInputIteratorIllEEPS6_NSA_22TransformInputIteratorIb7NonZeroIiEPilEENS0_5tupleIJPlS6_EEENSJ_IJSD_SD_EEES6_SK_JS6_EEE10hipError_tPvRmT3_T4_T5_T6_T7_T9_mT8_P12ihipStream_tbDpT10_ENKUlT_T0_E_clISt17integral_constantIbLb1EES15_IbLb0EEEEDaS11_S12_EUlS11_E_NS1_11comp_targetILNS1_3genE0ELNS1_11target_archE4294967295ELNS1_3gpuE0ELNS1_3repE0EEENS1_30default_config_static_selectorELNS0_4arch9wavefront6targetE1EEEvT1_,comdat
	.protected	_ZN7rocprim17ROCPRIM_400000_NS6detail17trampoline_kernelINS0_14default_configENS1_25partition_config_selectorILNS1_17partition_subalgoE5ElNS0_10empty_typeEbEEZZNS1_14partition_implILS5_5ELb0ES3_mN6hipcub16HIPCUB_304000_NS21CountingInputIteratorIllEEPS6_NSA_22TransformInputIteratorIb7NonZeroIiEPilEENS0_5tupleIJPlS6_EEENSJ_IJSD_SD_EEES6_SK_JS6_EEE10hipError_tPvRmT3_T4_T5_T6_T7_T9_mT8_P12ihipStream_tbDpT10_ENKUlT_T0_E_clISt17integral_constantIbLb1EES15_IbLb0EEEEDaS11_S12_EUlS11_E_NS1_11comp_targetILNS1_3genE0ELNS1_11target_archE4294967295ELNS1_3gpuE0ELNS1_3repE0EEENS1_30default_config_static_selectorELNS0_4arch9wavefront6targetE1EEEvT1_ ; -- Begin function _ZN7rocprim17ROCPRIM_400000_NS6detail17trampoline_kernelINS0_14default_configENS1_25partition_config_selectorILNS1_17partition_subalgoE5ElNS0_10empty_typeEbEEZZNS1_14partition_implILS5_5ELb0ES3_mN6hipcub16HIPCUB_304000_NS21CountingInputIteratorIllEEPS6_NSA_22TransformInputIteratorIb7NonZeroIiEPilEENS0_5tupleIJPlS6_EEENSJ_IJSD_SD_EEES6_SK_JS6_EEE10hipError_tPvRmT3_T4_T5_T6_T7_T9_mT8_P12ihipStream_tbDpT10_ENKUlT_T0_E_clISt17integral_constantIbLb1EES15_IbLb0EEEEDaS11_S12_EUlS11_E_NS1_11comp_targetILNS1_3genE0ELNS1_11target_archE4294967295ELNS1_3gpuE0ELNS1_3repE0EEENS1_30default_config_static_selectorELNS0_4arch9wavefront6targetE1EEEvT1_
	.globl	_ZN7rocprim17ROCPRIM_400000_NS6detail17trampoline_kernelINS0_14default_configENS1_25partition_config_selectorILNS1_17partition_subalgoE5ElNS0_10empty_typeEbEEZZNS1_14partition_implILS5_5ELb0ES3_mN6hipcub16HIPCUB_304000_NS21CountingInputIteratorIllEEPS6_NSA_22TransformInputIteratorIb7NonZeroIiEPilEENS0_5tupleIJPlS6_EEENSJ_IJSD_SD_EEES6_SK_JS6_EEE10hipError_tPvRmT3_T4_T5_T6_T7_T9_mT8_P12ihipStream_tbDpT10_ENKUlT_T0_E_clISt17integral_constantIbLb1EES15_IbLb0EEEEDaS11_S12_EUlS11_E_NS1_11comp_targetILNS1_3genE0ELNS1_11target_archE4294967295ELNS1_3gpuE0ELNS1_3repE0EEENS1_30default_config_static_selectorELNS0_4arch9wavefront6targetE1EEEvT1_
	.p2align	8
	.type	_ZN7rocprim17ROCPRIM_400000_NS6detail17trampoline_kernelINS0_14default_configENS1_25partition_config_selectorILNS1_17partition_subalgoE5ElNS0_10empty_typeEbEEZZNS1_14partition_implILS5_5ELb0ES3_mN6hipcub16HIPCUB_304000_NS21CountingInputIteratorIllEEPS6_NSA_22TransformInputIteratorIb7NonZeroIiEPilEENS0_5tupleIJPlS6_EEENSJ_IJSD_SD_EEES6_SK_JS6_EEE10hipError_tPvRmT3_T4_T5_T6_T7_T9_mT8_P12ihipStream_tbDpT10_ENKUlT_T0_E_clISt17integral_constantIbLb1EES15_IbLb0EEEEDaS11_S12_EUlS11_E_NS1_11comp_targetILNS1_3genE0ELNS1_11target_archE4294967295ELNS1_3gpuE0ELNS1_3repE0EEENS1_30default_config_static_selectorELNS0_4arch9wavefront6targetE1EEEvT1_,@function
_ZN7rocprim17ROCPRIM_400000_NS6detail17trampoline_kernelINS0_14default_configENS1_25partition_config_selectorILNS1_17partition_subalgoE5ElNS0_10empty_typeEbEEZZNS1_14partition_implILS5_5ELb0ES3_mN6hipcub16HIPCUB_304000_NS21CountingInputIteratorIllEEPS6_NSA_22TransformInputIteratorIb7NonZeroIiEPilEENS0_5tupleIJPlS6_EEENSJ_IJSD_SD_EEES6_SK_JS6_EEE10hipError_tPvRmT3_T4_T5_T6_T7_T9_mT8_P12ihipStream_tbDpT10_ENKUlT_T0_E_clISt17integral_constantIbLb1EES15_IbLb0EEEEDaS11_S12_EUlS11_E_NS1_11comp_targetILNS1_3genE0ELNS1_11target_archE4294967295ELNS1_3gpuE0ELNS1_3repE0EEENS1_30default_config_static_selectorELNS0_4arch9wavefront6targetE1EEEvT1_: ; @_ZN7rocprim17ROCPRIM_400000_NS6detail17trampoline_kernelINS0_14default_configENS1_25partition_config_selectorILNS1_17partition_subalgoE5ElNS0_10empty_typeEbEEZZNS1_14partition_implILS5_5ELb0ES3_mN6hipcub16HIPCUB_304000_NS21CountingInputIteratorIllEEPS6_NSA_22TransformInputIteratorIb7NonZeroIiEPilEENS0_5tupleIJPlS6_EEENSJ_IJSD_SD_EEES6_SK_JS6_EEE10hipError_tPvRmT3_T4_T5_T6_T7_T9_mT8_P12ihipStream_tbDpT10_ENKUlT_T0_E_clISt17integral_constantIbLb1EES15_IbLb0EEEEDaS11_S12_EUlS11_E_NS1_11comp_targetILNS1_3genE0ELNS1_11target_archE4294967295ELNS1_3gpuE0ELNS1_3repE0EEENS1_30default_config_static_selectorELNS0_4arch9wavefront6targetE1EEEvT1_
; %bb.0:
	.section	.rodata,"a",@progbits
	.p2align	6, 0x0
	.amdhsa_kernel _ZN7rocprim17ROCPRIM_400000_NS6detail17trampoline_kernelINS0_14default_configENS1_25partition_config_selectorILNS1_17partition_subalgoE5ElNS0_10empty_typeEbEEZZNS1_14partition_implILS5_5ELb0ES3_mN6hipcub16HIPCUB_304000_NS21CountingInputIteratorIllEEPS6_NSA_22TransformInputIteratorIb7NonZeroIiEPilEENS0_5tupleIJPlS6_EEENSJ_IJSD_SD_EEES6_SK_JS6_EEE10hipError_tPvRmT3_T4_T5_T6_T7_T9_mT8_P12ihipStream_tbDpT10_ENKUlT_T0_E_clISt17integral_constantIbLb1EES15_IbLb0EEEEDaS11_S12_EUlS11_E_NS1_11comp_targetILNS1_3genE0ELNS1_11target_archE4294967295ELNS1_3gpuE0ELNS1_3repE0EEENS1_30default_config_static_selectorELNS0_4arch9wavefront6targetE1EEEvT1_
		.amdhsa_group_segment_fixed_size 0
		.amdhsa_private_segment_fixed_size 0
		.amdhsa_kernarg_size 120
		.amdhsa_user_sgpr_count 6
		.amdhsa_user_sgpr_private_segment_buffer 1
		.amdhsa_user_sgpr_dispatch_ptr 0
		.amdhsa_user_sgpr_queue_ptr 0
		.amdhsa_user_sgpr_kernarg_segment_ptr 1
		.amdhsa_user_sgpr_dispatch_id 0
		.amdhsa_user_sgpr_flat_scratch_init 0
		.amdhsa_user_sgpr_private_segment_size 0
		.amdhsa_uses_dynamic_stack 0
		.amdhsa_system_sgpr_private_segment_wavefront_offset 0
		.amdhsa_system_sgpr_workgroup_id_x 1
		.amdhsa_system_sgpr_workgroup_id_y 0
		.amdhsa_system_sgpr_workgroup_id_z 0
		.amdhsa_system_sgpr_workgroup_info 0
		.amdhsa_system_vgpr_workitem_id 0
		.amdhsa_next_free_vgpr 1
		.amdhsa_next_free_sgpr 0
		.amdhsa_reserve_vcc 0
		.amdhsa_reserve_flat_scratch 0
		.amdhsa_float_round_mode_32 0
		.amdhsa_float_round_mode_16_64 0
		.amdhsa_float_denorm_mode_32 3
		.amdhsa_float_denorm_mode_16_64 3
		.amdhsa_dx10_clamp 1
		.amdhsa_ieee_mode 1
		.amdhsa_fp16_overflow 0
		.amdhsa_exception_fp_ieee_invalid_op 0
		.amdhsa_exception_fp_denorm_src 0
		.amdhsa_exception_fp_ieee_div_zero 0
		.amdhsa_exception_fp_ieee_overflow 0
		.amdhsa_exception_fp_ieee_underflow 0
		.amdhsa_exception_fp_ieee_inexact 0
		.amdhsa_exception_int_div_zero 0
	.end_amdhsa_kernel
	.section	.text._ZN7rocprim17ROCPRIM_400000_NS6detail17trampoline_kernelINS0_14default_configENS1_25partition_config_selectorILNS1_17partition_subalgoE5ElNS0_10empty_typeEbEEZZNS1_14partition_implILS5_5ELb0ES3_mN6hipcub16HIPCUB_304000_NS21CountingInputIteratorIllEEPS6_NSA_22TransformInputIteratorIb7NonZeroIiEPilEENS0_5tupleIJPlS6_EEENSJ_IJSD_SD_EEES6_SK_JS6_EEE10hipError_tPvRmT3_T4_T5_T6_T7_T9_mT8_P12ihipStream_tbDpT10_ENKUlT_T0_E_clISt17integral_constantIbLb1EES15_IbLb0EEEEDaS11_S12_EUlS11_E_NS1_11comp_targetILNS1_3genE0ELNS1_11target_archE4294967295ELNS1_3gpuE0ELNS1_3repE0EEENS1_30default_config_static_selectorELNS0_4arch9wavefront6targetE1EEEvT1_,"axG",@progbits,_ZN7rocprim17ROCPRIM_400000_NS6detail17trampoline_kernelINS0_14default_configENS1_25partition_config_selectorILNS1_17partition_subalgoE5ElNS0_10empty_typeEbEEZZNS1_14partition_implILS5_5ELb0ES3_mN6hipcub16HIPCUB_304000_NS21CountingInputIteratorIllEEPS6_NSA_22TransformInputIteratorIb7NonZeroIiEPilEENS0_5tupleIJPlS6_EEENSJ_IJSD_SD_EEES6_SK_JS6_EEE10hipError_tPvRmT3_T4_T5_T6_T7_T9_mT8_P12ihipStream_tbDpT10_ENKUlT_T0_E_clISt17integral_constantIbLb1EES15_IbLb0EEEEDaS11_S12_EUlS11_E_NS1_11comp_targetILNS1_3genE0ELNS1_11target_archE4294967295ELNS1_3gpuE0ELNS1_3repE0EEENS1_30default_config_static_selectorELNS0_4arch9wavefront6targetE1EEEvT1_,comdat
.Lfunc_end201:
	.size	_ZN7rocprim17ROCPRIM_400000_NS6detail17trampoline_kernelINS0_14default_configENS1_25partition_config_selectorILNS1_17partition_subalgoE5ElNS0_10empty_typeEbEEZZNS1_14partition_implILS5_5ELb0ES3_mN6hipcub16HIPCUB_304000_NS21CountingInputIteratorIllEEPS6_NSA_22TransformInputIteratorIb7NonZeroIiEPilEENS0_5tupleIJPlS6_EEENSJ_IJSD_SD_EEES6_SK_JS6_EEE10hipError_tPvRmT3_T4_T5_T6_T7_T9_mT8_P12ihipStream_tbDpT10_ENKUlT_T0_E_clISt17integral_constantIbLb1EES15_IbLb0EEEEDaS11_S12_EUlS11_E_NS1_11comp_targetILNS1_3genE0ELNS1_11target_archE4294967295ELNS1_3gpuE0ELNS1_3repE0EEENS1_30default_config_static_selectorELNS0_4arch9wavefront6targetE1EEEvT1_, .Lfunc_end201-_ZN7rocprim17ROCPRIM_400000_NS6detail17trampoline_kernelINS0_14default_configENS1_25partition_config_selectorILNS1_17partition_subalgoE5ElNS0_10empty_typeEbEEZZNS1_14partition_implILS5_5ELb0ES3_mN6hipcub16HIPCUB_304000_NS21CountingInputIteratorIllEEPS6_NSA_22TransformInputIteratorIb7NonZeroIiEPilEENS0_5tupleIJPlS6_EEENSJ_IJSD_SD_EEES6_SK_JS6_EEE10hipError_tPvRmT3_T4_T5_T6_T7_T9_mT8_P12ihipStream_tbDpT10_ENKUlT_T0_E_clISt17integral_constantIbLb1EES15_IbLb0EEEEDaS11_S12_EUlS11_E_NS1_11comp_targetILNS1_3genE0ELNS1_11target_archE4294967295ELNS1_3gpuE0ELNS1_3repE0EEENS1_30default_config_static_selectorELNS0_4arch9wavefront6targetE1EEEvT1_
                                        ; -- End function
	.set _ZN7rocprim17ROCPRIM_400000_NS6detail17trampoline_kernelINS0_14default_configENS1_25partition_config_selectorILNS1_17partition_subalgoE5ElNS0_10empty_typeEbEEZZNS1_14partition_implILS5_5ELb0ES3_mN6hipcub16HIPCUB_304000_NS21CountingInputIteratorIllEEPS6_NSA_22TransformInputIteratorIb7NonZeroIiEPilEENS0_5tupleIJPlS6_EEENSJ_IJSD_SD_EEES6_SK_JS6_EEE10hipError_tPvRmT3_T4_T5_T6_T7_T9_mT8_P12ihipStream_tbDpT10_ENKUlT_T0_E_clISt17integral_constantIbLb1EES15_IbLb0EEEEDaS11_S12_EUlS11_E_NS1_11comp_targetILNS1_3genE0ELNS1_11target_archE4294967295ELNS1_3gpuE0ELNS1_3repE0EEENS1_30default_config_static_selectorELNS0_4arch9wavefront6targetE1EEEvT1_.num_vgpr, 0
	.set _ZN7rocprim17ROCPRIM_400000_NS6detail17trampoline_kernelINS0_14default_configENS1_25partition_config_selectorILNS1_17partition_subalgoE5ElNS0_10empty_typeEbEEZZNS1_14partition_implILS5_5ELb0ES3_mN6hipcub16HIPCUB_304000_NS21CountingInputIteratorIllEEPS6_NSA_22TransformInputIteratorIb7NonZeroIiEPilEENS0_5tupleIJPlS6_EEENSJ_IJSD_SD_EEES6_SK_JS6_EEE10hipError_tPvRmT3_T4_T5_T6_T7_T9_mT8_P12ihipStream_tbDpT10_ENKUlT_T0_E_clISt17integral_constantIbLb1EES15_IbLb0EEEEDaS11_S12_EUlS11_E_NS1_11comp_targetILNS1_3genE0ELNS1_11target_archE4294967295ELNS1_3gpuE0ELNS1_3repE0EEENS1_30default_config_static_selectorELNS0_4arch9wavefront6targetE1EEEvT1_.num_agpr, 0
	.set _ZN7rocprim17ROCPRIM_400000_NS6detail17trampoline_kernelINS0_14default_configENS1_25partition_config_selectorILNS1_17partition_subalgoE5ElNS0_10empty_typeEbEEZZNS1_14partition_implILS5_5ELb0ES3_mN6hipcub16HIPCUB_304000_NS21CountingInputIteratorIllEEPS6_NSA_22TransformInputIteratorIb7NonZeroIiEPilEENS0_5tupleIJPlS6_EEENSJ_IJSD_SD_EEES6_SK_JS6_EEE10hipError_tPvRmT3_T4_T5_T6_T7_T9_mT8_P12ihipStream_tbDpT10_ENKUlT_T0_E_clISt17integral_constantIbLb1EES15_IbLb0EEEEDaS11_S12_EUlS11_E_NS1_11comp_targetILNS1_3genE0ELNS1_11target_archE4294967295ELNS1_3gpuE0ELNS1_3repE0EEENS1_30default_config_static_selectorELNS0_4arch9wavefront6targetE1EEEvT1_.numbered_sgpr, 0
	.set _ZN7rocprim17ROCPRIM_400000_NS6detail17trampoline_kernelINS0_14default_configENS1_25partition_config_selectorILNS1_17partition_subalgoE5ElNS0_10empty_typeEbEEZZNS1_14partition_implILS5_5ELb0ES3_mN6hipcub16HIPCUB_304000_NS21CountingInputIteratorIllEEPS6_NSA_22TransformInputIteratorIb7NonZeroIiEPilEENS0_5tupleIJPlS6_EEENSJ_IJSD_SD_EEES6_SK_JS6_EEE10hipError_tPvRmT3_T4_T5_T6_T7_T9_mT8_P12ihipStream_tbDpT10_ENKUlT_T0_E_clISt17integral_constantIbLb1EES15_IbLb0EEEEDaS11_S12_EUlS11_E_NS1_11comp_targetILNS1_3genE0ELNS1_11target_archE4294967295ELNS1_3gpuE0ELNS1_3repE0EEENS1_30default_config_static_selectorELNS0_4arch9wavefront6targetE1EEEvT1_.num_named_barrier, 0
	.set _ZN7rocprim17ROCPRIM_400000_NS6detail17trampoline_kernelINS0_14default_configENS1_25partition_config_selectorILNS1_17partition_subalgoE5ElNS0_10empty_typeEbEEZZNS1_14partition_implILS5_5ELb0ES3_mN6hipcub16HIPCUB_304000_NS21CountingInputIteratorIllEEPS6_NSA_22TransformInputIteratorIb7NonZeroIiEPilEENS0_5tupleIJPlS6_EEENSJ_IJSD_SD_EEES6_SK_JS6_EEE10hipError_tPvRmT3_T4_T5_T6_T7_T9_mT8_P12ihipStream_tbDpT10_ENKUlT_T0_E_clISt17integral_constantIbLb1EES15_IbLb0EEEEDaS11_S12_EUlS11_E_NS1_11comp_targetILNS1_3genE0ELNS1_11target_archE4294967295ELNS1_3gpuE0ELNS1_3repE0EEENS1_30default_config_static_selectorELNS0_4arch9wavefront6targetE1EEEvT1_.private_seg_size, 0
	.set _ZN7rocprim17ROCPRIM_400000_NS6detail17trampoline_kernelINS0_14default_configENS1_25partition_config_selectorILNS1_17partition_subalgoE5ElNS0_10empty_typeEbEEZZNS1_14partition_implILS5_5ELb0ES3_mN6hipcub16HIPCUB_304000_NS21CountingInputIteratorIllEEPS6_NSA_22TransformInputIteratorIb7NonZeroIiEPilEENS0_5tupleIJPlS6_EEENSJ_IJSD_SD_EEES6_SK_JS6_EEE10hipError_tPvRmT3_T4_T5_T6_T7_T9_mT8_P12ihipStream_tbDpT10_ENKUlT_T0_E_clISt17integral_constantIbLb1EES15_IbLb0EEEEDaS11_S12_EUlS11_E_NS1_11comp_targetILNS1_3genE0ELNS1_11target_archE4294967295ELNS1_3gpuE0ELNS1_3repE0EEENS1_30default_config_static_selectorELNS0_4arch9wavefront6targetE1EEEvT1_.uses_vcc, 0
	.set _ZN7rocprim17ROCPRIM_400000_NS6detail17trampoline_kernelINS0_14default_configENS1_25partition_config_selectorILNS1_17partition_subalgoE5ElNS0_10empty_typeEbEEZZNS1_14partition_implILS5_5ELb0ES3_mN6hipcub16HIPCUB_304000_NS21CountingInputIteratorIllEEPS6_NSA_22TransformInputIteratorIb7NonZeroIiEPilEENS0_5tupleIJPlS6_EEENSJ_IJSD_SD_EEES6_SK_JS6_EEE10hipError_tPvRmT3_T4_T5_T6_T7_T9_mT8_P12ihipStream_tbDpT10_ENKUlT_T0_E_clISt17integral_constantIbLb1EES15_IbLb0EEEEDaS11_S12_EUlS11_E_NS1_11comp_targetILNS1_3genE0ELNS1_11target_archE4294967295ELNS1_3gpuE0ELNS1_3repE0EEENS1_30default_config_static_selectorELNS0_4arch9wavefront6targetE1EEEvT1_.uses_flat_scratch, 0
	.set _ZN7rocprim17ROCPRIM_400000_NS6detail17trampoline_kernelINS0_14default_configENS1_25partition_config_selectorILNS1_17partition_subalgoE5ElNS0_10empty_typeEbEEZZNS1_14partition_implILS5_5ELb0ES3_mN6hipcub16HIPCUB_304000_NS21CountingInputIteratorIllEEPS6_NSA_22TransformInputIteratorIb7NonZeroIiEPilEENS0_5tupleIJPlS6_EEENSJ_IJSD_SD_EEES6_SK_JS6_EEE10hipError_tPvRmT3_T4_T5_T6_T7_T9_mT8_P12ihipStream_tbDpT10_ENKUlT_T0_E_clISt17integral_constantIbLb1EES15_IbLb0EEEEDaS11_S12_EUlS11_E_NS1_11comp_targetILNS1_3genE0ELNS1_11target_archE4294967295ELNS1_3gpuE0ELNS1_3repE0EEENS1_30default_config_static_selectorELNS0_4arch9wavefront6targetE1EEEvT1_.has_dyn_sized_stack, 0
	.set _ZN7rocprim17ROCPRIM_400000_NS6detail17trampoline_kernelINS0_14default_configENS1_25partition_config_selectorILNS1_17partition_subalgoE5ElNS0_10empty_typeEbEEZZNS1_14partition_implILS5_5ELb0ES3_mN6hipcub16HIPCUB_304000_NS21CountingInputIteratorIllEEPS6_NSA_22TransformInputIteratorIb7NonZeroIiEPilEENS0_5tupleIJPlS6_EEENSJ_IJSD_SD_EEES6_SK_JS6_EEE10hipError_tPvRmT3_T4_T5_T6_T7_T9_mT8_P12ihipStream_tbDpT10_ENKUlT_T0_E_clISt17integral_constantIbLb1EES15_IbLb0EEEEDaS11_S12_EUlS11_E_NS1_11comp_targetILNS1_3genE0ELNS1_11target_archE4294967295ELNS1_3gpuE0ELNS1_3repE0EEENS1_30default_config_static_selectorELNS0_4arch9wavefront6targetE1EEEvT1_.has_recursion, 0
	.set _ZN7rocprim17ROCPRIM_400000_NS6detail17trampoline_kernelINS0_14default_configENS1_25partition_config_selectorILNS1_17partition_subalgoE5ElNS0_10empty_typeEbEEZZNS1_14partition_implILS5_5ELb0ES3_mN6hipcub16HIPCUB_304000_NS21CountingInputIteratorIllEEPS6_NSA_22TransformInputIteratorIb7NonZeroIiEPilEENS0_5tupleIJPlS6_EEENSJ_IJSD_SD_EEES6_SK_JS6_EEE10hipError_tPvRmT3_T4_T5_T6_T7_T9_mT8_P12ihipStream_tbDpT10_ENKUlT_T0_E_clISt17integral_constantIbLb1EES15_IbLb0EEEEDaS11_S12_EUlS11_E_NS1_11comp_targetILNS1_3genE0ELNS1_11target_archE4294967295ELNS1_3gpuE0ELNS1_3repE0EEENS1_30default_config_static_selectorELNS0_4arch9wavefront6targetE1EEEvT1_.has_indirect_call, 0
	.section	.AMDGPU.csdata,"",@progbits
; Kernel info:
; codeLenInByte = 0
; TotalNumSgprs: 4
; NumVgprs: 0
; ScratchSize: 0
; MemoryBound: 0
; FloatMode: 240
; IeeeMode: 1
; LDSByteSize: 0 bytes/workgroup (compile time only)
; SGPRBlocks: 0
; VGPRBlocks: 0
; NumSGPRsForWavesPerEU: 4
; NumVGPRsForWavesPerEU: 1
; Occupancy: 10
; WaveLimiterHint : 0
; COMPUTE_PGM_RSRC2:SCRATCH_EN: 0
; COMPUTE_PGM_RSRC2:USER_SGPR: 6
; COMPUTE_PGM_RSRC2:TRAP_HANDLER: 0
; COMPUTE_PGM_RSRC2:TGID_X_EN: 1
; COMPUTE_PGM_RSRC2:TGID_Y_EN: 0
; COMPUTE_PGM_RSRC2:TGID_Z_EN: 0
; COMPUTE_PGM_RSRC2:TIDIG_COMP_CNT: 0
	.section	.text._ZN7rocprim17ROCPRIM_400000_NS6detail17trampoline_kernelINS0_14default_configENS1_25partition_config_selectorILNS1_17partition_subalgoE5ElNS0_10empty_typeEbEEZZNS1_14partition_implILS5_5ELb0ES3_mN6hipcub16HIPCUB_304000_NS21CountingInputIteratorIllEEPS6_NSA_22TransformInputIteratorIb7NonZeroIiEPilEENS0_5tupleIJPlS6_EEENSJ_IJSD_SD_EEES6_SK_JS6_EEE10hipError_tPvRmT3_T4_T5_T6_T7_T9_mT8_P12ihipStream_tbDpT10_ENKUlT_T0_E_clISt17integral_constantIbLb1EES15_IbLb0EEEEDaS11_S12_EUlS11_E_NS1_11comp_targetILNS1_3genE5ELNS1_11target_archE942ELNS1_3gpuE9ELNS1_3repE0EEENS1_30default_config_static_selectorELNS0_4arch9wavefront6targetE1EEEvT1_,"axG",@progbits,_ZN7rocprim17ROCPRIM_400000_NS6detail17trampoline_kernelINS0_14default_configENS1_25partition_config_selectorILNS1_17partition_subalgoE5ElNS0_10empty_typeEbEEZZNS1_14partition_implILS5_5ELb0ES3_mN6hipcub16HIPCUB_304000_NS21CountingInputIteratorIllEEPS6_NSA_22TransformInputIteratorIb7NonZeroIiEPilEENS0_5tupleIJPlS6_EEENSJ_IJSD_SD_EEES6_SK_JS6_EEE10hipError_tPvRmT3_T4_T5_T6_T7_T9_mT8_P12ihipStream_tbDpT10_ENKUlT_T0_E_clISt17integral_constantIbLb1EES15_IbLb0EEEEDaS11_S12_EUlS11_E_NS1_11comp_targetILNS1_3genE5ELNS1_11target_archE942ELNS1_3gpuE9ELNS1_3repE0EEENS1_30default_config_static_selectorELNS0_4arch9wavefront6targetE1EEEvT1_,comdat
	.protected	_ZN7rocprim17ROCPRIM_400000_NS6detail17trampoline_kernelINS0_14default_configENS1_25partition_config_selectorILNS1_17partition_subalgoE5ElNS0_10empty_typeEbEEZZNS1_14partition_implILS5_5ELb0ES3_mN6hipcub16HIPCUB_304000_NS21CountingInputIteratorIllEEPS6_NSA_22TransformInputIteratorIb7NonZeroIiEPilEENS0_5tupleIJPlS6_EEENSJ_IJSD_SD_EEES6_SK_JS6_EEE10hipError_tPvRmT3_T4_T5_T6_T7_T9_mT8_P12ihipStream_tbDpT10_ENKUlT_T0_E_clISt17integral_constantIbLb1EES15_IbLb0EEEEDaS11_S12_EUlS11_E_NS1_11comp_targetILNS1_3genE5ELNS1_11target_archE942ELNS1_3gpuE9ELNS1_3repE0EEENS1_30default_config_static_selectorELNS0_4arch9wavefront6targetE1EEEvT1_ ; -- Begin function _ZN7rocprim17ROCPRIM_400000_NS6detail17trampoline_kernelINS0_14default_configENS1_25partition_config_selectorILNS1_17partition_subalgoE5ElNS0_10empty_typeEbEEZZNS1_14partition_implILS5_5ELb0ES3_mN6hipcub16HIPCUB_304000_NS21CountingInputIteratorIllEEPS6_NSA_22TransformInputIteratorIb7NonZeroIiEPilEENS0_5tupleIJPlS6_EEENSJ_IJSD_SD_EEES6_SK_JS6_EEE10hipError_tPvRmT3_T4_T5_T6_T7_T9_mT8_P12ihipStream_tbDpT10_ENKUlT_T0_E_clISt17integral_constantIbLb1EES15_IbLb0EEEEDaS11_S12_EUlS11_E_NS1_11comp_targetILNS1_3genE5ELNS1_11target_archE942ELNS1_3gpuE9ELNS1_3repE0EEENS1_30default_config_static_selectorELNS0_4arch9wavefront6targetE1EEEvT1_
	.globl	_ZN7rocprim17ROCPRIM_400000_NS6detail17trampoline_kernelINS0_14default_configENS1_25partition_config_selectorILNS1_17partition_subalgoE5ElNS0_10empty_typeEbEEZZNS1_14partition_implILS5_5ELb0ES3_mN6hipcub16HIPCUB_304000_NS21CountingInputIteratorIllEEPS6_NSA_22TransformInputIteratorIb7NonZeroIiEPilEENS0_5tupleIJPlS6_EEENSJ_IJSD_SD_EEES6_SK_JS6_EEE10hipError_tPvRmT3_T4_T5_T6_T7_T9_mT8_P12ihipStream_tbDpT10_ENKUlT_T0_E_clISt17integral_constantIbLb1EES15_IbLb0EEEEDaS11_S12_EUlS11_E_NS1_11comp_targetILNS1_3genE5ELNS1_11target_archE942ELNS1_3gpuE9ELNS1_3repE0EEENS1_30default_config_static_selectorELNS0_4arch9wavefront6targetE1EEEvT1_
	.p2align	8
	.type	_ZN7rocprim17ROCPRIM_400000_NS6detail17trampoline_kernelINS0_14default_configENS1_25partition_config_selectorILNS1_17partition_subalgoE5ElNS0_10empty_typeEbEEZZNS1_14partition_implILS5_5ELb0ES3_mN6hipcub16HIPCUB_304000_NS21CountingInputIteratorIllEEPS6_NSA_22TransformInputIteratorIb7NonZeroIiEPilEENS0_5tupleIJPlS6_EEENSJ_IJSD_SD_EEES6_SK_JS6_EEE10hipError_tPvRmT3_T4_T5_T6_T7_T9_mT8_P12ihipStream_tbDpT10_ENKUlT_T0_E_clISt17integral_constantIbLb1EES15_IbLb0EEEEDaS11_S12_EUlS11_E_NS1_11comp_targetILNS1_3genE5ELNS1_11target_archE942ELNS1_3gpuE9ELNS1_3repE0EEENS1_30default_config_static_selectorELNS0_4arch9wavefront6targetE1EEEvT1_,@function
_ZN7rocprim17ROCPRIM_400000_NS6detail17trampoline_kernelINS0_14default_configENS1_25partition_config_selectorILNS1_17partition_subalgoE5ElNS0_10empty_typeEbEEZZNS1_14partition_implILS5_5ELb0ES3_mN6hipcub16HIPCUB_304000_NS21CountingInputIteratorIllEEPS6_NSA_22TransformInputIteratorIb7NonZeroIiEPilEENS0_5tupleIJPlS6_EEENSJ_IJSD_SD_EEES6_SK_JS6_EEE10hipError_tPvRmT3_T4_T5_T6_T7_T9_mT8_P12ihipStream_tbDpT10_ENKUlT_T0_E_clISt17integral_constantIbLb1EES15_IbLb0EEEEDaS11_S12_EUlS11_E_NS1_11comp_targetILNS1_3genE5ELNS1_11target_archE942ELNS1_3gpuE9ELNS1_3repE0EEENS1_30default_config_static_selectorELNS0_4arch9wavefront6targetE1EEEvT1_: ; @_ZN7rocprim17ROCPRIM_400000_NS6detail17trampoline_kernelINS0_14default_configENS1_25partition_config_selectorILNS1_17partition_subalgoE5ElNS0_10empty_typeEbEEZZNS1_14partition_implILS5_5ELb0ES3_mN6hipcub16HIPCUB_304000_NS21CountingInputIteratorIllEEPS6_NSA_22TransformInputIteratorIb7NonZeroIiEPilEENS0_5tupleIJPlS6_EEENSJ_IJSD_SD_EEES6_SK_JS6_EEE10hipError_tPvRmT3_T4_T5_T6_T7_T9_mT8_P12ihipStream_tbDpT10_ENKUlT_T0_E_clISt17integral_constantIbLb1EES15_IbLb0EEEEDaS11_S12_EUlS11_E_NS1_11comp_targetILNS1_3genE5ELNS1_11target_archE942ELNS1_3gpuE9ELNS1_3repE0EEENS1_30default_config_static_selectorELNS0_4arch9wavefront6targetE1EEEvT1_
; %bb.0:
	.section	.rodata,"a",@progbits
	.p2align	6, 0x0
	.amdhsa_kernel _ZN7rocprim17ROCPRIM_400000_NS6detail17trampoline_kernelINS0_14default_configENS1_25partition_config_selectorILNS1_17partition_subalgoE5ElNS0_10empty_typeEbEEZZNS1_14partition_implILS5_5ELb0ES3_mN6hipcub16HIPCUB_304000_NS21CountingInputIteratorIllEEPS6_NSA_22TransformInputIteratorIb7NonZeroIiEPilEENS0_5tupleIJPlS6_EEENSJ_IJSD_SD_EEES6_SK_JS6_EEE10hipError_tPvRmT3_T4_T5_T6_T7_T9_mT8_P12ihipStream_tbDpT10_ENKUlT_T0_E_clISt17integral_constantIbLb1EES15_IbLb0EEEEDaS11_S12_EUlS11_E_NS1_11comp_targetILNS1_3genE5ELNS1_11target_archE942ELNS1_3gpuE9ELNS1_3repE0EEENS1_30default_config_static_selectorELNS0_4arch9wavefront6targetE1EEEvT1_
		.amdhsa_group_segment_fixed_size 0
		.amdhsa_private_segment_fixed_size 0
		.amdhsa_kernarg_size 120
		.amdhsa_user_sgpr_count 6
		.amdhsa_user_sgpr_private_segment_buffer 1
		.amdhsa_user_sgpr_dispatch_ptr 0
		.amdhsa_user_sgpr_queue_ptr 0
		.amdhsa_user_sgpr_kernarg_segment_ptr 1
		.amdhsa_user_sgpr_dispatch_id 0
		.amdhsa_user_sgpr_flat_scratch_init 0
		.amdhsa_user_sgpr_private_segment_size 0
		.amdhsa_uses_dynamic_stack 0
		.amdhsa_system_sgpr_private_segment_wavefront_offset 0
		.amdhsa_system_sgpr_workgroup_id_x 1
		.amdhsa_system_sgpr_workgroup_id_y 0
		.amdhsa_system_sgpr_workgroup_id_z 0
		.amdhsa_system_sgpr_workgroup_info 0
		.amdhsa_system_vgpr_workitem_id 0
		.amdhsa_next_free_vgpr 1
		.amdhsa_next_free_sgpr 0
		.amdhsa_reserve_vcc 0
		.amdhsa_reserve_flat_scratch 0
		.amdhsa_float_round_mode_32 0
		.amdhsa_float_round_mode_16_64 0
		.amdhsa_float_denorm_mode_32 3
		.amdhsa_float_denorm_mode_16_64 3
		.amdhsa_dx10_clamp 1
		.amdhsa_ieee_mode 1
		.amdhsa_fp16_overflow 0
		.amdhsa_exception_fp_ieee_invalid_op 0
		.amdhsa_exception_fp_denorm_src 0
		.amdhsa_exception_fp_ieee_div_zero 0
		.amdhsa_exception_fp_ieee_overflow 0
		.amdhsa_exception_fp_ieee_underflow 0
		.amdhsa_exception_fp_ieee_inexact 0
		.amdhsa_exception_int_div_zero 0
	.end_amdhsa_kernel
	.section	.text._ZN7rocprim17ROCPRIM_400000_NS6detail17trampoline_kernelINS0_14default_configENS1_25partition_config_selectorILNS1_17partition_subalgoE5ElNS0_10empty_typeEbEEZZNS1_14partition_implILS5_5ELb0ES3_mN6hipcub16HIPCUB_304000_NS21CountingInputIteratorIllEEPS6_NSA_22TransformInputIteratorIb7NonZeroIiEPilEENS0_5tupleIJPlS6_EEENSJ_IJSD_SD_EEES6_SK_JS6_EEE10hipError_tPvRmT3_T4_T5_T6_T7_T9_mT8_P12ihipStream_tbDpT10_ENKUlT_T0_E_clISt17integral_constantIbLb1EES15_IbLb0EEEEDaS11_S12_EUlS11_E_NS1_11comp_targetILNS1_3genE5ELNS1_11target_archE942ELNS1_3gpuE9ELNS1_3repE0EEENS1_30default_config_static_selectorELNS0_4arch9wavefront6targetE1EEEvT1_,"axG",@progbits,_ZN7rocprim17ROCPRIM_400000_NS6detail17trampoline_kernelINS0_14default_configENS1_25partition_config_selectorILNS1_17partition_subalgoE5ElNS0_10empty_typeEbEEZZNS1_14partition_implILS5_5ELb0ES3_mN6hipcub16HIPCUB_304000_NS21CountingInputIteratorIllEEPS6_NSA_22TransformInputIteratorIb7NonZeroIiEPilEENS0_5tupleIJPlS6_EEENSJ_IJSD_SD_EEES6_SK_JS6_EEE10hipError_tPvRmT3_T4_T5_T6_T7_T9_mT8_P12ihipStream_tbDpT10_ENKUlT_T0_E_clISt17integral_constantIbLb1EES15_IbLb0EEEEDaS11_S12_EUlS11_E_NS1_11comp_targetILNS1_3genE5ELNS1_11target_archE942ELNS1_3gpuE9ELNS1_3repE0EEENS1_30default_config_static_selectorELNS0_4arch9wavefront6targetE1EEEvT1_,comdat
.Lfunc_end202:
	.size	_ZN7rocprim17ROCPRIM_400000_NS6detail17trampoline_kernelINS0_14default_configENS1_25partition_config_selectorILNS1_17partition_subalgoE5ElNS0_10empty_typeEbEEZZNS1_14partition_implILS5_5ELb0ES3_mN6hipcub16HIPCUB_304000_NS21CountingInputIteratorIllEEPS6_NSA_22TransformInputIteratorIb7NonZeroIiEPilEENS0_5tupleIJPlS6_EEENSJ_IJSD_SD_EEES6_SK_JS6_EEE10hipError_tPvRmT3_T4_T5_T6_T7_T9_mT8_P12ihipStream_tbDpT10_ENKUlT_T0_E_clISt17integral_constantIbLb1EES15_IbLb0EEEEDaS11_S12_EUlS11_E_NS1_11comp_targetILNS1_3genE5ELNS1_11target_archE942ELNS1_3gpuE9ELNS1_3repE0EEENS1_30default_config_static_selectorELNS0_4arch9wavefront6targetE1EEEvT1_, .Lfunc_end202-_ZN7rocprim17ROCPRIM_400000_NS6detail17trampoline_kernelINS0_14default_configENS1_25partition_config_selectorILNS1_17partition_subalgoE5ElNS0_10empty_typeEbEEZZNS1_14partition_implILS5_5ELb0ES3_mN6hipcub16HIPCUB_304000_NS21CountingInputIteratorIllEEPS6_NSA_22TransformInputIteratorIb7NonZeroIiEPilEENS0_5tupleIJPlS6_EEENSJ_IJSD_SD_EEES6_SK_JS6_EEE10hipError_tPvRmT3_T4_T5_T6_T7_T9_mT8_P12ihipStream_tbDpT10_ENKUlT_T0_E_clISt17integral_constantIbLb1EES15_IbLb0EEEEDaS11_S12_EUlS11_E_NS1_11comp_targetILNS1_3genE5ELNS1_11target_archE942ELNS1_3gpuE9ELNS1_3repE0EEENS1_30default_config_static_selectorELNS0_4arch9wavefront6targetE1EEEvT1_
                                        ; -- End function
	.set _ZN7rocprim17ROCPRIM_400000_NS6detail17trampoline_kernelINS0_14default_configENS1_25partition_config_selectorILNS1_17partition_subalgoE5ElNS0_10empty_typeEbEEZZNS1_14partition_implILS5_5ELb0ES3_mN6hipcub16HIPCUB_304000_NS21CountingInputIteratorIllEEPS6_NSA_22TransformInputIteratorIb7NonZeroIiEPilEENS0_5tupleIJPlS6_EEENSJ_IJSD_SD_EEES6_SK_JS6_EEE10hipError_tPvRmT3_T4_T5_T6_T7_T9_mT8_P12ihipStream_tbDpT10_ENKUlT_T0_E_clISt17integral_constantIbLb1EES15_IbLb0EEEEDaS11_S12_EUlS11_E_NS1_11comp_targetILNS1_3genE5ELNS1_11target_archE942ELNS1_3gpuE9ELNS1_3repE0EEENS1_30default_config_static_selectorELNS0_4arch9wavefront6targetE1EEEvT1_.num_vgpr, 0
	.set _ZN7rocprim17ROCPRIM_400000_NS6detail17trampoline_kernelINS0_14default_configENS1_25partition_config_selectorILNS1_17partition_subalgoE5ElNS0_10empty_typeEbEEZZNS1_14partition_implILS5_5ELb0ES3_mN6hipcub16HIPCUB_304000_NS21CountingInputIteratorIllEEPS6_NSA_22TransformInputIteratorIb7NonZeroIiEPilEENS0_5tupleIJPlS6_EEENSJ_IJSD_SD_EEES6_SK_JS6_EEE10hipError_tPvRmT3_T4_T5_T6_T7_T9_mT8_P12ihipStream_tbDpT10_ENKUlT_T0_E_clISt17integral_constantIbLb1EES15_IbLb0EEEEDaS11_S12_EUlS11_E_NS1_11comp_targetILNS1_3genE5ELNS1_11target_archE942ELNS1_3gpuE9ELNS1_3repE0EEENS1_30default_config_static_selectorELNS0_4arch9wavefront6targetE1EEEvT1_.num_agpr, 0
	.set _ZN7rocprim17ROCPRIM_400000_NS6detail17trampoline_kernelINS0_14default_configENS1_25partition_config_selectorILNS1_17partition_subalgoE5ElNS0_10empty_typeEbEEZZNS1_14partition_implILS5_5ELb0ES3_mN6hipcub16HIPCUB_304000_NS21CountingInputIteratorIllEEPS6_NSA_22TransformInputIteratorIb7NonZeroIiEPilEENS0_5tupleIJPlS6_EEENSJ_IJSD_SD_EEES6_SK_JS6_EEE10hipError_tPvRmT3_T4_T5_T6_T7_T9_mT8_P12ihipStream_tbDpT10_ENKUlT_T0_E_clISt17integral_constantIbLb1EES15_IbLb0EEEEDaS11_S12_EUlS11_E_NS1_11comp_targetILNS1_3genE5ELNS1_11target_archE942ELNS1_3gpuE9ELNS1_3repE0EEENS1_30default_config_static_selectorELNS0_4arch9wavefront6targetE1EEEvT1_.numbered_sgpr, 0
	.set _ZN7rocprim17ROCPRIM_400000_NS6detail17trampoline_kernelINS0_14default_configENS1_25partition_config_selectorILNS1_17partition_subalgoE5ElNS0_10empty_typeEbEEZZNS1_14partition_implILS5_5ELb0ES3_mN6hipcub16HIPCUB_304000_NS21CountingInputIteratorIllEEPS6_NSA_22TransformInputIteratorIb7NonZeroIiEPilEENS0_5tupleIJPlS6_EEENSJ_IJSD_SD_EEES6_SK_JS6_EEE10hipError_tPvRmT3_T4_T5_T6_T7_T9_mT8_P12ihipStream_tbDpT10_ENKUlT_T0_E_clISt17integral_constantIbLb1EES15_IbLb0EEEEDaS11_S12_EUlS11_E_NS1_11comp_targetILNS1_3genE5ELNS1_11target_archE942ELNS1_3gpuE9ELNS1_3repE0EEENS1_30default_config_static_selectorELNS0_4arch9wavefront6targetE1EEEvT1_.num_named_barrier, 0
	.set _ZN7rocprim17ROCPRIM_400000_NS6detail17trampoline_kernelINS0_14default_configENS1_25partition_config_selectorILNS1_17partition_subalgoE5ElNS0_10empty_typeEbEEZZNS1_14partition_implILS5_5ELb0ES3_mN6hipcub16HIPCUB_304000_NS21CountingInputIteratorIllEEPS6_NSA_22TransformInputIteratorIb7NonZeroIiEPilEENS0_5tupleIJPlS6_EEENSJ_IJSD_SD_EEES6_SK_JS6_EEE10hipError_tPvRmT3_T4_T5_T6_T7_T9_mT8_P12ihipStream_tbDpT10_ENKUlT_T0_E_clISt17integral_constantIbLb1EES15_IbLb0EEEEDaS11_S12_EUlS11_E_NS1_11comp_targetILNS1_3genE5ELNS1_11target_archE942ELNS1_3gpuE9ELNS1_3repE0EEENS1_30default_config_static_selectorELNS0_4arch9wavefront6targetE1EEEvT1_.private_seg_size, 0
	.set _ZN7rocprim17ROCPRIM_400000_NS6detail17trampoline_kernelINS0_14default_configENS1_25partition_config_selectorILNS1_17partition_subalgoE5ElNS0_10empty_typeEbEEZZNS1_14partition_implILS5_5ELb0ES3_mN6hipcub16HIPCUB_304000_NS21CountingInputIteratorIllEEPS6_NSA_22TransformInputIteratorIb7NonZeroIiEPilEENS0_5tupleIJPlS6_EEENSJ_IJSD_SD_EEES6_SK_JS6_EEE10hipError_tPvRmT3_T4_T5_T6_T7_T9_mT8_P12ihipStream_tbDpT10_ENKUlT_T0_E_clISt17integral_constantIbLb1EES15_IbLb0EEEEDaS11_S12_EUlS11_E_NS1_11comp_targetILNS1_3genE5ELNS1_11target_archE942ELNS1_3gpuE9ELNS1_3repE0EEENS1_30default_config_static_selectorELNS0_4arch9wavefront6targetE1EEEvT1_.uses_vcc, 0
	.set _ZN7rocprim17ROCPRIM_400000_NS6detail17trampoline_kernelINS0_14default_configENS1_25partition_config_selectorILNS1_17partition_subalgoE5ElNS0_10empty_typeEbEEZZNS1_14partition_implILS5_5ELb0ES3_mN6hipcub16HIPCUB_304000_NS21CountingInputIteratorIllEEPS6_NSA_22TransformInputIteratorIb7NonZeroIiEPilEENS0_5tupleIJPlS6_EEENSJ_IJSD_SD_EEES6_SK_JS6_EEE10hipError_tPvRmT3_T4_T5_T6_T7_T9_mT8_P12ihipStream_tbDpT10_ENKUlT_T0_E_clISt17integral_constantIbLb1EES15_IbLb0EEEEDaS11_S12_EUlS11_E_NS1_11comp_targetILNS1_3genE5ELNS1_11target_archE942ELNS1_3gpuE9ELNS1_3repE0EEENS1_30default_config_static_selectorELNS0_4arch9wavefront6targetE1EEEvT1_.uses_flat_scratch, 0
	.set _ZN7rocprim17ROCPRIM_400000_NS6detail17trampoline_kernelINS0_14default_configENS1_25partition_config_selectorILNS1_17partition_subalgoE5ElNS0_10empty_typeEbEEZZNS1_14partition_implILS5_5ELb0ES3_mN6hipcub16HIPCUB_304000_NS21CountingInputIteratorIllEEPS6_NSA_22TransformInputIteratorIb7NonZeroIiEPilEENS0_5tupleIJPlS6_EEENSJ_IJSD_SD_EEES6_SK_JS6_EEE10hipError_tPvRmT3_T4_T5_T6_T7_T9_mT8_P12ihipStream_tbDpT10_ENKUlT_T0_E_clISt17integral_constantIbLb1EES15_IbLb0EEEEDaS11_S12_EUlS11_E_NS1_11comp_targetILNS1_3genE5ELNS1_11target_archE942ELNS1_3gpuE9ELNS1_3repE0EEENS1_30default_config_static_selectorELNS0_4arch9wavefront6targetE1EEEvT1_.has_dyn_sized_stack, 0
	.set _ZN7rocprim17ROCPRIM_400000_NS6detail17trampoline_kernelINS0_14default_configENS1_25partition_config_selectorILNS1_17partition_subalgoE5ElNS0_10empty_typeEbEEZZNS1_14partition_implILS5_5ELb0ES3_mN6hipcub16HIPCUB_304000_NS21CountingInputIteratorIllEEPS6_NSA_22TransformInputIteratorIb7NonZeroIiEPilEENS0_5tupleIJPlS6_EEENSJ_IJSD_SD_EEES6_SK_JS6_EEE10hipError_tPvRmT3_T4_T5_T6_T7_T9_mT8_P12ihipStream_tbDpT10_ENKUlT_T0_E_clISt17integral_constantIbLb1EES15_IbLb0EEEEDaS11_S12_EUlS11_E_NS1_11comp_targetILNS1_3genE5ELNS1_11target_archE942ELNS1_3gpuE9ELNS1_3repE0EEENS1_30default_config_static_selectorELNS0_4arch9wavefront6targetE1EEEvT1_.has_recursion, 0
	.set _ZN7rocprim17ROCPRIM_400000_NS6detail17trampoline_kernelINS0_14default_configENS1_25partition_config_selectorILNS1_17partition_subalgoE5ElNS0_10empty_typeEbEEZZNS1_14partition_implILS5_5ELb0ES3_mN6hipcub16HIPCUB_304000_NS21CountingInputIteratorIllEEPS6_NSA_22TransformInputIteratorIb7NonZeroIiEPilEENS0_5tupleIJPlS6_EEENSJ_IJSD_SD_EEES6_SK_JS6_EEE10hipError_tPvRmT3_T4_T5_T6_T7_T9_mT8_P12ihipStream_tbDpT10_ENKUlT_T0_E_clISt17integral_constantIbLb1EES15_IbLb0EEEEDaS11_S12_EUlS11_E_NS1_11comp_targetILNS1_3genE5ELNS1_11target_archE942ELNS1_3gpuE9ELNS1_3repE0EEENS1_30default_config_static_selectorELNS0_4arch9wavefront6targetE1EEEvT1_.has_indirect_call, 0
	.section	.AMDGPU.csdata,"",@progbits
; Kernel info:
; codeLenInByte = 0
; TotalNumSgprs: 4
; NumVgprs: 0
; ScratchSize: 0
; MemoryBound: 0
; FloatMode: 240
; IeeeMode: 1
; LDSByteSize: 0 bytes/workgroup (compile time only)
; SGPRBlocks: 0
; VGPRBlocks: 0
; NumSGPRsForWavesPerEU: 4
; NumVGPRsForWavesPerEU: 1
; Occupancy: 10
; WaveLimiterHint : 0
; COMPUTE_PGM_RSRC2:SCRATCH_EN: 0
; COMPUTE_PGM_RSRC2:USER_SGPR: 6
; COMPUTE_PGM_RSRC2:TRAP_HANDLER: 0
; COMPUTE_PGM_RSRC2:TGID_X_EN: 1
; COMPUTE_PGM_RSRC2:TGID_Y_EN: 0
; COMPUTE_PGM_RSRC2:TGID_Z_EN: 0
; COMPUTE_PGM_RSRC2:TIDIG_COMP_CNT: 0
	.section	.text._ZN7rocprim17ROCPRIM_400000_NS6detail17trampoline_kernelINS0_14default_configENS1_25partition_config_selectorILNS1_17partition_subalgoE5ElNS0_10empty_typeEbEEZZNS1_14partition_implILS5_5ELb0ES3_mN6hipcub16HIPCUB_304000_NS21CountingInputIteratorIllEEPS6_NSA_22TransformInputIteratorIb7NonZeroIiEPilEENS0_5tupleIJPlS6_EEENSJ_IJSD_SD_EEES6_SK_JS6_EEE10hipError_tPvRmT3_T4_T5_T6_T7_T9_mT8_P12ihipStream_tbDpT10_ENKUlT_T0_E_clISt17integral_constantIbLb1EES15_IbLb0EEEEDaS11_S12_EUlS11_E_NS1_11comp_targetILNS1_3genE4ELNS1_11target_archE910ELNS1_3gpuE8ELNS1_3repE0EEENS1_30default_config_static_selectorELNS0_4arch9wavefront6targetE1EEEvT1_,"axG",@progbits,_ZN7rocprim17ROCPRIM_400000_NS6detail17trampoline_kernelINS0_14default_configENS1_25partition_config_selectorILNS1_17partition_subalgoE5ElNS0_10empty_typeEbEEZZNS1_14partition_implILS5_5ELb0ES3_mN6hipcub16HIPCUB_304000_NS21CountingInputIteratorIllEEPS6_NSA_22TransformInputIteratorIb7NonZeroIiEPilEENS0_5tupleIJPlS6_EEENSJ_IJSD_SD_EEES6_SK_JS6_EEE10hipError_tPvRmT3_T4_T5_T6_T7_T9_mT8_P12ihipStream_tbDpT10_ENKUlT_T0_E_clISt17integral_constantIbLb1EES15_IbLb0EEEEDaS11_S12_EUlS11_E_NS1_11comp_targetILNS1_3genE4ELNS1_11target_archE910ELNS1_3gpuE8ELNS1_3repE0EEENS1_30default_config_static_selectorELNS0_4arch9wavefront6targetE1EEEvT1_,comdat
	.protected	_ZN7rocprim17ROCPRIM_400000_NS6detail17trampoline_kernelINS0_14default_configENS1_25partition_config_selectorILNS1_17partition_subalgoE5ElNS0_10empty_typeEbEEZZNS1_14partition_implILS5_5ELb0ES3_mN6hipcub16HIPCUB_304000_NS21CountingInputIteratorIllEEPS6_NSA_22TransformInputIteratorIb7NonZeroIiEPilEENS0_5tupleIJPlS6_EEENSJ_IJSD_SD_EEES6_SK_JS6_EEE10hipError_tPvRmT3_T4_T5_T6_T7_T9_mT8_P12ihipStream_tbDpT10_ENKUlT_T0_E_clISt17integral_constantIbLb1EES15_IbLb0EEEEDaS11_S12_EUlS11_E_NS1_11comp_targetILNS1_3genE4ELNS1_11target_archE910ELNS1_3gpuE8ELNS1_3repE0EEENS1_30default_config_static_selectorELNS0_4arch9wavefront6targetE1EEEvT1_ ; -- Begin function _ZN7rocprim17ROCPRIM_400000_NS6detail17trampoline_kernelINS0_14default_configENS1_25partition_config_selectorILNS1_17partition_subalgoE5ElNS0_10empty_typeEbEEZZNS1_14partition_implILS5_5ELb0ES3_mN6hipcub16HIPCUB_304000_NS21CountingInputIteratorIllEEPS6_NSA_22TransformInputIteratorIb7NonZeroIiEPilEENS0_5tupleIJPlS6_EEENSJ_IJSD_SD_EEES6_SK_JS6_EEE10hipError_tPvRmT3_T4_T5_T6_T7_T9_mT8_P12ihipStream_tbDpT10_ENKUlT_T0_E_clISt17integral_constantIbLb1EES15_IbLb0EEEEDaS11_S12_EUlS11_E_NS1_11comp_targetILNS1_3genE4ELNS1_11target_archE910ELNS1_3gpuE8ELNS1_3repE0EEENS1_30default_config_static_selectorELNS0_4arch9wavefront6targetE1EEEvT1_
	.globl	_ZN7rocprim17ROCPRIM_400000_NS6detail17trampoline_kernelINS0_14default_configENS1_25partition_config_selectorILNS1_17partition_subalgoE5ElNS0_10empty_typeEbEEZZNS1_14partition_implILS5_5ELb0ES3_mN6hipcub16HIPCUB_304000_NS21CountingInputIteratorIllEEPS6_NSA_22TransformInputIteratorIb7NonZeroIiEPilEENS0_5tupleIJPlS6_EEENSJ_IJSD_SD_EEES6_SK_JS6_EEE10hipError_tPvRmT3_T4_T5_T6_T7_T9_mT8_P12ihipStream_tbDpT10_ENKUlT_T0_E_clISt17integral_constantIbLb1EES15_IbLb0EEEEDaS11_S12_EUlS11_E_NS1_11comp_targetILNS1_3genE4ELNS1_11target_archE910ELNS1_3gpuE8ELNS1_3repE0EEENS1_30default_config_static_selectorELNS0_4arch9wavefront6targetE1EEEvT1_
	.p2align	8
	.type	_ZN7rocprim17ROCPRIM_400000_NS6detail17trampoline_kernelINS0_14default_configENS1_25partition_config_selectorILNS1_17partition_subalgoE5ElNS0_10empty_typeEbEEZZNS1_14partition_implILS5_5ELb0ES3_mN6hipcub16HIPCUB_304000_NS21CountingInputIteratorIllEEPS6_NSA_22TransformInputIteratorIb7NonZeroIiEPilEENS0_5tupleIJPlS6_EEENSJ_IJSD_SD_EEES6_SK_JS6_EEE10hipError_tPvRmT3_T4_T5_T6_T7_T9_mT8_P12ihipStream_tbDpT10_ENKUlT_T0_E_clISt17integral_constantIbLb1EES15_IbLb0EEEEDaS11_S12_EUlS11_E_NS1_11comp_targetILNS1_3genE4ELNS1_11target_archE910ELNS1_3gpuE8ELNS1_3repE0EEENS1_30default_config_static_selectorELNS0_4arch9wavefront6targetE1EEEvT1_,@function
_ZN7rocprim17ROCPRIM_400000_NS6detail17trampoline_kernelINS0_14default_configENS1_25partition_config_selectorILNS1_17partition_subalgoE5ElNS0_10empty_typeEbEEZZNS1_14partition_implILS5_5ELb0ES3_mN6hipcub16HIPCUB_304000_NS21CountingInputIteratorIllEEPS6_NSA_22TransformInputIteratorIb7NonZeroIiEPilEENS0_5tupleIJPlS6_EEENSJ_IJSD_SD_EEES6_SK_JS6_EEE10hipError_tPvRmT3_T4_T5_T6_T7_T9_mT8_P12ihipStream_tbDpT10_ENKUlT_T0_E_clISt17integral_constantIbLb1EES15_IbLb0EEEEDaS11_S12_EUlS11_E_NS1_11comp_targetILNS1_3genE4ELNS1_11target_archE910ELNS1_3gpuE8ELNS1_3repE0EEENS1_30default_config_static_selectorELNS0_4arch9wavefront6targetE1EEEvT1_: ; @_ZN7rocprim17ROCPRIM_400000_NS6detail17trampoline_kernelINS0_14default_configENS1_25partition_config_selectorILNS1_17partition_subalgoE5ElNS0_10empty_typeEbEEZZNS1_14partition_implILS5_5ELb0ES3_mN6hipcub16HIPCUB_304000_NS21CountingInputIteratorIllEEPS6_NSA_22TransformInputIteratorIb7NonZeroIiEPilEENS0_5tupleIJPlS6_EEENSJ_IJSD_SD_EEES6_SK_JS6_EEE10hipError_tPvRmT3_T4_T5_T6_T7_T9_mT8_P12ihipStream_tbDpT10_ENKUlT_T0_E_clISt17integral_constantIbLb1EES15_IbLb0EEEEDaS11_S12_EUlS11_E_NS1_11comp_targetILNS1_3genE4ELNS1_11target_archE910ELNS1_3gpuE8ELNS1_3repE0EEENS1_30default_config_static_selectorELNS0_4arch9wavefront6targetE1EEEvT1_
; %bb.0:
	.section	.rodata,"a",@progbits
	.p2align	6, 0x0
	.amdhsa_kernel _ZN7rocprim17ROCPRIM_400000_NS6detail17trampoline_kernelINS0_14default_configENS1_25partition_config_selectorILNS1_17partition_subalgoE5ElNS0_10empty_typeEbEEZZNS1_14partition_implILS5_5ELb0ES3_mN6hipcub16HIPCUB_304000_NS21CountingInputIteratorIllEEPS6_NSA_22TransformInputIteratorIb7NonZeroIiEPilEENS0_5tupleIJPlS6_EEENSJ_IJSD_SD_EEES6_SK_JS6_EEE10hipError_tPvRmT3_T4_T5_T6_T7_T9_mT8_P12ihipStream_tbDpT10_ENKUlT_T0_E_clISt17integral_constantIbLb1EES15_IbLb0EEEEDaS11_S12_EUlS11_E_NS1_11comp_targetILNS1_3genE4ELNS1_11target_archE910ELNS1_3gpuE8ELNS1_3repE0EEENS1_30default_config_static_selectorELNS0_4arch9wavefront6targetE1EEEvT1_
		.amdhsa_group_segment_fixed_size 0
		.amdhsa_private_segment_fixed_size 0
		.amdhsa_kernarg_size 120
		.amdhsa_user_sgpr_count 6
		.amdhsa_user_sgpr_private_segment_buffer 1
		.amdhsa_user_sgpr_dispatch_ptr 0
		.amdhsa_user_sgpr_queue_ptr 0
		.amdhsa_user_sgpr_kernarg_segment_ptr 1
		.amdhsa_user_sgpr_dispatch_id 0
		.amdhsa_user_sgpr_flat_scratch_init 0
		.amdhsa_user_sgpr_private_segment_size 0
		.amdhsa_uses_dynamic_stack 0
		.amdhsa_system_sgpr_private_segment_wavefront_offset 0
		.amdhsa_system_sgpr_workgroup_id_x 1
		.amdhsa_system_sgpr_workgroup_id_y 0
		.amdhsa_system_sgpr_workgroup_id_z 0
		.amdhsa_system_sgpr_workgroup_info 0
		.amdhsa_system_vgpr_workitem_id 0
		.amdhsa_next_free_vgpr 1
		.amdhsa_next_free_sgpr 0
		.amdhsa_reserve_vcc 0
		.amdhsa_reserve_flat_scratch 0
		.amdhsa_float_round_mode_32 0
		.amdhsa_float_round_mode_16_64 0
		.amdhsa_float_denorm_mode_32 3
		.amdhsa_float_denorm_mode_16_64 3
		.amdhsa_dx10_clamp 1
		.amdhsa_ieee_mode 1
		.amdhsa_fp16_overflow 0
		.amdhsa_exception_fp_ieee_invalid_op 0
		.amdhsa_exception_fp_denorm_src 0
		.amdhsa_exception_fp_ieee_div_zero 0
		.amdhsa_exception_fp_ieee_overflow 0
		.amdhsa_exception_fp_ieee_underflow 0
		.amdhsa_exception_fp_ieee_inexact 0
		.amdhsa_exception_int_div_zero 0
	.end_amdhsa_kernel
	.section	.text._ZN7rocprim17ROCPRIM_400000_NS6detail17trampoline_kernelINS0_14default_configENS1_25partition_config_selectorILNS1_17partition_subalgoE5ElNS0_10empty_typeEbEEZZNS1_14partition_implILS5_5ELb0ES3_mN6hipcub16HIPCUB_304000_NS21CountingInputIteratorIllEEPS6_NSA_22TransformInputIteratorIb7NonZeroIiEPilEENS0_5tupleIJPlS6_EEENSJ_IJSD_SD_EEES6_SK_JS6_EEE10hipError_tPvRmT3_T4_T5_T6_T7_T9_mT8_P12ihipStream_tbDpT10_ENKUlT_T0_E_clISt17integral_constantIbLb1EES15_IbLb0EEEEDaS11_S12_EUlS11_E_NS1_11comp_targetILNS1_3genE4ELNS1_11target_archE910ELNS1_3gpuE8ELNS1_3repE0EEENS1_30default_config_static_selectorELNS0_4arch9wavefront6targetE1EEEvT1_,"axG",@progbits,_ZN7rocprim17ROCPRIM_400000_NS6detail17trampoline_kernelINS0_14default_configENS1_25partition_config_selectorILNS1_17partition_subalgoE5ElNS0_10empty_typeEbEEZZNS1_14partition_implILS5_5ELb0ES3_mN6hipcub16HIPCUB_304000_NS21CountingInputIteratorIllEEPS6_NSA_22TransformInputIteratorIb7NonZeroIiEPilEENS0_5tupleIJPlS6_EEENSJ_IJSD_SD_EEES6_SK_JS6_EEE10hipError_tPvRmT3_T4_T5_T6_T7_T9_mT8_P12ihipStream_tbDpT10_ENKUlT_T0_E_clISt17integral_constantIbLb1EES15_IbLb0EEEEDaS11_S12_EUlS11_E_NS1_11comp_targetILNS1_3genE4ELNS1_11target_archE910ELNS1_3gpuE8ELNS1_3repE0EEENS1_30default_config_static_selectorELNS0_4arch9wavefront6targetE1EEEvT1_,comdat
.Lfunc_end203:
	.size	_ZN7rocprim17ROCPRIM_400000_NS6detail17trampoline_kernelINS0_14default_configENS1_25partition_config_selectorILNS1_17partition_subalgoE5ElNS0_10empty_typeEbEEZZNS1_14partition_implILS5_5ELb0ES3_mN6hipcub16HIPCUB_304000_NS21CountingInputIteratorIllEEPS6_NSA_22TransformInputIteratorIb7NonZeroIiEPilEENS0_5tupleIJPlS6_EEENSJ_IJSD_SD_EEES6_SK_JS6_EEE10hipError_tPvRmT3_T4_T5_T6_T7_T9_mT8_P12ihipStream_tbDpT10_ENKUlT_T0_E_clISt17integral_constantIbLb1EES15_IbLb0EEEEDaS11_S12_EUlS11_E_NS1_11comp_targetILNS1_3genE4ELNS1_11target_archE910ELNS1_3gpuE8ELNS1_3repE0EEENS1_30default_config_static_selectorELNS0_4arch9wavefront6targetE1EEEvT1_, .Lfunc_end203-_ZN7rocprim17ROCPRIM_400000_NS6detail17trampoline_kernelINS0_14default_configENS1_25partition_config_selectorILNS1_17partition_subalgoE5ElNS0_10empty_typeEbEEZZNS1_14partition_implILS5_5ELb0ES3_mN6hipcub16HIPCUB_304000_NS21CountingInputIteratorIllEEPS6_NSA_22TransformInputIteratorIb7NonZeroIiEPilEENS0_5tupleIJPlS6_EEENSJ_IJSD_SD_EEES6_SK_JS6_EEE10hipError_tPvRmT3_T4_T5_T6_T7_T9_mT8_P12ihipStream_tbDpT10_ENKUlT_T0_E_clISt17integral_constantIbLb1EES15_IbLb0EEEEDaS11_S12_EUlS11_E_NS1_11comp_targetILNS1_3genE4ELNS1_11target_archE910ELNS1_3gpuE8ELNS1_3repE0EEENS1_30default_config_static_selectorELNS0_4arch9wavefront6targetE1EEEvT1_
                                        ; -- End function
	.set _ZN7rocprim17ROCPRIM_400000_NS6detail17trampoline_kernelINS0_14default_configENS1_25partition_config_selectorILNS1_17partition_subalgoE5ElNS0_10empty_typeEbEEZZNS1_14partition_implILS5_5ELb0ES3_mN6hipcub16HIPCUB_304000_NS21CountingInputIteratorIllEEPS6_NSA_22TransformInputIteratorIb7NonZeroIiEPilEENS0_5tupleIJPlS6_EEENSJ_IJSD_SD_EEES6_SK_JS6_EEE10hipError_tPvRmT3_T4_T5_T6_T7_T9_mT8_P12ihipStream_tbDpT10_ENKUlT_T0_E_clISt17integral_constantIbLb1EES15_IbLb0EEEEDaS11_S12_EUlS11_E_NS1_11comp_targetILNS1_3genE4ELNS1_11target_archE910ELNS1_3gpuE8ELNS1_3repE0EEENS1_30default_config_static_selectorELNS0_4arch9wavefront6targetE1EEEvT1_.num_vgpr, 0
	.set _ZN7rocprim17ROCPRIM_400000_NS6detail17trampoline_kernelINS0_14default_configENS1_25partition_config_selectorILNS1_17partition_subalgoE5ElNS0_10empty_typeEbEEZZNS1_14partition_implILS5_5ELb0ES3_mN6hipcub16HIPCUB_304000_NS21CountingInputIteratorIllEEPS6_NSA_22TransformInputIteratorIb7NonZeroIiEPilEENS0_5tupleIJPlS6_EEENSJ_IJSD_SD_EEES6_SK_JS6_EEE10hipError_tPvRmT3_T4_T5_T6_T7_T9_mT8_P12ihipStream_tbDpT10_ENKUlT_T0_E_clISt17integral_constantIbLb1EES15_IbLb0EEEEDaS11_S12_EUlS11_E_NS1_11comp_targetILNS1_3genE4ELNS1_11target_archE910ELNS1_3gpuE8ELNS1_3repE0EEENS1_30default_config_static_selectorELNS0_4arch9wavefront6targetE1EEEvT1_.num_agpr, 0
	.set _ZN7rocprim17ROCPRIM_400000_NS6detail17trampoline_kernelINS0_14default_configENS1_25partition_config_selectorILNS1_17partition_subalgoE5ElNS0_10empty_typeEbEEZZNS1_14partition_implILS5_5ELb0ES3_mN6hipcub16HIPCUB_304000_NS21CountingInputIteratorIllEEPS6_NSA_22TransformInputIteratorIb7NonZeroIiEPilEENS0_5tupleIJPlS6_EEENSJ_IJSD_SD_EEES6_SK_JS6_EEE10hipError_tPvRmT3_T4_T5_T6_T7_T9_mT8_P12ihipStream_tbDpT10_ENKUlT_T0_E_clISt17integral_constantIbLb1EES15_IbLb0EEEEDaS11_S12_EUlS11_E_NS1_11comp_targetILNS1_3genE4ELNS1_11target_archE910ELNS1_3gpuE8ELNS1_3repE0EEENS1_30default_config_static_selectorELNS0_4arch9wavefront6targetE1EEEvT1_.numbered_sgpr, 0
	.set _ZN7rocprim17ROCPRIM_400000_NS6detail17trampoline_kernelINS0_14default_configENS1_25partition_config_selectorILNS1_17partition_subalgoE5ElNS0_10empty_typeEbEEZZNS1_14partition_implILS5_5ELb0ES3_mN6hipcub16HIPCUB_304000_NS21CountingInputIteratorIllEEPS6_NSA_22TransformInputIteratorIb7NonZeroIiEPilEENS0_5tupleIJPlS6_EEENSJ_IJSD_SD_EEES6_SK_JS6_EEE10hipError_tPvRmT3_T4_T5_T6_T7_T9_mT8_P12ihipStream_tbDpT10_ENKUlT_T0_E_clISt17integral_constantIbLb1EES15_IbLb0EEEEDaS11_S12_EUlS11_E_NS1_11comp_targetILNS1_3genE4ELNS1_11target_archE910ELNS1_3gpuE8ELNS1_3repE0EEENS1_30default_config_static_selectorELNS0_4arch9wavefront6targetE1EEEvT1_.num_named_barrier, 0
	.set _ZN7rocprim17ROCPRIM_400000_NS6detail17trampoline_kernelINS0_14default_configENS1_25partition_config_selectorILNS1_17partition_subalgoE5ElNS0_10empty_typeEbEEZZNS1_14partition_implILS5_5ELb0ES3_mN6hipcub16HIPCUB_304000_NS21CountingInputIteratorIllEEPS6_NSA_22TransformInputIteratorIb7NonZeroIiEPilEENS0_5tupleIJPlS6_EEENSJ_IJSD_SD_EEES6_SK_JS6_EEE10hipError_tPvRmT3_T4_T5_T6_T7_T9_mT8_P12ihipStream_tbDpT10_ENKUlT_T0_E_clISt17integral_constantIbLb1EES15_IbLb0EEEEDaS11_S12_EUlS11_E_NS1_11comp_targetILNS1_3genE4ELNS1_11target_archE910ELNS1_3gpuE8ELNS1_3repE0EEENS1_30default_config_static_selectorELNS0_4arch9wavefront6targetE1EEEvT1_.private_seg_size, 0
	.set _ZN7rocprim17ROCPRIM_400000_NS6detail17trampoline_kernelINS0_14default_configENS1_25partition_config_selectorILNS1_17partition_subalgoE5ElNS0_10empty_typeEbEEZZNS1_14partition_implILS5_5ELb0ES3_mN6hipcub16HIPCUB_304000_NS21CountingInputIteratorIllEEPS6_NSA_22TransformInputIteratorIb7NonZeroIiEPilEENS0_5tupleIJPlS6_EEENSJ_IJSD_SD_EEES6_SK_JS6_EEE10hipError_tPvRmT3_T4_T5_T6_T7_T9_mT8_P12ihipStream_tbDpT10_ENKUlT_T0_E_clISt17integral_constantIbLb1EES15_IbLb0EEEEDaS11_S12_EUlS11_E_NS1_11comp_targetILNS1_3genE4ELNS1_11target_archE910ELNS1_3gpuE8ELNS1_3repE0EEENS1_30default_config_static_selectorELNS0_4arch9wavefront6targetE1EEEvT1_.uses_vcc, 0
	.set _ZN7rocprim17ROCPRIM_400000_NS6detail17trampoline_kernelINS0_14default_configENS1_25partition_config_selectorILNS1_17partition_subalgoE5ElNS0_10empty_typeEbEEZZNS1_14partition_implILS5_5ELb0ES3_mN6hipcub16HIPCUB_304000_NS21CountingInputIteratorIllEEPS6_NSA_22TransformInputIteratorIb7NonZeroIiEPilEENS0_5tupleIJPlS6_EEENSJ_IJSD_SD_EEES6_SK_JS6_EEE10hipError_tPvRmT3_T4_T5_T6_T7_T9_mT8_P12ihipStream_tbDpT10_ENKUlT_T0_E_clISt17integral_constantIbLb1EES15_IbLb0EEEEDaS11_S12_EUlS11_E_NS1_11comp_targetILNS1_3genE4ELNS1_11target_archE910ELNS1_3gpuE8ELNS1_3repE0EEENS1_30default_config_static_selectorELNS0_4arch9wavefront6targetE1EEEvT1_.uses_flat_scratch, 0
	.set _ZN7rocprim17ROCPRIM_400000_NS6detail17trampoline_kernelINS0_14default_configENS1_25partition_config_selectorILNS1_17partition_subalgoE5ElNS0_10empty_typeEbEEZZNS1_14partition_implILS5_5ELb0ES3_mN6hipcub16HIPCUB_304000_NS21CountingInputIteratorIllEEPS6_NSA_22TransformInputIteratorIb7NonZeroIiEPilEENS0_5tupleIJPlS6_EEENSJ_IJSD_SD_EEES6_SK_JS6_EEE10hipError_tPvRmT3_T4_T5_T6_T7_T9_mT8_P12ihipStream_tbDpT10_ENKUlT_T0_E_clISt17integral_constantIbLb1EES15_IbLb0EEEEDaS11_S12_EUlS11_E_NS1_11comp_targetILNS1_3genE4ELNS1_11target_archE910ELNS1_3gpuE8ELNS1_3repE0EEENS1_30default_config_static_selectorELNS0_4arch9wavefront6targetE1EEEvT1_.has_dyn_sized_stack, 0
	.set _ZN7rocprim17ROCPRIM_400000_NS6detail17trampoline_kernelINS0_14default_configENS1_25partition_config_selectorILNS1_17partition_subalgoE5ElNS0_10empty_typeEbEEZZNS1_14partition_implILS5_5ELb0ES3_mN6hipcub16HIPCUB_304000_NS21CountingInputIteratorIllEEPS6_NSA_22TransformInputIteratorIb7NonZeroIiEPilEENS0_5tupleIJPlS6_EEENSJ_IJSD_SD_EEES6_SK_JS6_EEE10hipError_tPvRmT3_T4_T5_T6_T7_T9_mT8_P12ihipStream_tbDpT10_ENKUlT_T0_E_clISt17integral_constantIbLb1EES15_IbLb0EEEEDaS11_S12_EUlS11_E_NS1_11comp_targetILNS1_3genE4ELNS1_11target_archE910ELNS1_3gpuE8ELNS1_3repE0EEENS1_30default_config_static_selectorELNS0_4arch9wavefront6targetE1EEEvT1_.has_recursion, 0
	.set _ZN7rocprim17ROCPRIM_400000_NS6detail17trampoline_kernelINS0_14default_configENS1_25partition_config_selectorILNS1_17partition_subalgoE5ElNS0_10empty_typeEbEEZZNS1_14partition_implILS5_5ELb0ES3_mN6hipcub16HIPCUB_304000_NS21CountingInputIteratorIllEEPS6_NSA_22TransformInputIteratorIb7NonZeroIiEPilEENS0_5tupleIJPlS6_EEENSJ_IJSD_SD_EEES6_SK_JS6_EEE10hipError_tPvRmT3_T4_T5_T6_T7_T9_mT8_P12ihipStream_tbDpT10_ENKUlT_T0_E_clISt17integral_constantIbLb1EES15_IbLb0EEEEDaS11_S12_EUlS11_E_NS1_11comp_targetILNS1_3genE4ELNS1_11target_archE910ELNS1_3gpuE8ELNS1_3repE0EEENS1_30default_config_static_selectorELNS0_4arch9wavefront6targetE1EEEvT1_.has_indirect_call, 0
	.section	.AMDGPU.csdata,"",@progbits
; Kernel info:
; codeLenInByte = 0
; TotalNumSgprs: 4
; NumVgprs: 0
; ScratchSize: 0
; MemoryBound: 0
; FloatMode: 240
; IeeeMode: 1
; LDSByteSize: 0 bytes/workgroup (compile time only)
; SGPRBlocks: 0
; VGPRBlocks: 0
; NumSGPRsForWavesPerEU: 4
; NumVGPRsForWavesPerEU: 1
; Occupancy: 10
; WaveLimiterHint : 0
; COMPUTE_PGM_RSRC2:SCRATCH_EN: 0
; COMPUTE_PGM_RSRC2:USER_SGPR: 6
; COMPUTE_PGM_RSRC2:TRAP_HANDLER: 0
; COMPUTE_PGM_RSRC2:TGID_X_EN: 1
; COMPUTE_PGM_RSRC2:TGID_Y_EN: 0
; COMPUTE_PGM_RSRC2:TGID_Z_EN: 0
; COMPUTE_PGM_RSRC2:TIDIG_COMP_CNT: 0
	.section	.text._ZN7rocprim17ROCPRIM_400000_NS6detail17trampoline_kernelINS0_14default_configENS1_25partition_config_selectorILNS1_17partition_subalgoE5ElNS0_10empty_typeEbEEZZNS1_14partition_implILS5_5ELb0ES3_mN6hipcub16HIPCUB_304000_NS21CountingInputIteratorIllEEPS6_NSA_22TransformInputIteratorIb7NonZeroIiEPilEENS0_5tupleIJPlS6_EEENSJ_IJSD_SD_EEES6_SK_JS6_EEE10hipError_tPvRmT3_T4_T5_T6_T7_T9_mT8_P12ihipStream_tbDpT10_ENKUlT_T0_E_clISt17integral_constantIbLb1EES15_IbLb0EEEEDaS11_S12_EUlS11_E_NS1_11comp_targetILNS1_3genE3ELNS1_11target_archE908ELNS1_3gpuE7ELNS1_3repE0EEENS1_30default_config_static_selectorELNS0_4arch9wavefront6targetE1EEEvT1_,"axG",@progbits,_ZN7rocprim17ROCPRIM_400000_NS6detail17trampoline_kernelINS0_14default_configENS1_25partition_config_selectorILNS1_17partition_subalgoE5ElNS0_10empty_typeEbEEZZNS1_14partition_implILS5_5ELb0ES3_mN6hipcub16HIPCUB_304000_NS21CountingInputIteratorIllEEPS6_NSA_22TransformInputIteratorIb7NonZeroIiEPilEENS0_5tupleIJPlS6_EEENSJ_IJSD_SD_EEES6_SK_JS6_EEE10hipError_tPvRmT3_T4_T5_T6_T7_T9_mT8_P12ihipStream_tbDpT10_ENKUlT_T0_E_clISt17integral_constantIbLb1EES15_IbLb0EEEEDaS11_S12_EUlS11_E_NS1_11comp_targetILNS1_3genE3ELNS1_11target_archE908ELNS1_3gpuE7ELNS1_3repE0EEENS1_30default_config_static_selectorELNS0_4arch9wavefront6targetE1EEEvT1_,comdat
	.protected	_ZN7rocprim17ROCPRIM_400000_NS6detail17trampoline_kernelINS0_14default_configENS1_25partition_config_selectorILNS1_17partition_subalgoE5ElNS0_10empty_typeEbEEZZNS1_14partition_implILS5_5ELb0ES3_mN6hipcub16HIPCUB_304000_NS21CountingInputIteratorIllEEPS6_NSA_22TransformInputIteratorIb7NonZeroIiEPilEENS0_5tupleIJPlS6_EEENSJ_IJSD_SD_EEES6_SK_JS6_EEE10hipError_tPvRmT3_T4_T5_T6_T7_T9_mT8_P12ihipStream_tbDpT10_ENKUlT_T0_E_clISt17integral_constantIbLb1EES15_IbLb0EEEEDaS11_S12_EUlS11_E_NS1_11comp_targetILNS1_3genE3ELNS1_11target_archE908ELNS1_3gpuE7ELNS1_3repE0EEENS1_30default_config_static_selectorELNS0_4arch9wavefront6targetE1EEEvT1_ ; -- Begin function _ZN7rocprim17ROCPRIM_400000_NS6detail17trampoline_kernelINS0_14default_configENS1_25partition_config_selectorILNS1_17partition_subalgoE5ElNS0_10empty_typeEbEEZZNS1_14partition_implILS5_5ELb0ES3_mN6hipcub16HIPCUB_304000_NS21CountingInputIteratorIllEEPS6_NSA_22TransformInputIteratorIb7NonZeroIiEPilEENS0_5tupleIJPlS6_EEENSJ_IJSD_SD_EEES6_SK_JS6_EEE10hipError_tPvRmT3_T4_T5_T6_T7_T9_mT8_P12ihipStream_tbDpT10_ENKUlT_T0_E_clISt17integral_constantIbLb1EES15_IbLb0EEEEDaS11_S12_EUlS11_E_NS1_11comp_targetILNS1_3genE3ELNS1_11target_archE908ELNS1_3gpuE7ELNS1_3repE0EEENS1_30default_config_static_selectorELNS0_4arch9wavefront6targetE1EEEvT1_
	.globl	_ZN7rocprim17ROCPRIM_400000_NS6detail17trampoline_kernelINS0_14default_configENS1_25partition_config_selectorILNS1_17partition_subalgoE5ElNS0_10empty_typeEbEEZZNS1_14partition_implILS5_5ELb0ES3_mN6hipcub16HIPCUB_304000_NS21CountingInputIteratorIllEEPS6_NSA_22TransformInputIteratorIb7NonZeroIiEPilEENS0_5tupleIJPlS6_EEENSJ_IJSD_SD_EEES6_SK_JS6_EEE10hipError_tPvRmT3_T4_T5_T6_T7_T9_mT8_P12ihipStream_tbDpT10_ENKUlT_T0_E_clISt17integral_constantIbLb1EES15_IbLb0EEEEDaS11_S12_EUlS11_E_NS1_11comp_targetILNS1_3genE3ELNS1_11target_archE908ELNS1_3gpuE7ELNS1_3repE0EEENS1_30default_config_static_selectorELNS0_4arch9wavefront6targetE1EEEvT1_
	.p2align	8
	.type	_ZN7rocprim17ROCPRIM_400000_NS6detail17trampoline_kernelINS0_14default_configENS1_25partition_config_selectorILNS1_17partition_subalgoE5ElNS0_10empty_typeEbEEZZNS1_14partition_implILS5_5ELb0ES3_mN6hipcub16HIPCUB_304000_NS21CountingInputIteratorIllEEPS6_NSA_22TransformInputIteratorIb7NonZeroIiEPilEENS0_5tupleIJPlS6_EEENSJ_IJSD_SD_EEES6_SK_JS6_EEE10hipError_tPvRmT3_T4_T5_T6_T7_T9_mT8_P12ihipStream_tbDpT10_ENKUlT_T0_E_clISt17integral_constantIbLb1EES15_IbLb0EEEEDaS11_S12_EUlS11_E_NS1_11comp_targetILNS1_3genE3ELNS1_11target_archE908ELNS1_3gpuE7ELNS1_3repE0EEENS1_30default_config_static_selectorELNS0_4arch9wavefront6targetE1EEEvT1_,@function
_ZN7rocprim17ROCPRIM_400000_NS6detail17trampoline_kernelINS0_14default_configENS1_25partition_config_selectorILNS1_17partition_subalgoE5ElNS0_10empty_typeEbEEZZNS1_14partition_implILS5_5ELb0ES3_mN6hipcub16HIPCUB_304000_NS21CountingInputIteratorIllEEPS6_NSA_22TransformInputIteratorIb7NonZeroIiEPilEENS0_5tupleIJPlS6_EEENSJ_IJSD_SD_EEES6_SK_JS6_EEE10hipError_tPvRmT3_T4_T5_T6_T7_T9_mT8_P12ihipStream_tbDpT10_ENKUlT_T0_E_clISt17integral_constantIbLb1EES15_IbLb0EEEEDaS11_S12_EUlS11_E_NS1_11comp_targetILNS1_3genE3ELNS1_11target_archE908ELNS1_3gpuE7ELNS1_3repE0EEENS1_30default_config_static_selectorELNS0_4arch9wavefront6targetE1EEEvT1_: ; @_ZN7rocprim17ROCPRIM_400000_NS6detail17trampoline_kernelINS0_14default_configENS1_25partition_config_selectorILNS1_17partition_subalgoE5ElNS0_10empty_typeEbEEZZNS1_14partition_implILS5_5ELb0ES3_mN6hipcub16HIPCUB_304000_NS21CountingInputIteratorIllEEPS6_NSA_22TransformInputIteratorIb7NonZeroIiEPilEENS0_5tupleIJPlS6_EEENSJ_IJSD_SD_EEES6_SK_JS6_EEE10hipError_tPvRmT3_T4_T5_T6_T7_T9_mT8_P12ihipStream_tbDpT10_ENKUlT_T0_E_clISt17integral_constantIbLb1EES15_IbLb0EEEEDaS11_S12_EUlS11_E_NS1_11comp_targetILNS1_3genE3ELNS1_11target_archE908ELNS1_3gpuE7ELNS1_3repE0EEENS1_30default_config_static_selectorELNS0_4arch9wavefront6targetE1EEEvT1_
; %bb.0:
	.section	.rodata,"a",@progbits
	.p2align	6, 0x0
	.amdhsa_kernel _ZN7rocprim17ROCPRIM_400000_NS6detail17trampoline_kernelINS0_14default_configENS1_25partition_config_selectorILNS1_17partition_subalgoE5ElNS0_10empty_typeEbEEZZNS1_14partition_implILS5_5ELb0ES3_mN6hipcub16HIPCUB_304000_NS21CountingInputIteratorIllEEPS6_NSA_22TransformInputIteratorIb7NonZeroIiEPilEENS0_5tupleIJPlS6_EEENSJ_IJSD_SD_EEES6_SK_JS6_EEE10hipError_tPvRmT3_T4_T5_T6_T7_T9_mT8_P12ihipStream_tbDpT10_ENKUlT_T0_E_clISt17integral_constantIbLb1EES15_IbLb0EEEEDaS11_S12_EUlS11_E_NS1_11comp_targetILNS1_3genE3ELNS1_11target_archE908ELNS1_3gpuE7ELNS1_3repE0EEENS1_30default_config_static_selectorELNS0_4arch9wavefront6targetE1EEEvT1_
		.amdhsa_group_segment_fixed_size 0
		.amdhsa_private_segment_fixed_size 0
		.amdhsa_kernarg_size 120
		.amdhsa_user_sgpr_count 6
		.amdhsa_user_sgpr_private_segment_buffer 1
		.amdhsa_user_sgpr_dispatch_ptr 0
		.amdhsa_user_sgpr_queue_ptr 0
		.amdhsa_user_sgpr_kernarg_segment_ptr 1
		.amdhsa_user_sgpr_dispatch_id 0
		.amdhsa_user_sgpr_flat_scratch_init 0
		.amdhsa_user_sgpr_private_segment_size 0
		.amdhsa_uses_dynamic_stack 0
		.amdhsa_system_sgpr_private_segment_wavefront_offset 0
		.amdhsa_system_sgpr_workgroup_id_x 1
		.amdhsa_system_sgpr_workgroup_id_y 0
		.amdhsa_system_sgpr_workgroup_id_z 0
		.amdhsa_system_sgpr_workgroup_info 0
		.amdhsa_system_vgpr_workitem_id 0
		.amdhsa_next_free_vgpr 1
		.amdhsa_next_free_sgpr 0
		.amdhsa_reserve_vcc 0
		.amdhsa_reserve_flat_scratch 0
		.amdhsa_float_round_mode_32 0
		.amdhsa_float_round_mode_16_64 0
		.amdhsa_float_denorm_mode_32 3
		.amdhsa_float_denorm_mode_16_64 3
		.amdhsa_dx10_clamp 1
		.amdhsa_ieee_mode 1
		.amdhsa_fp16_overflow 0
		.amdhsa_exception_fp_ieee_invalid_op 0
		.amdhsa_exception_fp_denorm_src 0
		.amdhsa_exception_fp_ieee_div_zero 0
		.amdhsa_exception_fp_ieee_overflow 0
		.amdhsa_exception_fp_ieee_underflow 0
		.amdhsa_exception_fp_ieee_inexact 0
		.amdhsa_exception_int_div_zero 0
	.end_amdhsa_kernel
	.section	.text._ZN7rocprim17ROCPRIM_400000_NS6detail17trampoline_kernelINS0_14default_configENS1_25partition_config_selectorILNS1_17partition_subalgoE5ElNS0_10empty_typeEbEEZZNS1_14partition_implILS5_5ELb0ES3_mN6hipcub16HIPCUB_304000_NS21CountingInputIteratorIllEEPS6_NSA_22TransformInputIteratorIb7NonZeroIiEPilEENS0_5tupleIJPlS6_EEENSJ_IJSD_SD_EEES6_SK_JS6_EEE10hipError_tPvRmT3_T4_T5_T6_T7_T9_mT8_P12ihipStream_tbDpT10_ENKUlT_T0_E_clISt17integral_constantIbLb1EES15_IbLb0EEEEDaS11_S12_EUlS11_E_NS1_11comp_targetILNS1_3genE3ELNS1_11target_archE908ELNS1_3gpuE7ELNS1_3repE0EEENS1_30default_config_static_selectorELNS0_4arch9wavefront6targetE1EEEvT1_,"axG",@progbits,_ZN7rocprim17ROCPRIM_400000_NS6detail17trampoline_kernelINS0_14default_configENS1_25partition_config_selectorILNS1_17partition_subalgoE5ElNS0_10empty_typeEbEEZZNS1_14partition_implILS5_5ELb0ES3_mN6hipcub16HIPCUB_304000_NS21CountingInputIteratorIllEEPS6_NSA_22TransformInputIteratorIb7NonZeroIiEPilEENS0_5tupleIJPlS6_EEENSJ_IJSD_SD_EEES6_SK_JS6_EEE10hipError_tPvRmT3_T4_T5_T6_T7_T9_mT8_P12ihipStream_tbDpT10_ENKUlT_T0_E_clISt17integral_constantIbLb1EES15_IbLb0EEEEDaS11_S12_EUlS11_E_NS1_11comp_targetILNS1_3genE3ELNS1_11target_archE908ELNS1_3gpuE7ELNS1_3repE0EEENS1_30default_config_static_selectorELNS0_4arch9wavefront6targetE1EEEvT1_,comdat
.Lfunc_end204:
	.size	_ZN7rocprim17ROCPRIM_400000_NS6detail17trampoline_kernelINS0_14default_configENS1_25partition_config_selectorILNS1_17partition_subalgoE5ElNS0_10empty_typeEbEEZZNS1_14partition_implILS5_5ELb0ES3_mN6hipcub16HIPCUB_304000_NS21CountingInputIteratorIllEEPS6_NSA_22TransformInputIteratorIb7NonZeroIiEPilEENS0_5tupleIJPlS6_EEENSJ_IJSD_SD_EEES6_SK_JS6_EEE10hipError_tPvRmT3_T4_T5_T6_T7_T9_mT8_P12ihipStream_tbDpT10_ENKUlT_T0_E_clISt17integral_constantIbLb1EES15_IbLb0EEEEDaS11_S12_EUlS11_E_NS1_11comp_targetILNS1_3genE3ELNS1_11target_archE908ELNS1_3gpuE7ELNS1_3repE0EEENS1_30default_config_static_selectorELNS0_4arch9wavefront6targetE1EEEvT1_, .Lfunc_end204-_ZN7rocprim17ROCPRIM_400000_NS6detail17trampoline_kernelINS0_14default_configENS1_25partition_config_selectorILNS1_17partition_subalgoE5ElNS0_10empty_typeEbEEZZNS1_14partition_implILS5_5ELb0ES3_mN6hipcub16HIPCUB_304000_NS21CountingInputIteratorIllEEPS6_NSA_22TransformInputIteratorIb7NonZeroIiEPilEENS0_5tupleIJPlS6_EEENSJ_IJSD_SD_EEES6_SK_JS6_EEE10hipError_tPvRmT3_T4_T5_T6_T7_T9_mT8_P12ihipStream_tbDpT10_ENKUlT_T0_E_clISt17integral_constantIbLb1EES15_IbLb0EEEEDaS11_S12_EUlS11_E_NS1_11comp_targetILNS1_3genE3ELNS1_11target_archE908ELNS1_3gpuE7ELNS1_3repE0EEENS1_30default_config_static_selectorELNS0_4arch9wavefront6targetE1EEEvT1_
                                        ; -- End function
	.set _ZN7rocprim17ROCPRIM_400000_NS6detail17trampoline_kernelINS0_14default_configENS1_25partition_config_selectorILNS1_17partition_subalgoE5ElNS0_10empty_typeEbEEZZNS1_14partition_implILS5_5ELb0ES3_mN6hipcub16HIPCUB_304000_NS21CountingInputIteratorIllEEPS6_NSA_22TransformInputIteratorIb7NonZeroIiEPilEENS0_5tupleIJPlS6_EEENSJ_IJSD_SD_EEES6_SK_JS6_EEE10hipError_tPvRmT3_T4_T5_T6_T7_T9_mT8_P12ihipStream_tbDpT10_ENKUlT_T0_E_clISt17integral_constantIbLb1EES15_IbLb0EEEEDaS11_S12_EUlS11_E_NS1_11comp_targetILNS1_3genE3ELNS1_11target_archE908ELNS1_3gpuE7ELNS1_3repE0EEENS1_30default_config_static_selectorELNS0_4arch9wavefront6targetE1EEEvT1_.num_vgpr, 0
	.set _ZN7rocprim17ROCPRIM_400000_NS6detail17trampoline_kernelINS0_14default_configENS1_25partition_config_selectorILNS1_17partition_subalgoE5ElNS0_10empty_typeEbEEZZNS1_14partition_implILS5_5ELb0ES3_mN6hipcub16HIPCUB_304000_NS21CountingInputIteratorIllEEPS6_NSA_22TransformInputIteratorIb7NonZeroIiEPilEENS0_5tupleIJPlS6_EEENSJ_IJSD_SD_EEES6_SK_JS6_EEE10hipError_tPvRmT3_T4_T5_T6_T7_T9_mT8_P12ihipStream_tbDpT10_ENKUlT_T0_E_clISt17integral_constantIbLb1EES15_IbLb0EEEEDaS11_S12_EUlS11_E_NS1_11comp_targetILNS1_3genE3ELNS1_11target_archE908ELNS1_3gpuE7ELNS1_3repE0EEENS1_30default_config_static_selectorELNS0_4arch9wavefront6targetE1EEEvT1_.num_agpr, 0
	.set _ZN7rocprim17ROCPRIM_400000_NS6detail17trampoline_kernelINS0_14default_configENS1_25partition_config_selectorILNS1_17partition_subalgoE5ElNS0_10empty_typeEbEEZZNS1_14partition_implILS5_5ELb0ES3_mN6hipcub16HIPCUB_304000_NS21CountingInputIteratorIllEEPS6_NSA_22TransformInputIteratorIb7NonZeroIiEPilEENS0_5tupleIJPlS6_EEENSJ_IJSD_SD_EEES6_SK_JS6_EEE10hipError_tPvRmT3_T4_T5_T6_T7_T9_mT8_P12ihipStream_tbDpT10_ENKUlT_T0_E_clISt17integral_constantIbLb1EES15_IbLb0EEEEDaS11_S12_EUlS11_E_NS1_11comp_targetILNS1_3genE3ELNS1_11target_archE908ELNS1_3gpuE7ELNS1_3repE0EEENS1_30default_config_static_selectorELNS0_4arch9wavefront6targetE1EEEvT1_.numbered_sgpr, 0
	.set _ZN7rocprim17ROCPRIM_400000_NS6detail17trampoline_kernelINS0_14default_configENS1_25partition_config_selectorILNS1_17partition_subalgoE5ElNS0_10empty_typeEbEEZZNS1_14partition_implILS5_5ELb0ES3_mN6hipcub16HIPCUB_304000_NS21CountingInputIteratorIllEEPS6_NSA_22TransformInputIteratorIb7NonZeroIiEPilEENS0_5tupleIJPlS6_EEENSJ_IJSD_SD_EEES6_SK_JS6_EEE10hipError_tPvRmT3_T4_T5_T6_T7_T9_mT8_P12ihipStream_tbDpT10_ENKUlT_T0_E_clISt17integral_constantIbLb1EES15_IbLb0EEEEDaS11_S12_EUlS11_E_NS1_11comp_targetILNS1_3genE3ELNS1_11target_archE908ELNS1_3gpuE7ELNS1_3repE0EEENS1_30default_config_static_selectorELNS0_4arch9wavefront6targetE1EEEvT1_.num_named_barrier, 0
	.set _ZN7rocprim17ROCPRIM_400000_NS6detail17trampoline_kernelINS0_14default_configENS1_25partition_config_selectorILNS1_17partition_subalgoE5ElNS0_10empty_typeEbEEZZNS1_14partition_implILS5_5ELb0ES3_mN6hipcub16HIPCUB_304000_NS21CountingInputIteratorIllEEPS6_NSA_22TransformInputIteratorIb7NonZeroIiEPilEENS0_5tupleIJPlS6_EEENSJ_IJSD_SD_EEES6_SK_JS6_EEE10hipError_tPvRmT3_T4_T5_T6_T7_T9_mT8_P12ihipStream_tbDpT10_ENKUlT_T0_E_clISt17integral_constantIbLb1EES15_IbLb0EEEEDaS11_S12_EUlS11_E_NS1_11comp_targetILNS1_3genE3ELNS1_11target_archE908ELNS1_3gpuE7ELNS1_3repE0EEENS1_30default_config_static_selectorELNS0_4arch9wavefront6targetE1EEEvT1_.private_seg_size, 0
	.set _ZN7rocprim17ROCPRIM_400000_NS6detail17trampoline_kernelINS0_14default_configENS1_25partition_config_selectorILNS1_17partition_subalgoE5ElNS0_10empty_typeEbEEZZNS1_14partition_implILS5_5ELb0ES3_mN6hipcub16HIPCUB_304000_NS21CountingInputIteratorIllEEPS6_NSA_22TransformInputIteratorIb7NonZeroIiEPilEENS0_5tupleIJPlS6_EEENSJ_IJSD_SD_EEES6_SK_JS6_EEE10hipError_tPvRmT3_T4_T5_T6_T7_T9_mT8_P12ihipStream_tbDpT10_ENKUlT_T0_E_clISt17integral_constantIbLb1EES15_IbLb0EEEEDaS11_S12_EUlS11_E_NS1_11comp_targetILNS1_3genE3ELNS1_11target_archE908ELNS1_3gpuE7ELNS1_3repE0EEENS1_30default_config_static_selectorELNS0_4arch9wavefront6targetE1EEEvT1_.uses_vcc, 0
	.set _ZN7rocprim17ROCPRIM_400000_NS6detail17trampoline_kernelINS0_14default_configENS1_25partition_config_selectorILNS1_17partition_subalgoE5ElNS0_10empty_typeEbEEZZNS1_14partition_implILS5_5ELb0ES3_mN6hipcub16HIPCUB_304000_NS21CountingInputIteratorIllEEPS6_NSA_22TransformInputIteratorIb7NonZeroIiEPilEENS0_5tupleIJPlS6_EEENSJ_IJSD_SD_EEES6_SK_JS6_EEE10hipError_tPvRmT3_T4_T5_T6_T7_T9_mT8_P12ihipStream_tbDpT10_ENKUlT_T0_E_clISt17integral_constantIbLb1EES15_IbLb0EEEEDaS11_S12_EUlS11_E_NS1_11comp_targetILNS1_3genE3ELNS1_11target_archE908ELNS1_3gpuE7ELNS1_3repE0EEENS1_30default_config_static_selectorELNS0_4arch9wavefront6targetE1EEEvT1_.uses_flat_scratch, 0
	.set _ZN7rocprim17ROCPRIM_400000_NS6detail17trampoline_kernelINS0_14default_configENS1_25partition_config_selectorILNS1_17partition_subalgoE5ElNS0_10empty_typeEbEEZZNS1_14partition_implILS5_5ELb0ES3_mN6hipcub16HIPCUB_304000_NS21CountingInputIteratorIllEEPS6_NSA_22TransformInputIteratorIb7NonZeroIiEPilEENS0_5tupleIJPlS6_EEENSJ_IJSD_SD_EEES6_SK_JS6_EEE10hipError_tPvRmT3_T4_T5_T6_T7_T9_mT8_P12ihipStream_tbDpT10_ENKUlT_T0_E_clISt17integral_constantIbLb1EES15_IbLb0EEEEDaS11_S12_EUlS11_E_NS1_11comp_targetILNS1_3genE3ELNS1_11target_archE908ELNS1_3gpuE7ELNS1_3repE0EEENS1_30default_config_static_selectorELNS0_4arch9wavefront6targetE1EEEvT1_.has_dyn_sized_stack, 0
	.set _ZN7rocprim17ROCPRIM_400000_NS6detail17trampoline_kernelINS0_14default_configENS1_25partition_config_selectorILNS1_17partition_subalgoE5ElNS0_10empty_typeEbEEZZNS1_14partition_implILS5_5ELb0ES3_mN6hipcub16HIPCUB_304000_NS21CountingInputIteratorIllEEPS6_NSA_22TransformInputIteratorIb7NonZeroIiEPilEENS0_5tupleIJPlS6_EEENSJ_IJSD_SD_EEES6_SK_JS6_EEE10hipError_tPvRmT3_T4_T5_T6_T7_T9_mT8_P12ihipStream_tbDpT10_ENKUlT_T0_E_clISt17integral_constantIbLb1EES15_IbLb0EEEEDaS11_S12_EUlS11_E_NS1_11comp_targetILNS1_3genE3ELNS1_11target_archE908ELNS1_3gpuE7ELNS1_3repE0EEENS1_30default_config_static_selectorELNS0_4arch9wavefront6targetE1EEEvT1_.has_recursion, 0
	.set _ZN7rocprim17ROCPRIM_400000_NS6detail17trampoline_kernelINS0_14default_configENS1_25partition_config_selectorILNS1_17partition_subalgoE5ElNS0_10empty_typeEbEEZZNS1_14partition_implILS5_5ELb0ES3_mN6hipcub16HIPCUB_304000_NS21CountingInputIteratorIllEEPS6_NSA_22TransformInputIteratorIb7NonZeroIiEPilEENS0_5tupleIJPlS6_EEENSJ_IJSD_SD_EEES6_SK_JS6_EEE10hipError_tPvRmT3_T4_T5_T6_T7_T9_mT8_P12ihipStream_tbDpT10_ENKUlT_T0_E_clISt17integral_constantIbLb1EES15_IbLb0EEEEDaS11_S12_EUlS11_E_NS1_11comp_targetILNS1_3genE3ELNS1_11target_archE908ELNS1_3gpuE7ELNS1_3repE0EEENS1_30default_config_static_selectorELNS0_4arch9wavefront6targetE1EEEvT1_.has_indirect_call, 0
	.section	.AMDGPU.csdata,"",@progbits
; Kernel info:
; codeLenInByte = 0
; TotalNumSgprs: 4
; NumVgprs: 0
; ScratchSize: 0
; MemoryBound: 0
; FloatMode: 240
; IeeeMode: 1
; LDSByteSize: 0 bytes/workgroup (compile time only)
; SGPRBlocks: 0
; VGPRBlocks: 0
; NumSGPRsForWavesPerEU: 4
; NumVGPRsForWavesPerEU: 1
; Occupancy: 10
; WaveLimiterHint : 0
; COMPUTE_PGM_RSRC2:SCRATCH_EN: 0
; COMPUTE_PGM_RSRC2:USER_SGPR: 6
; COMPUTE_PGM_RSRC2:TRAP_HANDLER: 0
; COMPUTE_PGM_RSRC2:TGID_X_EN: 1
; COMPUTE_PGM_RSRC2:TGID_Y_EN: 0
; COMPUTE_PGM_RSRC2:TGID_Z_EN: 0
; COMPUTE_PGM_RSRC2:TIDIG_COMP_CNT: 0
	.section	.text._ZN7rocprim17ROCPRIM_400000_NS6detail17trampoline_kernelINS0_14default_configENS1_25partition_config_selectorILNS1_17partition_subalgoE5ElNS0_10empty_typeEbEEZZNS1_14partition_implILS5_5ELb0ES3_mN6hipcub16HIPCUB_304000_NS21CountingInputIteratorIllEEPS6_NSA_22TransformInputIteratorIb7NonZeroIiEPilEENS0_5tupleIJPlS6_EEENSJ_IJSD_SD_EEES6_SK_JS6_EEE10hipError_tPvRmT3_T4_T5_T6_T7_T9_mT8_P12ihipStream_tbDpT10_ENKUlT_T0_E_clISt17integral_constantIbLb1EES15_IbLb0EEEEDaS11_S12_EUlS11_E_NS1_11comp_targetILNS1_3genE2ELNS1_11target_archE906ELNS1_3gpuE6ELNS1_3repE0EEENS1_30default_config_static_selectorELNS0_4arch9wavefront6targetE1EEEvT1_,"axG",@progbits,_ZN7rocprim17ROCPRIM_400000_NS6detail17trampoline_kernelINS0_14default_configENS1_25partition_config_selectorILNS1_17partition_subalgoE5ElNS0_10empty_typeEbEEZZNS1_14partition_implILS5_5ELb0ES3_mN6hipcub16HIPCUB_304000_NS21CountingInputIteratorIllEEPS6_NSA_22TransformInputIteratorIb7NonZeroIiEPilEENS0_5tupleIJPlS6_EEENSJ_IJSD_SD_EEES6_SK_JS6_EEE10hipError_tPvRmT3_T4_T5_T6_T7_T9_mT8_P12ihipStream_tbDpT10_ENKUlT_T0_E_clISt17integral_constantIbLb1EES15_IbLb0EEEEDaS11_S12_EUlS11_E_NS1_11comp_targetILNS1_3genE2ELNS1_11target_archE906ELNS1_3gpuE6ELNS1_3repE0EEENS1_30default_config_static_selectorELNS0_4arch9wavefront6targetE1EEEvT1_,comdat
	.protected	_ZN7rocprim17ROCPRIM_400000_NS6detail17trampoline_kernelINS0_14default_configENS1_25partition_config_selectorILNS1_17partition_subalgoE5ElNS0_10empty_typeEbEEZZNS1_14partition_implILS5_5ELb0ES3_mN6hipcub16HIPCUB_304000_NS21CountingInputIteratorIllEEPS6_NSA_22TransformInputIteratorIb7NonZeroIiEPilEENS0_5tupleIJPlS6_EEENSJ_IJSD_SD_EEES6_SK_JS6_EEE10hipError_tPvRmT3_T4_T5_T6_T7_T9_mT8_P12ihipStream_tbDpT10_ENKUlT_T0_E_clISt17integral_constantIbLb1EES15_IbLb0EEEEDaS11_S12_EUlS11_E_NS1_11comp_targetILNS1_3genE2ELNS1_11target_archE906ELNS1_3gpuE6ELNS1_3repE0EEENS1_30default_config_static_selectorELNS0_4arch9wavefront6targetE1EEEvT1_ ; -- Begin function _ZN7rocprim17ROCPRIM_400000_NS6detail17trampoline_kernelINS0_14default_configENS1_25partition_config_selectorILNS1_17partition_subalgoE5ElNS0_10empty_typeEbEEZZNS1_14partition_implILS5_5ELb0ES3_mN6hipcub16HIPCUB_304000_NS21CountingInputIteratorIllEEPS6_NSA_22TransformInputIteratorIb7NonZeroIiEPilEENS0_5tupleIJPlS6_EEENSJ_IJSD_SD_EEES6_SK_JS6_EEE10hipError_tPvRmT3_T4_T5_T6_T7_T9_mT8_P12ihipStream_tbDpT10_ENKUlT_T0_E_clISt17integral_constantIbLb1EES15_IbLb0EEEEDaS11_S12_EUlS11_E_NS1_11comp_targetILNS1_3genE2ELNS1_11target_archE906ELNS1_3gpuE6ELNS1_3repE0EEENS1_30default_config_static_selectorELNS0_4arch9wavefront6targetE1EEEvT1_
	.globl	_ZN7rocprim17ROCPRIM_400000_NS6detail17trampoline_kernelINS0_14default_configENS1_25partition_config_selectorILNS1_17partition_subalgoE5ElNS0_10empty_typeEbEEZZNS1_14partition_implILS5_5ELb0ES3_mN6hipcub16HIPCUB_304000_NS21CountingInputIteratorIllEEPS6_NSA_22TransformInputIteratorIb7NonZeroIiEPilEENS0_5tupleIJPlS6_EEENSJ_IJSD_SD_EEES6_SK_JS6_EEE10hipError_tPvRmT3_T4_T5_T6_T7_T9_mT8_P12ihipStream_tbDpT10_ENKUlT_T0_E_clISt17integral_constantIbLb1EES15_IbLb0EEEEDaS11_S12_EUlS11_E_NS1_11comp_targetILNS1_3genE2ELNS1_11target_archE906ELNS1_3gpuE6ELNS1_3repE0EEENS1_30default_config_static_selectorELNS0_4arch9wavefront6targetE1EEEvT1_
	.p2align	8
	.type	_ZN7rocprim17ROCPRIM_400000_NS6detail17trampoline_kernelINS0_14default_configENS1_25partition_config_selectorILNS1_17partition_subalgoE5ElNS0_10empty_typeEbEEZZNS1_14partition_implILS5_5ELb0ES3_mN6hipcub16HIPCUB_304000_NS21CountingInputIteratorIllEEPS6_NSA_22TransformInputIteratorIb7NonZeroIiEPilEENS0_5tupleIJPlS6_EEENSJ_IJSD_SD_EEES6_SK_JS6_EEE10hipError_tPvRmT3_T4_T5_T6_T7_T9_mT8_P12ihipStream_tbDpT10_ENKUlT_T0_E_clISt17integral_constantIbLb1EES15_IbLb0EEEEDaS11_S12_EUlS11_E_NS1_11comp_targetILNS1_3genE2ELNS1_11target_archE906ELNS1_3gpuE6ELNS1_3repE0EEENS1_30default_config_static_selectorELNS0_4arch9wavefront6targetE1EEEvT1_,@function
_ZN7rocprim17ROCPRIM_400000_NS6detail17trampoline_kernelINS0_14default_configENS1_25partition_config_selectorILNS1_17partition_subalgoE5ElNS0_10empty_typeEbEEZZNS1_14partition_implILS5_5ELb0ES3_mN6hipcub16HIPCUB_304000_NS21CountingInputIteratorIllEEPS6_NSA_22TransformInputIteratorIb7NonZeroIiEPilEENS0_5tupleIJPlS6_EEENSJ_IJSD_SD_EEES6_SK_JS6_EEE10hipError_tPvRmT3_T4_T5_T6_T7_T9_mT8_P12ihipStream_tbDpT10_ENKUlT_T0_E_clISt17integral_constantIbLb1EES15_IbLb0EEEEDaS11_S12_EUlS11_E_NS1_11comp_targetILNS1_3genE2ELNS1_11target_archE906ELNS1_3gpuE6ELNS1_3repE0EEENS1_30default_config_static_selectorELNS0_4arch9wavefront6targetE1EEEvT1_: ; @_ZN7rocprim17ROCPRIM_400000_NS6detail17trampoline_kernelINS0_14default_configENS1_25partition_config_selectorILNS1_17partition_subalgoE5ElNS0_10empty_typeEbEEZZNS1_14partition_implILS5_5ELb0ES3_mN6hipcub16HIPCUB_304000_NS21CountingInputIteratorIllEEPS6_NSA_22TransformInputIteratorIb7NonZeroIiEPilEENS0_5tupleIJPlS6_EEENSJ_IJSD_SD_EEES6_SK_JS6_EEE10hipError_tPvRmT3_T4_T5_T6_T7_T9_mT8_P12ihipStream_tbDpT10_ENKUlT_T0_E_clISt17integral_constantIbLb1EES15_IbLb0EEEEDaS11_S12_EUlS11_E_NS1_11comp_targetILNS1_3genE2ELNS1_11target_archE906ELNS1_3gpuE6ELNS1_3repE0EEENS1_30default_config_static_selectorELNS0_4arch9wavefront6targetE1EEEvT1_
; %bb.0:
	s_endpgm
	.section	.rodata,"a",@progbits
	.p2align	6, 0x0
	.amdhsa_kernel _ZN7rocprim17ROCPRIM_400000_NS6detail17trampoline_kernelINS0_14default_configENS1_25partition_config_selectorILNS1_17partition_subalgoE5ElNS0_10empty_typeEbEEZZNS1_14partition_implILS5_5ELb0ES3_mN6hipcub16HIPCUB_304000_NS21CountingInputIteratorIllEEPS6_NSA_22TransformInputIteratorIb7NonZeroIiEPilEENS0_5tupleIJPlS6_EEENSJ_IJSD_SD_EEES6_SK_JS6_EEE10hipError_tPvRmT3_T4_T5_T6_T7_T9_mT8_P12ihipStream_tbDpT10_ENKUlT_T0_E_clISt17integral_constantIbLb1EES15_IbLb0EEEEDaS11_S12_EUlS11_E_NS1_11comp_targetILNS1_3genE2ELNS1_11target_archE906ELNS1_3gpuE6ELNS1_3repE0EEENS1_30default_config_static_selectorELNS0_4arch9wavefront6targetE1EEEvT1_
		.amdhsa_group_segment_fixed_size 0
		.amdhsa_private_segment_fixed_size 0
		.amdhsa_kernarg_size 120
		.amdhsa_user_sgpr_count 6
		.amdhsa_user_sgpr_private_segment_buffer 1
		.amdhsa_user_sgpr_dispatch_ptr 0
		.amdhsa_user_sgpr_queue_ptr 0
		.amdhsa_user_sgpr_kernarg_segment_ptr 1
		.amdhsa_user_sgpr_dispatch_id 0
		.amdhsa_user_sgpr_flat_scratch_init 0
		.amdhsa_user_sgpr_private_segment_size 0
		.amdhsa_uses_dynamic_stack 0
		.amdhsa_system_sgpr_private_segment_wavefront_offset 0
		.amdhsa_system_sgpr_workgroup_id_x 1
		.amdhsa_system_sgpr_workgroup_id_y 0
		.amdhsa_system_sgpr_workgroup_id_z 0
		.amdhsa_system_sgpr_workgroup_info 0
		.amdhsa_system_vgpr_workitem_id 0
		.amdhsa_next_free_vgpr 1
		.amdhsa_next_free_sgpr 0
		.amdhsa_reserve_vcc 0
		.amdhsa_reserve_flat_scratch 0
		.amdhsa_float_round_mode_32 0
		.amdhsa_float_round_mode_16_64 0
		.amdhsa_float_denorm_mode_32 3
		.amdhsa_float_denorm_mode_16_64 3
		.amdhsa_dx10_clamp 1
		.amdhsa_ieee_mode 1
		.amdhsa_fp16_overflow 0
		.amdhsa_exception_fp_ieee_invalid_op 0
		.amdhsa_exception_fp_denorm_src 0
		.amdhsa_exception_fp_ieee_div_zero 0
		.amdhsa_exception_fp_ieee_overflow 0
		.amdhsa_exception_fp_ieee_underflow 0
		.amdhsa_exception_fp_ieee_inexact 0
		.amdhsa_exception_int_div_zero 0
	.end_amdhsa_kernel
	.section	.text._ZN7rocprim17ROCPRIM_400000_NS6detail17trampoline_kernelINS0_14default_configENS1_25partition_config_selectorILNS1_17partition_subalgoE5ElNS0_10empty_typeEbEEZZNS1_14partition_implILS5_5ELb0ES3_mN6hipcub16HIPCUB_304000_NS21CountingInputIteratorIllEEPS6_NSA_22TransformInputIteratorIb7NonZeroIiEPilEENS0_5tupleIJPlS6_EEENSJ_IJSD_SD_EEES6_SK_JS6_EEE10hipError_tPvRmT3_T4_T5_T6_T7_T9_mT8_P12ihipStream_tbDpT10_ENKUlT_T0_E_clISt17integral_constantIbLb1EES15_IbLb0EEEEDaS11_S12_EUlS11_E_NS1_11comp_targetILNS1_3genE2ELNS1_11target_archE906ELNS1_3gpuE6ELNS1_3repE0EEENS1_30default_config_static_selectorELNS0_4arch9wavefront6targetE1EEEvT1_,"axG",@progbits,_ZN7rocprim17ROCPRIM_400000_NS6detail17trampoline_kernelINS0_14default_configENS1_25partition_config_selectorILNS1_17partition_subalgoE5ElNS0_10empty_typeEbEEZZNS1_14partition_implILS5_5ELb0ES3_mN6hipcub16HIPCUB_304000_NS21CountingInputIteratorIllEEPS6_NSA_22TransformInputIteratorIb7NonZeroIiEPilEENS0_5tupleIJPlS6_EEENSJ_IJSD_SD_EEES6_SK_JS6_EEE10hipError_tPvRmT3_T4_T5_T6_T7_T9_mT8_P12ihipStream_tbDpT10_ENKUlT_T0_E_clISt17integral_constantIbLb1EES15_IbLb0EEEEDaS11_S12_EUlS11_E_NS1_11comp_targetILNS1_3genE2ELNS1_11target_archE906ELNS1_3gpuE6ELNS1_3repE0EEENS1_30default_config_static_selectorELNS0_4arch9wavefront6targetE1EEEvT1_,comdat
.Lfunc_end205:
	.size	_ZN7rocprim17ROCPRIM_400000_NS6detail17trampoline_kernelINS0_14default_configENS1_25partition_config_selectorILNS1_17partition_subalgoE5ElNS0_10empty_typeEbEEZZNS1_14partition_implILS5_5ELb0ES3_mN6hipcub16HIPCUB_304000_NS21CountingInputIteratorIllEEPS6_NSA_22TransformInputIteratorIb7NonZeroIiEPilEENS0_5tupleIJPlS6_EEENSJ_IJSD_SD_EEES6_SK_JS6_EEE10hipError_tPvRmT3_T4_T5_T6_T7_T9_mT8_P12ihipStream_tbDpT10_ENKUlT_T0_E_clISt17integral_constantIbLb1EES15_IbLb0EEEEDaS11_S12_EUlS11_E_NS1_11comp_targetILNS1_3genE2ELNS1_11target_archE906ELNS1_3gpuE6ELNS1_3repE0EEENS1_30default_config_static_selectorELNS0_4arch9wavefront6targetE1EEEvT1_, .Lfunc_end205-_ZN7rocprim17ROCPRIM_400000_NS6detail17trampoline_kernelINS0_14default_configENS1_25partition_config_selectorILNS1_17partition_subalgoE5ElNS0_10empty_typeEbEEZZNS1_14partition_implILS5_5ELb0ES3_mN6hipcub16HIPCUB_304000_NS21CountingInputIteratorIllEEPS6_NSA_22TransformInputIteratorIb7NonZeroIiEPilEENS0_5tupleIJPlS6_EEENSJ_IJSD_SD_EEES6_SK_JS6_EEE10hipError_tPvRmT3_T4_T5_T6_T7_T9_mT8_P12ihipStream_tbDpT10_ENKUlT_T0_E_clISt17integral_constantIbLb1EES15_IbLb0EEEEDaS11_S12_EUlS11_E_NS1_11comp_targetILNS1_3genE2ELNS1_11target_archE906ELNS1_3gpuE6ELNS1_3repE0EEENS1_30default_config_static_selectorELNS0_4arch9wavefront6targetE1EEEvT1_
                                        ; -- End function
	.set _ZN7rocprim17ROCPRIM_400000_NS6detail17trampoline_kernelINS0_14default_configENS1_25partition_config_selectorILNS1_17partition_subalgoE5ElNS0_10empty_typeEbEEZZNS1_14partition_implILS5_5ELb0ES3_mN6hipcub16HIPCUB_304000_NS21CountingInputIteratorIllEEPS6_NSA_22TransformInputIteratorIb7NonZeroIiEPilEENS0_5tupleIJPlS6_EEENSJ_IJSD_SD_EEES6_SK_JS6_EEE10hipError_tPvRmT3_T4_T5_T6_T7_T9_mT8_P12ihipStream_tbDpT10_ENKUlT_T0_E_clISt17integral_constantIbLb1EES15_IbLb0EEEEDaS11_S12_EUlS11_E_NS1_11comp_targetILNS1_3genE2ELNS1_11target_archE906ELNS1_3gpuE6ELNS1_3repE0EEENS1_30default_config_static_selectorELNS0_4arch9wavefront6targetE1EEEvT1_.num_vgpr, 0
	.set _ZN7rocprim17ROCPRIM_400000_NS6detail17trampoline_kernelINS0_14default_configENS1_25partition_config_selectorILNS1_17partition_subalgoE5ElNS0_10empty_typeEbEEZZNS1_14partition_implILS5_5ELb0ES3_mN6hipcub16HIPCUB_304000_NS21CountingInputIteratorIllEEPS6_NSA_22TransformInputIteratorIb7NonZeroIiEPilEENS0_5tupleIJPlS6_EEENSJ_IJSD_SD_EEES6_SK_JS6_EEE10hipError_tPvRmT3_T4_T5_T6_T7_T9_mT8_P12ihipStream_tbDpT10_ENKUlT_T0_E_clISt17integral_constantIbLb1EES15_IbLb0EEEEDaS11_S12_EUlS11_E_NS1_11comp_targetILNS1_3genE2ELNS1_11target_archE906ELNS1_3gpuE6ELNS1_3repE0EEENS1_30default_config_static_selectorELNS0_4arch9wavefront6targetE1EEEvT1_.num_agpr, 0
	.set _ZN7rocprim17ROCPRIM_400000_NS6detail17trampoline_kernelINS0_14default_configENS1_25partition_config_selectorILNS1_17partition_subalgoE5ElNS0_10empty_typeEbEEZZNS1_14partition_implILS5_5ELb0ES3_mN6hipcub16HIPCUB_304000_NS21CountingInputIteratorIllEEPS6_NSA_22TransformInputIteratorIb7NonZeroIiEPilEENS0_5tupleIJPlS6_EEENSJ_IJSD_SD_EEES6_SK_JS6_EEE10hipError_tPvRmT3_T4_T5_T6_T7_T9_mT8_P12ihipStream_tbDpT10_ENKUlT_T0_E_clISt17integral_constantIbLb1EES15_IbLb0EEEEDaS11_S12_EUlS11_E_NS1_11comp_targetILNS1_3genE2ELNS1_11target_archE906ELNS1_3gpuE6ELNS1_3repE0EEENS1_30default_config_static_selectorELNS0_4arch9wavefront6targetE1EEEvT1_.numbered_sgpr, 0
	.set _ZN7rocprim17ROCPRIM_400000_NS6detail17trampoline_kernelINS0_14default_configENS1_25partition_config_selectorILNS1_17partition_subalgoE5ElNS0_10empty_typeEbEEZZNS1_14partition_implILS5_5ELb0ES3_mN6hipcub16HIPCUB_304000_NS21CountingInputIteratorIllEEPS6_NSA_22TransformInputIteratorIb7NonZeroIiEPilEENS0_5tupleIJPlS6_EEENSJ_IJSD_SD_EEES6_SK_JS6_EEE10hipError_tPvRmT3_T4_T5_T6_T7_T9_mT8_P12ihipStream_tbDpT10_ENKUlT_T0_E_clISt17integral_constantIbLb1EES15_IbLb0EEEEDaS11_S12_EUlS11_E_NS1_11comp_targetILNS1_3genE2ELNS1_11target_archE906ELNS1_3gpuE6ELNS1_3repE0EEENS1_30default_config_static_selectorELNS0_4arch9wavefront6targetE1EEEvT1_.num_named_barrier, 0
	.set _ZN7rocprim17ROCPRIM_400000_NS6detail17trampoline_kernelINS0_14default_configENS1_25partition_config_selectorILNS1_17partition_subalgoE5ElNS0_10empty_typeEbEEZZNS1_14partition_implILS5_5ELb0ES3_mN6hipcub16HIPCUB_304000_NS21CountingInputIteratorIllEEPS6_NSA_22TransformInputIteratorIb7NonZeroIiEPilEENS0_5tupleIJPlS6_EEENSJ_IJSD_SD_EEES6_SK_JS6_EEE10hipError_tPvRmT3_T4_T5_T6_T7_T9_mT8_P12ihipStream_tbDpT10_ENKUlT_T0_E_clISt17integral_constantIbLb1EES15_IbLb0EEEEDaS11_S12_EUlS11_E_NS1_11comp_targetILNS1_3genE2ELNS1_11target_archE906ELNS1_3gpuE6ELNS1_3repE0EEENS1_30default_config_static_selectorELNS0_4arch9wavefront6targetE1EEEvT1_.private_seg_size, 0
	.set _ZN7rocprim17ROCPRIM_400000_NS6detail17trampoline_kernelINS0_14default_configENS1_25partition_config_selectorILNS1_17partition_subalgoE5ElNS0_10empty_typeEbEEZZNS1_14partition_implILS5_5ELb0ES3_mN6hipcub16HIPCUB_304000_NS21CountingInputIteratorIllEEPS6_NSA_22TransformInputIteratorIb7NonZeroIiEPilEENS0_5tupleIJPlS6_EEENSJ_IJSD_SD_EEES6_SK_JS6_EEE10hipError_tPvRmT3_T4_T5_T6_T7_T9_mT8_P12ihipStream_tbDpT10_ENKUlT_T0_E_clISt17integral_constantIbLb1EES15_IbLb0EEEEDaS11_S12_EUlS11_E_NS1_11comp_targetILNS1_3genE2ELNS1_11target_archE906ELNS1_3gpuE6ELNS1_3repE0EEENS1_30default_config_static_selectorELNS0_4arch9wavefront6targetE1EEEvT1_.uses_vcc, 0
	.set _ZN7rocprim17ROCPRIM_400000_NS6detail17trampoline_kernelINS0_14default_configENS1_25partition_config_selectorILNS1_17partition_subalgoE5ElNS0_10empty_typeEbEEZZNS1_14partition_implILS5_5ELb0ES3_mN6hipcub16HIPCUB_304000_NS21CountingInputIteratorIllEEPS6_NSA_22TransformInputIteratorIb7NonZeroIiEPilEENS0_5tupleIJPlS6_EEENSJ_IJSD_SD_EEES6_SK_JS6_EEE10hipError_tPvRmT3_T4_T5_T6_T7_T9_mT8_P12ihipStream_tbDpT10_ENKUlT_T0_E_clISt17integral_constantIbLb1EES15_IbLb0EEEEDaS11_S12_EUlS11_E_NS1_11comp_targetILNS1_3genE2ELNS1_11target_archE906ELNS1_3gpuE6ELNS1_3repE0EEENS1_30default_config_static_selectorELNS0_4arch9wavefront6targetE1EEEvT1_.uses_flat_scratch, 0
	.set _ZN7rocprim17ROCPRIM_400000_NS6detail17trampoline_kernelINS0_14default_configENS1_25partition_config_selectorILNS1_17partition_subalgoE5ElNS0_10empty_typeEbEEZZNS1_14partition_implILS5_5ELb0ES3_mN6hipcub16HIPCUB_304000_NS21CountingInputIteratorIllEEPS6_NSA_22TransformInputIteratorIb7NonZeroIiEPilEENS0_5tupleIJPlS6_EEENSJ_IJSD_SD_EEES6_SK_JS6_EEE10hipError_tPvRmT3_T4_T5_T6_T7_T9_mT8_P12ihipStream_tbDpT10_ENKUlT_T0_E_clISt17integral_constantIbLb1EES15_IbLb0EEEEDaS11_S12_EUlS11_E_NS1_11comp_targetILNS1_3genE2ELNS1_11target_archE906ELNS1_3gpuE6ELNS1_3repE0EEENS1_30default_config_static_selectorELNS0_4arch9wavefront6targetE1EEEvT1_.has_dyn_sized_stack, 0
	.set _ZN7rocprim17ROCPRIM_400000_NS6detail17trampoline_kernelINS0_14default_configENS1_25partition_config_selectorILNS1_17partition_subalgoE5ElNS0_10empty_typeEbEEZZNS1_14partition_implILS5_5ELb0ES3_mN6hipcub16HIPCUB_304000_NS21CountingInputIteratorIllEEPS6_NSA_22TransformInputIteratorIb7NonZeroIiEPilEENS0_5tupleIJPlS6_EEENSJ_IJSD_SD_EEES6_SK_JS6_EEE10hipError_tPvRmT3_T4_T5_T6_T7_T9_mT8_P12ihipStream_tbDpT10_ENKUlT_T0_E_clISt17integral_constantIbLb1EES15_IbLb0EEEEDaS11_S12_EUlS11_E_NS1_11comp_targetILNS1_3genE2ELNS1_11target_archE906ELNS1_3gpuE6ELNS1_3repE0EEENS1_30default_config_static_selectorELNS0_4arch9wavefront6targetE1EEEvT1_.has_recursion, 0
	.set _ZN7rocprim17ROCPRIM_400000_NS6detail17trampoline_kernelINS0_14default_configENS1_25partition_config_selectorILNS1_17partition_subalgoE5ElNS0_10empty_typeEbEEZZNS1_14partition_implILS5_5ELb0ES3_mN6hipcub16HIPCUB_304000_NS21CountingInputIteratorIllEEPS6_NSA_22TransformInputIteratorIb7NonZeroIiEPilEENS0_5tupleIJPlS6_EEENSJ_IJSD_SD_EEES6_SK_JS6_EEE10hipError_tPvRmT3_T4_T5_T6_T7_T9_mT8_P12ihipStream_tbDpT10_ENKUlT_T0_E_clISt17integral_constantIbLb1EES15_IbLb0EEEEDaS11_S12_EUlS11_E_NS1_11comp_targetILNS1_3genE2ELNS1_11target_archE906ELNS1_3gpuE6ELNS1_3repE0EEENS1_30default_config_static_selectorELNS0_4arch9wavefront6targetE1EEEvT1_.has_indirect_call, 0
	.section	.AMDGPU.csdata,"",@progbits
; Kernel info:
; codeLenInByte = 4
; TotalNumSgprs: 4
; NumVgprs: 0
; ScratchSize: 0
; MemoryBound: 0
; FloatMode: 240
; IeeeMode: 1
; LDSByteSize: 0 bytes/workgroup (compile time only)
; SGPRBlocks: 0
; VGPRBlocks: 0
; NumSGPRsForWavesPerEU: 4
; NumVGPRsForWavesPerEU: 1
; Occupancy: 10
; WaveLimiterHint : 0
; COMPUTE_PGM_RSRC2:SCRATCH_EN: 0
; COMPUTE_PGM_RSRC2:USER_SGPR: 6
; COMPUTE_PGM_RSRC2:TRAP_HANDLER: 0
; COMPUTE_PGM_RSRC2:TGID_X_EN: 1
; COMPUTE_PGM_RSRC2:TGID_Y_EN: 0
; COMPUTE_PGM_RSRC2:TGID_Z_EN: 0
; COMPUTE_PGM_RSRC2:TIDIG_COMP_CNT: 0
	.section	.text._ZN7rocprim17ROCPRIM_400000_NS6detail17trampoline_kernelINS0_14default_configENS1_25partition_config_selectorILNS1_17partition_subalgoE5ElNS0_10empty_typeEbEEZZNS1_14partition_implILS5_5ELb0ES3_mN6hipcub16HIPCUB_304000_NS21CountingInputIteratorIllEEPS6_NSA_22TransformInputIteratorIb7NonZeroIiEPilEENS0_5tupleIJPlS6_EEENSJ_IJSD_SD_EEES6_SK_JS6_EEE10hipError_tPvRmT3_T4_T5_T6_T7_T9_mT8_P12ihipStream_tbDpT10_ENKUlT_T0_E_clISt17integral_constantIbLb1EES15_IbLb0EEEEDaS11_S12_EUlS11_E_NS1_11comp_targetILNS1_3genE10ELNS1_11target_archE1200ELNS1_3gpuE4ELNS1_3repE0EEENS1_30default_config_static_selectorELNS0_4arch9wavefront6targetE1EEEvT1_,"axG",@progbits,_ZN7rocprim17ROCPRIM_400000_NS6detail17trampoline_kernelINS0_14default_configENS1_25partition_config_selectorILNS1_17partition_subalgoE5ElNS0_10empty_typeEbEEZZNS1_14partition_implILS5_5ELb0ES3_mN6hipcub16HIPCUB_304000_NS21CountingInputIteratorIllEEPS6_NSA_22TransformInputIteratorIb7NonZeroIiEPilEENS0_5tupleIJPlS6_EEENSJ_IJSD_SD_EEES6_SK_JS6_EEE10hipError_tPvRmT3_T4_T5_T6_T7_T9_mT8_P12ihipStream_tbDpT10_ENKUlT_T0_E_clISt17integral_constantIbLb1EES15_IbLb0EEEEDaS11_S12_EUlS11_E_NS1_11comp_targetILNS1_3genE10ELNS1_11target_archE1200ELNS1_3gpuE4ELNS1_3repE0EEENS1_30default_config_static_selectorELNS0_4arch9wavefront6targetE1EEEvT1_,comdat
	.protected	_ZN7rocprim17ROCPRIM_400000_NS6detail17trampoline_kernelINS0_14default_configENS1_25partition_config_selectorILNS1_17partition_subalgoE5ElNS0_10empty_typeEbEEZZNS1_14partition_implILS5_5ELb0ES3_mN6hipcub16HIPCUB_304000_NS21CountingInputIteratorIllEEPS6_NSA_22TransformInputIteratorIb7NonZeroIiEPilEENS0_5tupleIJPlS6_EEENSJ_IJSD_SD_EEES6_SK_JS6_EEE10hipError_tPvRmT3_T4_T5_T6_T7_T9_mT8_P12ihipStream_tbDpT10_ENKUlT_T0_E_clISt17integral_constantIbLb1EES15_IbLb0EEEEDaS11_S12_EUlS11_E_NS1_11comp_targetILNS1_3genE10ELNS1_11target_archE1200ELNS1_3gpuE4ELNS1_3repE0EEENS1_30default_config_static_selectorELNS0_4arch9wavefront6targetE1EEEvT1_ ; -- Begin function _ZN7rocprim17ROCPRIM_400000_NS6detail17trampoline_kernelINS0_14default_configENS1_25partition_config_selectorILNS1_17partition_subalgoE5ElNS0_10empty_typeEbEEZZNS1_14partition_implILS5_5ELb0ES3_mN6hipcub16HIPCUB_304000_NS21CountingInputIteratorIllEEPS6_NSA_22TransformInputIteratorIb7NonZeroIiEPilEENS0_5tupleIJPlS6_EEENSJ_IJSD_SD_EEES6_SK_JS6_EEE10hipError_tPvRmT3_T4_T5_T6_T7_T9_mT8_P12ihipStream_tbDpT10_ENKUlT_T0_E_clISt17integral_constantIbLb1EES15_IbLb0EEEEDaS11_S12_EUlS11_E_NS1_11comp_targetILNS1_3genE10ELNS1_11target_archE1200ELNS1_3gpuE4ELNS1_3repE0EEENS1_30default_config_static_selectorELNS0_4arch9wavefront6targetE1EEEvT1_
	.globl	_ZN7rocprim17ROCPRIM_400000_NS6detail17trampoline_kernelINS0_14default_configENS1_25partition_config_selectorILNS1_17partition_subalgoE5ElNS0_10empty_typeEbEEZZNS1_14partition_implILS5_5ELb0ES3_mN6hipcub16HIPCUB_304000_NS21CountingInputIteratorIllEEPS6_NSA_22TransformInputIteratorIb7NonZeroIiEPilEENS0_5tupleIJPlS6_EEENSJ_IJSD_SD_EEES6_SK_JS6_EEE10hipError_tPvRmT3_T4_T5_T6_T7_T9_mT8_P12ihipStream_tbDpT10_ENKUlT_T0_E_clISt17integral_constantIbLb1EES15_IbLb0EEEEDaS11_S12_EUlS11_E_NS1_11comp_targetILNS1_3genE10ELNS1_11target_archE1200ELNS1_3gpuE4ELNS1_3repE0EEENS1_30default_config_static_selectorELNS0_4arch9wavefront6targetE1EEEvT1_
	.p2align	8
	.type	_ZN7rocprim17ROCPRIM_400000_NS6detail17trampoline_kernelINS0_14default_configENS1_25partition_config_selectorILNS1_17partition_subalgoE5ElNS0_10empty_typeEbEEZZNS1_14partition_implILS5_5ELb0ES3_mN6hipcub16HIPCUB_304000_NS21CountingInputIteratorIllEEPS6_NSA_22TransformInputIteratorIb7NonZeroIiEPilEENS0_5tupleIJPlS6_EEENSJ_IJSD_SD_EEES6_SK_JS6_EEE10hipError_tPvRmT3_T4_T5_T6_T7_T9_mT8_P12ihipStream_tbDpT10_ENKUlT_T0_E_clISt17integral_constantIbLb1EES15_IbLb0EEEEDaS11_S12_EUlS11_E_NS1_11comp_targetILNS1_3genE10ELNS1_11target_archE1200ELNS1_3gpuE4ELNS1_3repE0EEENS1_30default_config_static_selectorELNS0_4arch9wavefront6targetE1EEEvT1_,@function
_ZN7rocprim17ROCPRIM_400000_NS6detail17trampoline_kernelINS0_14default_configENS1_25partition_config_selectorILNS1_17partition_subalgoE5ElNS0_10empty_typeEbEEZZNS1_14partition_implILS5_5ELb0ES3_mN6hipcub16HIPCUB_304000_NS21CountingInputIteratorIllEEPS6_NSA_22TransformInputIteratorIb7NonZeroIiEPilEENS0_5tupleIJPlS6_EEENSJ_IJSD_SD_EEES6_SK_JS6_EEE10hipError_tPvRmT3_T4_T5_T6_T7_T9_mT8_P12ihipStream_tbDpT10_ENKUlT_T0_E_clISt17integral_constantIbLb1EES15_IbLb0EEEEDaS11_S12_EUlS11_E_NS1_11comp_targetILNS1_3genE10ELNS1_11target_archE1200ELNS1_3gpuE4ELNS1_3repE0EEENS1_30default_config_static_selectorELNS0_4arch9wavefront6targetE1EEEvT1_: ; @_ZN7rocprim17ROCPRIM_400000_NS6detail17trampoline_kernelINS0_14default_configENS1_25partition_config_selectorILNS1_17partition_subalgoE5ElNS0_10empty_typeEbEEZZNS1_14partition_implILS5_5ELb0ES3_mN6hipcub16HIPCUB_304000_NS21CountingInputIteratorIllEEPS6_NSA_22TransformInputIteratorIb7NonZeroIiEPilEENS0_5tupleIJPlS6_EEENSJ_IJSD_SD_EEES6_SK_JS6_EEE10hipError_tPvRmT3_T4_T5_T6_T7_T9_mT8_P12ihipStream_tbDpT10_ENKUlT_T0_E_clISt17integral_constantIbLb1EES15_IbLb0EEEEDaS11_S12_EUlS11_E_NS1_11comp_targetILNS1_3genE10ELNS1_11target_archE1200ELNS1_3gpuE4ELNS1_3repE0EEENS1_30default_config_static_selectorELNS0_4arch9wavefront6targetE1EEEvT1_
; %bb.0:
	.section	.rodata,"a",@progbits
	.p2align	6, 0x0
	.amdhsa_kernel _ZN7rocprim17ROCPRIM_400000_NS6detail17trampoline_kernelINS0_14default_configENS1_25partition_config_selectorILNS1_17partition_subalgoE5ElNS0_10empty_typeEbEEZZNS1_14partition_implILS5_5ELb0ES3_mN6hipcub16HIPCUB_304000_NS21CountingInputIteratorIllEEPS6_NSA_22TransformInputIteratorIb7NonZeroIiEPilEENS0_5tupleIJPlS6_EEENSJ_IJSD_SD_EEES6_SK_JS6_EEE10hipError_tPvRmT3_T4_T5_T6_T7_T9_mT8_P12ihipStream_tbDpT10_ENKUlT_T0_E_clISt17integral_constantIbLb1EES15_IbLb0EEEEDaS11_S12_EUlS11_E_NS1_11comp_targetILNS1_3genE10ELNS1_11target_archE1200ELNS1_3gpuE4ELNS1_3repE0EEENS1_30default_config_static_selectorELNS0_4arch9wavefront6targetE1EEEvT1_
		.amdhsa_group_segment_fixed_size 0
		.amdhsa_private_segment_fixed_size 0
		.amdhsa_kernarg_size 120
		.amdhsa_user_sgpr_count 6
		.amdhsa_user_sgpr_private_segment_buffer 1
		.amdhsa_user_sgpr_dispatch_ptr 0
		.amdhsa_user_sgpr_queue_ptr 0
		.amdhsa_user_sgpr_kernarg_segment_ptr 1
		.amdhsa_user_sgpr_dispatch_id 0
		.amdhsa_user_sgpr_flat_scratch_init 0
		.amdhsa_user_sgpr_private_segment_size 0
		.amdhsa_uses_dynamic_stack 0
		.amdhsa_system_sgpr_private_segment_wavefront_offset 0
		.amdhsa_system_sgpr_workgroup_id_x 1
		.amdhsa_system_sgpr_workgroup_id_y 0
		.amdhsa_system_sgpr_workgroup_id_z 0
		.amdhsa_system_sgpr_workgroup_info 0
		.amdhsa_system_vgpr_workitem_id 0
		.amdhsa_next_free_vgpr 1
		.amdhsa_next_free_sgpr 0
		.amdhsa_reserve_vcc 0
		.amdhsa_reserve_flat_scratch 0
		.amdhsa_float_round_mode_32 0
		.amdhsa_float_round_mode_16_64 0
		.amdhsa_float_denorm_mode_32 3
		.amdhsa_float_denorm_mode_16_64 3
		.amdhsa_dx10_clamp 1
		.amdhsa_ieee_mode 1
		.amdhsa_fp16_overflow 0
		.amdhsa_exception_fp_ieee_invalid_op 0
		.amdhsa_exception_fp_denorm_src 0
		.amdhsa_exception_fp_ieee_div_zero 0
		.amdhsa_exception_fp_ieee_overflow 0
		.amdhsa_exception_fp_ieee_underflow 0
		.amdhsa_exception_fp_ieee_inexact 0
		.amdhsa_exception_int_div_zero 0
	.end_amdhsa_kernel
	.section	.text._ZN7rocprim17ROCPRIM_400000_NS6detail17trampoline_kernelINS0_14default_configENS1_25partition_config_selectorILNS1_17partition_subalgoE5ElNS0_10empty_typeEbEEZZNS1_14partition_implILS5_5ELb0ES3_mN6hipcub16HIPCUB_304000_NS21CountingInputIteratorIllEEPS6_NSA_22TransformInputIteratorIb7NonZeroIiEPilEENS0_5tupleIJPlS6_EEENSJ_IJSD_SD_EEES6_SK_JS6_EEE10hipError_tPvRmT3_T4_T5_T6_T7_T9_mT8_P12ihipStream_tbDpT10_ENKUlT_T0_E_clISt17integral_constantIbLb1EES15_IbLb0EEEEDaS11_S12_EUlS11_E_NS1_11comp_targetILNS1_3genE10ELNS1_11target_archE1200ELNS1_3gpuE4ELNS1_3repE0EEENS1_30default_config_static_selectorELNS0_4arch9wavefront6targetE1EEEvT1_,"axG",@progbits,_ZN7rocprim17ROCPRIM_400000_NS6detail17trampoline_kernelINS0_14default_configENS1_25partition_config_selectorILNS1_17partition_subalgoE5ElNS0_10empty_typeEbEEZZNS1_14partition_implILS5_5ELb0ES3_mN6hipcub16HIPCUB_304000_NS21CountingInputIteratorIllEEPS6_NSA_22TransformInputIteratorIb7NonZeroIiEPilEENS0_5tupleIJPlS6_EEENSJ_IJSD_SD_EEES6_SK_JS6_EEE10hipError_tPvRmT3_T4_T5_T6_T7_T9_mT8_P12ihipStream_tbDpT10_ENKUlT_T0_E_clISt17integral_constantIbLb1EES15_IbLb0EEEEDaS11_S12_EUlS11_E_NS1_11comp_targetILNS1_3genE10ELNS1_11target_archE1200ELNS1_3gpuE4ELNS1_3repE0EEENS1_30default_config_static_selectorELNS0_4arch9wavefront6targetE1EEEvT1_,comdat
.Lfunc_end206:
	.size	_ZN7rocprim17ROCPRIM_400000_NS6detail17trampoline_kernelINS0_14default_configENS1_25partition_config_selectorILNS1_17partition_subalgoE5ElNS0_10empty_typeEbEEZZNS1_14partition_implILS5_5ELb0ES3_mN6hipcub16HIPCUB_304000_NS21CountingInputIteratorIllEEPS6_NSA_22TransformInputIteratorIb7NonZeroIiEPilEENS0_5tupleIJPlS6_EEENSJ_IJSD_SD_EEES6_SK_JS6_EEE10hipError_tPvRmT3_T4_T5_T6_T7_T9_mT8_P12ihipStream_tbDpT10_ENKUlT_T0_E_clISt17integral_constantIbLb1EES15_IbLb0EEEEDaS11_S12_EUlS11_E_NS1_11comp_targetILNS1_3genE10ELNS1_11target_archE1200ELNS1_3gpuE4ELNS1_3repE0EEENS1_30default_config_static_selectorELNS0_4arch9wavefront6targetE1EEEvT1_, .Lfunc_end206-_ZN7rocprim17ROCPRIM_400000_NS6detail17trampoline_kernelINS0_14default_configENS1_25partition_config_selectorILNS1_17partition_subalgoE5ElNS0_10empty_typeEbEEZZNS1_14partition_implILS5_5ELb0ES3_mN6hipcub16HIPCUB_304000_NS21CountingInputIteratorIllEEPS6_NSA_22TransformInputIteratorIb7NonZeroIiEPilEENS0_5tupleIJPlS6_EEENSJ_IJSD_SD_EEES6_SK_JS6_EEE10hipError_tPvRmT3_T4_T5_T6_T7_T9_mT8_P12ihipStream_tbDpT10_ENKUlT_T0_E_clISt17integral_constantIbLb1EES15_IbLb0EEEEDaS11_S12_EUlS11_E_NS1_11comp_targetILNS1_3genE10ELNS1_11target_archE1200ELNS1_3gpuE4ELNS1_3repE0EEENS1_30default_config_static_selectorELNS0_4arch9wavefront6targetE1EEEvT1_
                                        ; -- End function
	.set _ZN7rocprim17ROCPRIM_400000_NS6detail17trampoline_kernelINS0_14default_configENS1_25partition_config_selectorILNS1_17partition_subalgoE5ElNS0_10empty_typeEbEEZZNS1_14partition_implILS5_5ELb0ES3_mN6hipcub16HIPCUB_304000_NS21CountingInputIteratorIllEEPS6_NSA_22TransformInputIteratorIb7NonZeroIiEPilEENS0_5tupleIJPlS6_EEENSJ_IJSD_SD_EEES6_SK_JS6_EEE10hipError_tPvRmT3_T4_T5_T6_T7_T9_mT8_P12ihipStream_tbDpT10_ENKUlT_T0_E_clISt17integral_constantIbLb1EES15_IbLb0EEEEDaS11_S12_EUlS11_E_NS1_11comp_targetILNS1_3genE10ELNS1_11target_archE1200ELNS1_3gpuE4ELNS1_3repE0EEENS1_30default_config_static_selectorELNS0_4arch9wavefront6targetE1EEEvT1_.num_vgpr, 0
	.set _ZN7rocprim17ROCPRIM_400000_NS6detail17trampoline_kernelINS0_14default_configENS1_25partition_config_selectorILNS1_17partition_subalgoE5ElNS0_10empty_typeEbEEZZNS1_14partition_implILS5_5ELb0ES3_mN6hipcub16HIPCUB_304000_NS21CountingInputIteratorIllEEPS6_NSA_22TransformInputIteratorIb7NonZeroIiEPilEENS0_5tupleIJPlS6_EEENSJ_IJSD_SD_EEES6_SK_JS6_EEE10hipError_tPvRmT3_T4_T5_T6_T7_T9_mT8_P12ihipStream_tbDpT10_ENKUlT_T0_E_clISt17integral_constantIbLb1EES15_IbLb0EEEEDaS11_S12_EUlS11_E_NS1_11comp_targetILNS1_3genE10ELNS1_11target_archE1200ELNS1_3gpuE4ELNS1_3repE0EEENS1_30default_config_static_selectorELNS0_4arch9wavefront6targetE1EEEvT1_.num_agpr, 0
	.set _ZN7rocprim17ROCPRIM_400000_NS6detail17trampoline_kernelINS0_14default_configENS1_25partition_config_selectorILNS1_17partition_subalgoE5ElNS0_10empty_typeEbEEZZNS1_14partition_implILS5_5ELb0ES3_mN6hipcub16HIPCUB_304000_NS21CountingInputIteratorIllEEPS6_NSA_22TransformInputIteratorIb7NonZeroIiEPilEENS0_5tupleIJPlS6_EEENSJ_IJSD_SD_EEES6_SK_JS6_EEE10hipError_tPvRmT3_T4_T5_T6_T7_T9_mT8_P12ihipStream_tbDpT10_ENKUlT_T0_E_clISt17integral_constantIbLb1EES15_IbLb0EEEEDaS11_S12_EUlS11_E_NS1_11comp_targetILNS1_3genE10ELNS1_11target_archE1200ELNS1_3gpuE4ELNS1_3repE0EEENS1_30default_config_static_selectorELNS0_4arch9wavefront6targetE1EEEvT1_.numbered_sgpr, 0
	.set _ZN7rocprim17ROCPRIM_400000_NS6detail17trampoline_kernelINS0_14default_configENS1_25partition_config_selectorILNS1_17partition_subalgoE5ElNS0_10empty_typeEbEEZZNS1_14partition_implILS5_5ELb0ES3_mN6hipcub16HIPCUB_304000_NS21CountingInputIteratorIllEEPS6_NSA_22TransformInputIteratorIb7NonZeroIiEPilEENS0_5tupleIJPlS6_EEENSJ_IJSD_SD_EEES6_SK_JS6_EEE10hipError_tPvRmT3_T4_T5_T6_T7_T9_mT8_P12ihipStream_tbDpT10_ENKUlT_T0_E_clISt17integral_constantIbLb1EES15_IbLb0EEEEDaS11_S12_EUlS11_E_NS1_11comp_targetILNS1_3genE10ELNS1_11target_archE1200ELNS1_3gpuE4ELNS1_3repE0EEENS1_30default_config_static_selectorELNS0_4arch9wavefront6targetE1EEEvT1_.num_named_barrier, 0
	.set _ZN7rocprim17ROCPRIM_400000_NS6detail17trampoline_kernelINS0_14default_configENS1_25partition_config_selectorILNS1_17partition_subalgoE5ElNS0_10empty_typeEbEEZZNS1_14partition_implILS5_5ELb0ES3_mN6hipcub16HIPCUB_304000_NS21CountingInputIteratorIllEEPS6_NSA_22TransformInputIteratorIb7NonZeroIiEPilEENS0_5tupleIJPlS6_EEENSJ_IJSD_SD_EEES6_SK_JS6_EEE10hipError_tPvRmT3_T4_T5_T6_T7_T9_mT8_P12ihipStream_tbDpT10_ENKUlT_T0_E_clISt17integral_constantIbLb1EES15_IbLb0EEEEDaS11_S12_EUlS11_E_NS1_11comp_targetILNS1_3genE10ELNS1_11target_archE1200ELNS1_3gpuE4ELNS1_3repE0EEENS1_30default_config_static_selectorELNS0_4arch9wavefront6targetE1EEEvT1_.private_seg_size, 0
	.set _ZN7rocprim17ROCPRIM_400000_NS6detail17trampoline_kernelINS0_14default_configENS1_25partition_config_selectorILNS1_17partition_subalgoE5ElNS0_10empty_typeEbEEZZNS1_14partition_implILS5_5ELb0ES3_mN6hipcub16HIPCUB_304000_NS21CountingInputIteratorIllEEPS6_NSA_22TransformInputIteratorIb7NonZeroIiEPilEENS0_5tupleIJPlS6_EEENSJ_IJSD_SD_EEES6_SK_JS6_EEE10hipError_tPvRmT3_T4_T5_T6_T7_T9_mT8_P12ihipStream_tbDpT10_ENKUlT_T0_E_clISt17integral_constantIbLb1EES15_IbLb0EEEEDaS11_S12_EUlS11_E_NS1_11comp_targetILNS1_3genE10ELNS1_11target_archE1200ELNS1_3gpuE4ELNS1_3repE0EEENS1_30default_config_static_selectorELNS0_4arch9wavefront6targetE1EEEvT1_.uses_vcc, 0
	.set _ZN7rocprim17ROCPRIM_400000_NS6detail17trampoline_kernelINS0_14default_configENS1_25partition_config_selectorILNS1_17partition_subalgoE5ElNS0_10empty_typeEbEEZZNS1_14partition_implILS5_5ELb0ES3_mN6hipcub16HIPCUB_304000_NS21CountingInputIteratorIllEEPS6_NSA_22TransformInputIteratorIb7NonZeroIiEPilEENS0_5tupleIJPlS6_EEENSJ_IJSD_SD_EEES6_SK_JS6_EEE10hipError_tPvRmT3_T4_T5_T6_T7_T9_mT8_P12ihipStream_tbDpT10_ENKUlT_T0_E_clISt17integral_constantIbLb1EES15_IbLb0EEEEDaS11_S12_EUlS11_E_NS1_11comp_targetILNS1_3genE10ELNS1_11target_archE1200ELNS1_3gpuE4ELNS1_3repE0EEENS1_30default_config_static_selectorELNS0_4arch9wavefront6targetE1EEEvT1_.uses_flat_scratch, 0
	.set _ZN7rocprim17ROCPRIM_400000_NS6detail17trampoline_kernelINS0_14default_configENS1_25partition_config_selectorILNS1_17partition_subalgoE5ElNS0_10empty_typeEbEEZZNS1_14partition_implILS5_5ELb0ES3_mN6hipcub16HIPCUB_304000_NS21CountingInputIteratorIllEEPS6_NSA_22TransformInputIteratorIb7NonZeroIiEPilEENS0_5tupleIJPlS6_EEENSJ_IJSD_SD_EEES6_SK_JS6_EEE10hipError_tPvRmT3_T4_T5_T6_T7_T9_mT8_P12ihipStream_tbDpT10_ENKUlT_T0_E_clISt17integral_constantIbLb1EES15_IbLb0EEEEDaS11_S12_EUlS11_E_NS1_11comp_targetILNS1_3genE10ELNS1_11target_archE1200ELNS1_3gpuE4ELNS1_3repE0EEENS1_30default_config_static_selectorELNS0_4arch9wavefront6targetE1EEEvT1_.has_dyn_sized_stack, 0
	.set _ZN7rocprim17ROCPRIM_400000_NS6detail17trampoline_kernelINS0_14default_configENS1_25partition_config_selectorILNS1_17partition_subalgoE5ElNS0_10empty_typeEbEEZZNS1_14partition_implILS5_5ELb0ES3_mN6hipcub16HIPCUB_304000_NS21CountingInputIteratorIllEEPS6_NSA_22TransformInputIteratorIb7NonZeroIiEPilEENS0_5tupleIJPlS6_EEENSJ_IJSD_SD_EEES6_SK_JS6_EEE10hipError_tPvRmT3_T4_T5_T6_T7_T9_mT8_P12ihipStream_tbDpT10_ENKUlT_T0_E_clISt17integral_constantIbLb1EES15_IbLb0EEEEDaS11_S12_EUlS11_E_NS1_11comp_targetILNS1_3genE10ELNS1_11target_archE1200ELNS1_3gpuE4ELNS1_3repE0EEENS1_30default_config_static_selectorELNS0_4arch9wavefront6targetE1EEEvT1_.has_recursion, 0
	.set _ZN7rocprim17ROCPRIM_400000_NS6detail17trampoline_kernelINS0_14default_configENS1_25partition_config_selectorILNS1_17partition_subalgoE5ElNS0_10empty_typeEbEEZZNS1_14partition_implILS5_5ELb0ES3_mN6hipcub16HIPCUB_304000_NS21CountingInputIteratorIllEEPS6_NSA_22TransformInputIteratorIb7NonZeroIiEPilEENS0_5tupleIJPlS6_EEENSJ_IJSD_SD_EEES6_SK_JS6_EEE10hipError_tPvRmT3_T4_T5_T6_T7_T9_mT8_P12ihipStream_tbDpT10_ENKUlT_T0_E_clISt17integral_constantIbLb1EES15_IbLb0EEEEDaS11_S12_EUlS11_E_NS1_11comp_targetILNS1_3genE10ELNS1_11target_archE1200ELNS1_3gpuE4ELNS1_3repE0EEENS1_30default_config_static_selectorELNS0_4arch9wavefront6targetE1EEEvT1_.has_indirect_call, 0
	.section	.AMDGPU.csdata,"",@progbits
; Kernel info:
; codeLenInByte = 0
; TotalNumSgprs: 4
; NumVgprs: 0
; ScratchSize: 0
; MemoryBound: 0
; FloatMode: 240
; IeeeMode: 1
; LDSByteSize: 0 bytes/workgroup (compile time only)
; SGPRBlocks: 0
; VGPRBlocks: 0
; NumSGPRsForWavesPerEU: 4
; NumVGPRsForWavesPerEU: 1
; Occupancy: 10
; WaveLimiterHint : 0
; COMPUTE_PGM_RSRC2:SCRATCH_EN: 0
; COMPUTE_PGM_RSRC2:USER_SGPR: 6
; COMPUTE_PGM_RSRC2:TRAP_HANDLER: 0
; COMPUTE_PGM_RSRC2:TGID_X_EN: 1
; COMPUTE_PGM_RSRC2:TGID_Y_EN: 0
; COMPUTE_PGM_RSRC2:TGID_Z_EN: 0
; COMPUTE_PGM_RSRC2:TIDIG_COMP_CNT: 0
	.section	.text._ZN7rocprim17ROCPRIM_400000_NS6detail17trampoline_kernelINS0_14default_configENS1_25partition_config_selectorILNS1_17partition_subalgoE5ElNS0_10empty_typeEbEEZZNS1_14partition_implILS5_5ELb0ES3_mN6hipcub16HIPCUB_304000_NS21CountingInputIteratorIllEEPS6_NSA_22TransformInputIteratorIb7NonZeroIiEPilEENS0_5tupleIJPlS6_EEENSJ_IJSD_SD_EEES6_SK_JS6_EEE10hipError_tPvRmT3_T4_T5_T6_T7_T9_mT8_P12ihipStream_tbDpT10_ENKUlT_T0_E_clISt17integral_constantIbLb1EES15_IbLb0EEEEDaS11_S12_EUlS11_E_NS1_11comp_targetILNS1_3genE9ELNS1_11target_archE1100ELNS1_3gpuE3ELNS1_3repE0EEENS1_30default_config_static_selectorELNS0_4arch9wavefront6targetE1EEEvT1_,"axG",@progbits,_ZN7rocprim17ROCPRIM_400000_NS6detail17trampoline_kernelINS0_14default_configENS1_25partition_config_selectorILNS1_17partition_subalgoE5ElNS0_10empty_typeEbEEZZNS1_14partition_implILS5_5ELb0ES3_mN6hipcub16HIPCUB_304000_NS21CountingInputIteratorIllEEPS6_NSA_22TransformInputIteratorIb7NonZeroIiEPilEENS0_5tupleIJPlS6_EEENSJ_IJSD_SD_EEES6_SK_JS6_EEE10hipError_tPvRmT3_T4_T5_T6_T7_T9_mT8_P12ihipStream_tbDpT10_ENKUlT_T0_E_clISt17integral_constantIbLb1EES15_IbLb0EEEEDaS11_S12_EUlS11_E_NS1_11comp_targetILNS1_3genE9ELNS1_11target_archE1100ELNS1_3gpuE3ELNS1_3repE0EEENS1_30default_config_static_selectorELNS0_4arch9wavefront6targetE1EEEvT1_,comdat
	.protected	_ZN7rocprim17ROCPRIM_400000_NS6detail17trampoline_kernelINS0_14default_configENS1_25partition_config_selectorILNS1_17partition_subalgoE5ElNS0_10empty_typeEbEEZZNS1_14partition_implILS5_5ELb0ES3_mN6hipcub16HIPCUB_304000_NS21CountingInputIteratorIllEEPS6_NSA_22TransformInputIteratorIb7NonZeroIiEPilEENS0_5tupleIJPlS6_EEENSJ_IJSD_SD_EEES6_SK_JS6_EEE10hipError_tPvRmT3_T4_T5_T6_T7_T9_mT8_P12ihipStream_tbDpT10_ENKUlT_T0_E_clISt17integral_constantIbLb1EES15_IbLb0EEEEDaS11_S12_EUlS11_E_NS1_11comp_targetILNS1_3genE9ELNS1_11target_archE1100ELNS1_3gpuE3ELNS1_3repE0EEENS1_30default_config_static_selectorELNS0_4arch9wavefront6targetE1EEEvT1_ ; -- Begin function _ZN7rocprim17ROCPRIM_400000_NS6detail17trampoline_kernelINS0_14default_configENS1_25partition_config_selectorILNS1_17partition_subalgoE5ElNS0_10empty_typeEbEEZZNS1_14partition_implILS5_5ELb0ES3_mN6hipcub16HIPCUB_304000_NS21CountingInputIteratorIllEEPS6_NSA_22TransformInputIteratorIb7NonZeroIiEPilEENS0_5tupleIJPlS6_EEENSJ_IJSD_SD_EEES6_SK_JS6_EEE10hipError_tPvRmT3_T4_T5_T6_T7_T9_mT8_P12ihipStream_tbDpT10_ENKUlT_T0_E_clISt17integral_constantIbLb1EES15_IbLb0EEEEDaS11_S12_EUlS11_E_NS1_11comp_targetILNS1_3genE9ELNS1_11target_archE1100ELNS1_3gpuE3ELNS1_3repE0EEENS1_30default_config_static_selectorELNS0_4arch9wavefront6targetE1EEEvT1_
	.globl	_ZN7rocprim17ROCPRIM_400000_NS6detail17trampoline_kernelINS0_14default_configENS1_25partition_config_selectorILNS1_17partition_subalgoE5ElNS0_10empty_typeEbEEZZNS1_14partition_implILS5_5ELb0ES3_mN6hipcub16HIPCUB_304000_NS21CountingInputIteratorIllEEPS6_NSA_22TransformInputIteratorIb7NonZeroIiEPilEENS0_5tupleIJPlS6_EEENSJ_IJSD_SD_EEES6_SK_JS6_EEE10hipError_tPvRmT3_T4_T5_T6_T7_T9_mT8_P12ihipStream_tbDpT10_ENKUlT_T0_E_clISt17integral_constantIbLb1EES15_IbLb0EEEEDaS11_S12_EUlS11_E_NS1_11comp_targetILNS1_3genE9ELNS1_11target_archE1100ELNS1_3gpuE3ELNS1_3repE0EEENS1_30default_config_static_selectorELNS0_4arch9wavefront6targetE1EEEvT1_
	.p2align	8
	.type	_ZN7rocprim17ROCPRIM_400000_NS6detail17trampoline_kernelINS0_14default_configENS1_25partition_config_selectorILNS1_17partition_subalgoE5ElNS0_10empty_typeEbEEZZNS1_14partition_implILS5_5ELb0ES3_mN6hipcub16HIPCUB_304000_NS21CountingInputIteratorIllEEPS6_NSA_22TransformInputIteratorIb7NonZeroIiEPilEENS0_5tupleIJPlS6_EEENSJ_IJSD_SD_EEES6_SK_JS6_EEE10hipError_tPvRmT3_T4_T5_T6_T7_T9_mT8_P12ihipStream_tbDpT10_ENKUlT_T0_E_clISt17integral_constantIbLb1EES15_IbLb0EEEEDaS11_S12_EUlS11_E_NS1_11comp_targetILNS1_3genE9ELNS1_11target_archE1100ELNS1_3gpuE3ELNS1_3repE0EEENS1_30default_config_static_selectorELNS0_4arch9wavefront6targetE1EEEvT1_,@function
_ZN7rocprim17ROCPRIM_400000_NS6detail17trampoline_kernelINS0_14default_configENS1_25partition_config_selectorILNS1_17partition_subalgoE5ElNS0_10empty_typeEbEEZZNS1_14partition_implILS5_5ELb0ES3_mN6hipcub16HIPCUB_304000_NS21CountingInputIteratorIllEEPS6_NSA_22TransformInputIteratorIb7NonZeroIiEPilEENS0_5tupleIJPlS6_EEENSJ_IJSD_SD_EEES6_SK_JS6_EEE10hipError_tPvRmT3_T4_T5_T6_T7_T9_mT8_P12ihipStream_tbDpT10_ENKUlT_T0_E_clISt17integral_constantIbLb1EES15_IbLb0EEEEDaS11_S12_EUlS11_E_NS1_11comp_targetILNS1_3genE9ELNS1_11target_archE1100ELNS1_3gpuE3ELNS1_3repE0EEENS1_30default_config_static_selectorELNS0_4arch9wavefront6targetE1EEEvT1_: ; @_ZN7rocprim17ROCPRIM_400000_NS6detail17trampoline_kernelINS0_14default_configENS1_25partition_config_selectorILNS1_17partition_subalgoE5ElNS0_10empty_typeEbEEZZNS1_14partition_implILS5_5ELb0ES3_mN6hipcub16HIPCUB_304000_NS21CountingInputIteratorIllEEPS6_NSA_22TransformInputIteratorIb7NonZeroIiEPilEENS0_5tupleIJPlS6_EEENSJ_IJSD_SD_EEES6_SK_JS6_EEE10hipError_tPvRmT3_T4_T5_T6_T7_T9_mT8_P12ihipStream_tbDpT10_ENKUlT_T0_E_clISt17integral_constantIbLb1EES15_IbLb0EEEEDaS11_S12_EUlS11_E_NS1_11comp_targetILNS1_3genE9ELNS1_11target_archE1100ELNS1_3gpuE3ELNS1_3repE0EEENS1_30default_config_static_selectorELNS0_4arch9wavefront6targetE1EEEvT1_
; %bb.0:
	.section	.rodata,"a",@progbits
	.p2align	6, 0x0
	.amdhsa_kernel _ZN7rocprim17ROCPRIM_400000_NS6detail17trampoline_kernelINS0_14default_configENS1_25partition_config_selectorILNS1_17partition_subalgoE5ElNS0_10empty_typeEbEEZZNS1_14partition_implILS5_5ELb0ES3_mN6hipcub16HIPCUB_304000_NS21CountingInputIteratorIllEEPS6_NSA_22TransformInputIteratorIb7NonZeroIiEPilEENS0_5tupleIJPlS6_EEENSJ_IJSD_SD_EEES6_SK_JS6_EEE10hipError_tPvRmT3_T4_T5_T6_T7_T9_mT8_P12ihipStream_tbDpT10_ENKUlT_T0_E_clISt17integral_constantIbLb1EES15_IbLb0EEEEDaS11_S12_EUlS11_E_NS1_11comp_targetILNS1_3genE9ELNS1_11target_archE1100ELNS1_3gpuE3ELNS1_3repE0EEENS1_30default_config_static_selectorELNS0_4arch9wavefront6targetE1EEEvT1_
		.amdhsa_group_segment_fixed_size 0
		.amdhsa_private_segment_fixed_size 0
		.amdhsa_kernarg_size 120
		.amdhsa_user_sgpr_count 6
		.amdhsa_user_sgpr_private_segment_buffer 1
		.amdhsa_user_sgpr_dispatch_ptr 0
		.amdhsa_user_sgpr_queue_ptr 0
		.amdhsa_user_sgpr_kernarg_segment_ptr 1
		.amdhsa_user_sgpr_dispatch_id 0
		.amdhsa_user_sgpr_flat_scratch_init 0
		.amdhsa_user_sgpr_private_segment_size 0
		.amdhsa_uses_dynamic_stack 0
		.amdhsa_system_sgpr_private_segment_wavefront_offset 0
		.amdhsa_system_sgpr_workgroup_id_x 1
		.amdhsa_system_sgpr_workgroup_id_y 0
		.amdhsa_system_sgpr_workgroup_id_z 0
		.amdhsa_system_sgpr_workgroup_info 0
		.amdhsa_system_vgpr_workitem_id 0
		.amdhsa_next_free_vgpr 1
		.amdhsa_next_free_sgpr 0
		.amdhsa_reserve_vcc 0
		.amdhsa_reserve_flat_scratch 0
		.amdhsa_float_round_mode_32 0
		.amdhsa_float_round_mode_16_64 0
		.amdhsa_float_denorm_mode_32 3
		.amdhsa_float_denorm_mode_16_64 3
		.amdhsa_dx10_clamp 1
		.amdhsa_ieee_mode 1
		.amdhsa_fp16_overflow 0
		.amdhsa_exception_fp_ieee_invalid_op 0
		.amdhsa_exception_fp_denorm_src 0
		.amdhsa_exception_fp_ieee_div_zero 0
		.amdhsa_exception_fp_ieee_overflow 0
		.amdhsa_exception_fp_ieee_underflow 0
		.amdhsa_exception_fp_ieee_inexact 0
		.amdhsa_exception_int_div_zero 0
	.end_amdhsa_kernel
	.section	.text._ZN7rocprim17ROCPRIM_400000_NS6detail17trampoline_kernelINS0_14default_configENS1_25partition_config_selectorILNS1_17partition_subalgoE5ElNS0_10empty_typeEbEEZZNS1_14partition_implILS5_5ELb0ES3_mN6hipcub16HIPCUB_304000_NS21CountingInputIteratorIllEEPS6_NSA_22TransformInputIteratorIb7NonZeroIiEPilEENS0_5tupleIJPlS6_EEENSJ_IJSD_SD_EEES6_SK_JS6_EEE10hipError_tPvRmT3_T4_T5_T6_T7_T9_mT8_P12ihipStream_tbDpT10_ENKUlT_T0_E_clISt17integral_constantIbLb1EES15_IbLb0EEEEDaS11_S12_EUlS11_E_NS1_11comp_targetILNS1_3genE9ELNS1_11target_archE1100ELNS1_3gpuE3ELNS1_3repE0EEENS1_30default_config_static_selectorELNS0_4arch9wavefront6targetE1EEEvT1_,"axG",@progbits,_ZN7rocprim17ROCPRIM_400000_NS6detail17trampoline_kernelINS0_14default_configENS1_25partition_config_selectorILNS1_17partition_subalgoE5ElNS0_10empty_typeEbEEZZNS1_14partition_implILS5_5ELb0ES3_mN6hipcub16HIPCUB_304000_NS21CountingInputIteratorIllEEPS6_NSA_22TransformInputIteratorIb7NonZeroIiEPilEENS0_5tupleIJPlS6_EEENSJ_IJSD_SD_EEES6_SK_JS6_EEE10hipError_tPvRmT3_T4_T5_T6_T7_T9_mT8_P12ihipStream_tbDpT10_ENKUlT_T0_E_clISt17integral_constantIbLb1EES15_IbLb0EEEEDaS11_S12_EUlS11_E_NS1_11comp_targetILNS1_3genE9ELNS1_11target_archE1100ELNS1_3gpuE3ELNS1_3repE0EEENS1_30default_config_static_selectorELNS0_4arch9wavefront6targetE1EEEvT1_,comdat
.Lfunc_end207:
	.size	_ZN7rocprim17ROCPRIM_400000_NS6detail17trampoline_kernelINS0_14default_configENS1_25partition_config_selectorILNS1_17partition_subalgoE5ElNS0_10empty_typeEbEEZZNS1_14partition_implILS5_5ELb0ES3_mN6hipcub16HIPCUB_304000_NS21CountingInputIteratorIllEEPS6_NSA_22TransformInputIteratorIb7NonZeroIiEPilEENS0_5tupleIJPlS6_EEENSJ_IJSD_SD_EEES6_SK_JS6_EEE10hipError_tPvRmT3_T4_T5_T6_T7_T9_mT8_P12ihipStream_tbDpT10_ENKUlT_T0_E_clISt17integral_constantIbLb1EES15_IbLb0EEEEDaS11_S12_EUlS11_E_NS1_11comp_targetILNS1_3genE9ELNS1_11target_archE1100ELNS1_3gpuE3ELNS1_3repE0EEENS1_30default_config_static_selectorELNS0_4arch9wavefront6targetE1EEEvT1_, .Lfunc_end207-_ZN7rocprim17ROCPRIM_400000_NS6detail17trampoline_kernelINS0_14default_configENS1_25partition_config_selectorILNS1_17partition_subalgoE5ElNS0_10empty_typeEbEEZZNS1_14partition_implILS5_5ELb0ES3_mN6hipcub16HIPCUB_304000_NS21CountingInputIteratorIllEEPS6_NSA_22TransformInputIteratorIb7NonZeroIiEPilEENS0_5tupleIJPlS6_EEENSJ_IJSD_SD_EEES6_SK_JS6_EEE10hipError_tPvRmT3_T4_T5_T6_T7_T9_mT8_P12ihipStream_tbDpT10_ENKUlT_T0_E_clISt17integral_constantIbLb1EES15_IbLb0EEEEDaS11_S12_EUlS11_E_NS1_11comp_targetILNS1_3genE9ELNS1_11target_archE1100ELNS1_3gpuE3ELNS1_3repE0EEENS1_30default_config_static_selectorELNS0_4arch9wavefront6targetE1EEEvT1_
                                        ; -- End function
	.set _ZN7rocprim17ROCPRIM_400000_NS6detail17trampoline_kernelINS0_14default_configENS1_25partition_config_selectorILNS1_17partition_subalgoE5ElNS0_10empty_typeEbEEZZNS1_14partition_implILS5_5ELb0ES3_mN6hipcub16HIPCUB_304000_NS21CountingInputIteratorIllEEPS6_NSA_22TransformInputIteratorIb7NonZeroIiEPilEENS0_5tupleIJPlS6_EEENSJ_IJSD_SD_EEES6_SK_JS6_EEE10hipError_tPvRmT3_T4_T5_T6_T7_T9_mT8_P12ihipStream_tbDpT10_ENKUlT_T0_E_clISt17integral_constantIbLb1EES15_IbLb0EEEEDaS11_S12_EUlS11_E_NS1_11comp_targetILNS1_3genE9ELNS1_11target_archE1100ELNS1_3gpuE3ELNS1_3repE0EEENS1_30default_config_static_selectorELNS0_4arch9wavefront6targetE1EEEvT1_.num_vgpr, 0
	.set _ZN7rocprim17ROCPRIM_400000_NS6detail17trampoline_kernelINS0_14default_configENS1_25partition_config_selectorILNS1_17partition_subalgoE5ElNS0_10empty_typeEbEEZZNS1_14partition_implILS5_5ELb0ES3_mN6hipcub16HIPCUB_304000_NS21CountingInputIteratorIllEEPS6_NSA_22TransformInputIteratorIb7NonZeroIiEPilEENS0_5tupleIJPlS6_EEENSJ_IJSD_SD_EEES6_SK_JS6_EEE10hipError_tPvRmT3_T4_T5_T6_T7_T9_mT8_P12ihipStream_tbDpT10_ENKUlT_T0_E_clISt17integral_constantIbLb1EES15_IbLb0EEEEDaS11_S12_EUlS11_E_NS1_11comp_targetILNS1_3genE9ELNS1_11target_archE1100ELNS1_3gpuE3ELNS1_3repE0EEENS1_30default_config_static_selectorELNS0_4arch9wavefront6targetE1EEEvT1_.num_agpr, 0
	.set _ZN7rocprim17ROCPRIM_400000_NS6detail17trampoline_kernelINS0_14default_configENS1_25partition_config_selectorILNS1_17partition_subalgoE5ElNS0_10empty_typeEbEEZZNS1_14partition_implILS5_5ELb0ES3_mN6hipcub16HIPCUB_304000_NS21CountingInputIteratorIllEEPS6_NSA_22TransformInputIteratorIb7NonZeroIiEPilEENS0_5tupleIJPlS6_EEENSJ_IJSD_SD_EEES6_SK_JS6_EEE10hipError_tPvRmT3_T4_T5_T6_T7_T9_mT8_P12ihipStream_tbDpT10_ENKUlT_T0_E_clISt17integral_constantIbLb1EES15_IbLb0EEEEDaS11_S12_EUlS11_E_NS1_11comp_targetILNS1_3genE9ELNS1_11target_archE1100ELNS1_3gpuE3ELNS1_3repE0EEENS1_30default_config_static_selectorELNS0_4arch9wavefront6targetE1EEEvT1_.numbered_sgpr, 0
	.set _ZN7rocprim17ROCPRIM_400000_NS6detail17trampoline_kernelINS0_14default_configENS1_25partition_config_selectorILNS1_17partition_subalgoE5ElNS0_10empty_typeEbEEZZNS1_14partition_implILS5_5ELb0ES3_mN6hipcub16HIPCUB_304000_NS21CountingInputIteratorIllEEPS6_NSA_22TransformInputIteratorIb7NonZeroIiEPilEENS0_5tupleIJPlS6_EEENSJ_IJSD_SD_EEES6_SK_JS6_EEE10hipError_tPvRmT3_T4_T5_T6_T7_T9_mT8_P12ihipStream_tbDpT10_ENKUlT_T0_E_clISt17integral_constantIbLb1EES15_IbLb0EEEEDaS11_S12_EUlS11_E_NS1_11comp_targetILNS1_3genE9ELNS1_11target_archE1100ELNS1_3gpuE3ELNS1_3repE0EEENS1_30default_config_static_selectorELNS0_4arch9wavefront6targetE1EEEvT1_.num_named_barrier, 0
	.set _ZN7rocprim17ROCPRIM_400000_NS6detail17trampoline_kernelINS0_14default_configENS1_25partition_config_selectorILNS1_17partition_subalgoE5ElNS0_10empty_typeEbEEZZNS1_14partition_implILS5_5ELb0ES3_mN6hipcub16HIPCUB_304000_NS21CountingInputIteratorIllEEPS6_NSA_22TransformInputIteratorIb7NonZeroIiEPilEENS0_5tupleIJPlS6_EEENSJ_IJSD_SD_EEES6_SK_JS6_EEE10hipError_tPvRmT3_T4_T5_T6_T7_T9_mT8_P12ihipStream_tbDpT10_ENKUlT_T0_E_clISt17integral_constantIbLb1EES15_IbLb0EEEEDaS11_S12_EUlS11_E_NS1_11comp_targetILNS1_3genE9ELNS1_11target_archE1100ELNS1_3gpuE3ELNS1_3repE0EEENS1_30default_config_static_selectorELNS0_4arch9wavefront6targetE1EEEvT1_.private_seg_size, 0
	.set _ZN7rocprim17ROCPRIM_400000_NS6detail17trampoline_kernelINS0_14default_configENS1_25partition_config_selectorILNS1_17partition_subalgoE5ElNS0_10empty_typeEbEEZZNS1_14partition_implILS5_5ELb0ES3_mN6hipcub16HIPCUB_304000_NS21CountingInputIteratorIllEEPS6_NSA_22TransformInputIteratorIb7NonZeroIiEPilEENS0_5tupleIJPlS6_EEENSJ_IJSD_SD_EEES6_SK_JS6_EEE10hipError_tPvRmT3_T4_T5_T6_T7_T9_mT8_P12ihipStream_tbDpT10_ENKUlT_T0_E_clISt17integral_constantIbLb1EES15_IbLb0EEEEDaS11_S12_EUlS11_E_NS1_11comp_targetILNS1_3genE9ELNS1_11target_archE1100ELNS1_3gpuE3ELNS1_3repE0EEENS1_30default_config_static_selectorELNS0_4arch9wavefront6targetE1EEEvT1_.uses_vcc, 0
	.set _ZN7rocprim17ROCPRIM_400000_NS6detail17trampoline_kernelINS0_14default_configENS1_25partition_config_selectorILNS1_17partition_subalgoE5ElNS0_10empty_typeEbEEZZNS1_14partition_implILS5_5ELb0ES3_mN6hipcub16HIPCUB_304000_NS21CountingInputIteratorIllEEPS6_NSA_22TransformInputIteratorIb7NonZeroIiEPilEENS0_5tupleIJPlS6_EEENSJ_IJSD_SD_EEES6_SK_JS6_EEE10hipError_tPvRmT3_T4_T5_T6_T7_T9_mT8_P12ihipStream_tbDpT10_ENKUlT_T0_E_clISt17integral_constantIbLb1EES15_IbLb0EEEEDaS11_S12_EUlS11_E_NS1_11comp_targetILNS1_3genE9ELNS1_11target_archE1100ELNS1_3gpuE3ELNS1_3repE0EEENS1_30default_config_static_selectorELNS0_4arch9wavefront6targetE1EEEvT1_.uses_flat_scratch, 0
	.set _ZN7rocprim17ROCPRIM_400000_NS6detail17trampoline_kernelINS0_14default_configENS1_25partition_config_selectorILNS1_17partition_subalgoE5ElNS0_10empty_typeEbEEZZNS1_14partition_implILS5_5ELb0ES3_mN6hipcub16HIPCUB_304000_NS21CountingInputIteratorIllEEPS6_NSA_22TransformInputIteratorIb7NonZeroIiEPilEENS0_5tupleIJPlS6_EEENSJ_IJSD_SD_EEES6_SK_JS6_EEE10hipError_tPvRmT3_T4_T5_T6_T7_T9_mT8_P12ihipStream_tbDpT10_ENKUlT_T0_E_clISt17integral_constantIbLb1EES15_IbLb0EEEEDaS11_S12_EUlS11_E_NS1_11comp_targetILNS1_3genE9ELNS1_11target_archE1100ELNS1_3gpuE3ELNS1_3repE0EEENS1_30default_config_static_selectorELNS0_4arch9wavefront6targetE1EEEvT1_.has_dyn_sized_stack, 0
	.set _ZN7rocprim17ROCPRIM_400000_NS6detail17trampoline_kernelINS0_14default_configENS1_25partition_config_selectorILNS1_17partition_subalgoE5ElNS0_10empty_typeEbEEZZNS1_14partition_implILS5_5ELb0ES3_mN6hipcub16HIPCUB_304000_NS21CountingInputIteratorIllEEPS6_NSA_22TransformInputIteratorIb7NonZeroIiEPilEENS0_5tupleIJPlS6_EEENSJ_IJSD_SD_EEES6_SK_JS6_EEE10hipError_tPvRmT3_T4_T5_T6_T7_T9_mT8_P12ihipStream_tbDpT10_ENKUlT_T0_E_clISt17integral_constantIbLb1EES15_IbLb0EEEEDaS11_S12_EUlS11_E_NS1_11comp_targetILNS1_3genE9ELNS1_11target_archE1100ELNS1_3gpuE3ELNS1_3repE0EEENS1_30default_config_static_selectorELNS0_4arch9wavefront6targetE1EEEvT1_.has_recursion, 0
	.set _ZN7rocprim17ROCPRIM_400000_NS6detail17trampoline_kernelINS0_14default_configENS1_25partition_config_selectorILNS1_17partition_subalgoE5ElNS0_10empty_typeEbEEZZNS1_14partition_implILS5_5ELb0ES3_mN6hipcub16HIPCUB_304000_NS21CountingInputIteratorIllEEPS6_NSA_22TransformInputIteratorIb7NonZeroIiEPilEENS0_5tupleIJPlS6_EEENSJ_IJSD_SD_EEES6_SK_JS6_EEE10hipError_tPvRmT3_T4_T5_T6_T7_T9_mT8_P12ihipStream_tbDpT10_ENKUlT_T0_E_clISt17integral_constantIbLb1EES15_IbLb0EEEEDaS11_S12_EUlS11_E_NS1_11comp_targetILNS1_3genE9ELNS1_11target_archE1100ELNS1_3gpuE3ELNS1_3repE0EEENS1_30default_config_static_selectorELNS0_4arch9wavefront6targetE1EEEvT1_.has_indirect_call, 0
	.section	.AMDGPU.csdata,"",@progbits
; Kernel info:
; codeLenInByte = 0
; TotalNumSgprs: 4
; NumVgprs: 0
; ScratchSize: 0
; MemoryBound: 0
; FloatMode: 240
; IeeeMode: 1
; LDSByteSize: 0 bytes/workgroup (compile time only)
; SGPRBlocks: 0
; VGPRBlocks: 0
; NumSGPRsForWavesPerEU: 4
; NumVGPRsForWavesPerEU: 1
; Occupancy: 10
; WaveLimiterHint : 0
; COMPUTE_PGM_RSRC2:SCRATCH_EN: 0
; COMPUTE_PGM_RSRC2:USER_SGPR: 6
; COMPUTE_PGM_RSRC2:TRAP_HANDLER: 0
; COMPUTE_PGM_RSRC2:TGID_X_EN: 1
; COMPUTE_PGM_RSRC2:TGID_Y_EN: 0
; COMPUTE_PGM_RSRC2:TGID_Z_EN: 0
; COMPUTE_PGM_RSRC2:TIDIG_COMP_CNT: 0
	.section	.text._ZN7rocprim17ROCPRIM_400000_NS6detail17trampoline_kernelINS0_14default_configENS1_25partition_config_selectorILNS1_17partition_subalgoE5ElNS0_10empty_typeEbEEZZNS1_14partition_implILS5_5ELb0ES3_mN6hipcub16HIPCUB_304000_NS21CountingInputIteratorIllEEPS6_NSA_22TransformInputIteratorIb7NonZeroIiEPilEENS0_5tupleIJPlS6_EEENSJ_IJSD_SD_EEES6_SK_JS6_EEE10hipError_tPvRmT3_T4_T5_T6_T7_T9_mT8_P12ihipStream_tbDpT10_ENKUlT_T0_E_clISt17integral_constantIbLb1EES15_IbLb0EEEEDaS11_S12_EUlS11_E_NS1_11comp_targetILNS1_3genE8ELNS1_11target_archE1030ELNS1_3gpuE2ELNS1_3repE0EEENS1_30default_config_static_selectorELNS0_4arch9wavefront6targetE1EEEvT1_,"axG",@progbits,_ZN7rocprim17ROCPRIM_400000_NS6detail17trampoline_kernelINS0_14default_configENS1_25partition_config_selectorILNS1_17partition_subalgoE5ElNS0_10empty_typeEbEEZZNS1_14partition_implILS5_5ELb0ES3_mN6hipcub16HIPCUB_304000_NS21CountingInputIteratorIllEEPS6_NSA_22TransformInputIteratorIb7NonZeroIiEPilEENS0_5tupleIJPlS6_EEENSJ_IJSD_SD_EEES6_SK_JS6_EEE10hipError_tPvRmT3_T4_T5_T6_T7_T9_mT8_P12ihipStream_tbDpT10_ENKUlT_T0_E_clISt17integral_constantIbLb1EES15_IbLb0EEEEDaS11_S12_EUlS11_E_NS1_11comp_targetILNS1_3genE8ELNS1_11target_archE1030ELNS1_3gpuE2ELNS1_3repE0EEENS1_30default_config_static_selectorELNS0_4arch9wavefront6targetE1EEEvT1_,comdat
	.protected	_ZN7rocprim17ROCPRIM_400000_NS6detail17trampoline_kernelINS0_14default_configENS1_25partition_config_selectorILNS1_17partition_subalgoE5ElNS0_10empty_typeEbEEZZNS1_14partition_implILS5_5ELb0ES3_mN6hipcub16HIPCUB_304000_NS21CountingInputIteratorIllEEPS6_NSA_22TransformInputIteratorIb7NonZeroIiEPilEENS0_5tupleIJPlS6_EEENSJ_IJSD_SD_EEES6_SK_JS6_EEE10hipError_tPvRmT3_T4_T5_T6_T7_T9_mT8_P12ihipStream_tbDpT10_ENKUlT_T0_E_clISt17integral_constantIbLb1EES15_IbLb0EEEEDaS11_S12_EUlS11_E_NS1_11comp_targetILNS1_3genE8ELNS1_11target_archE1030ELNS1_3gpuE2ELNS1_3repE0EEENS1_30default_config_static_selectorELNS0_4arch9wavefront6targetE1EEEvT1_ ; -- Begin function _ZN7rocprim17ROCPRIM_400000_NS6detail17trampoline_kernelINS0_14default_configENS1_25partition_config_selectorILNS1_17partition_subalgoE5ElNS0_10empty_typeEbEEZZNS1_14partition_implILS5_5ELb0ES3_mN6hipcub16HIPCUB_304000_NS21CountingInputIteratorIllEEPS6_NSA_22TransformInputIteratorIb7NonZeroIiEPilEENS0_5tupleIJPlS6_EEENSJ_IJSD_SD_EEES6_SK_JS6_EEE10hipError_tPvRmT3_T4_T5_T6_T7_T9_mT8_P12ihipStream_tbDpT10_ENKUlT_T0_E_clISt17integral_constantIbLb1EES15_IbLb0EEEEDaS11_S12_EUlS11_E_NS1_11comp_targetILNS1_3genE8ELNS1_11target_archE1030ELNS1_3gpuE2ELNS1_3repE0EEENS1_30default_config_static_selectorELNS0_4arch9wavefront6targetE1EEEvT1_
	.globl	_ZN7rocprim17ROCPRIM_400000_NS6detail17trampoline_kernelINS0_14default_configENS1_25partition_config_selectorILNS1_17partition_subalgoE5ElNS0_10empty_typeEbEEZZNS1_14partition_implILS5_5ELb0ES3_mN6hipcub16HIPCUB_304000_NS21CountingInputIteratorIllEEPS6_NSA_22TransformInputIteratorIb7NonZeroIiEPilEENS0_5tupleIJPlS6_EEENSJ_IJSD_SD_EEES6_SK_JS6_EEE10hipError_tPvRmT3_T4_T5_T6_T7_T9_mT8_P12ihipStream_tbDpT10_ENKUlT_T0_E_clISt17integral_constantIbLb1EES15_IbLb0EEEEDaS11_S12_EUlS11_E_NS1_11comp_targetILNS1_3genE8ELNS1_11target_archE1030ELNS1_3gpuE2ELNS1_3repE0EEENS1_30default_config_static_selectorELNS0_4arch9wavefront6targetE1EEEvT1_
	.p2align	8
	.type	_ZN7rocprim17ROCPRIM_400000_NS6detail17trampoline_kernelINS0_14default_configENS1_25partition_config_selectorILNS1_17partition_subalgoE5ElNS0_10empty_typeEbEEZZNS1_14partition_implILS5_5ELb0ES3_mN6hipcub16HIPCUB_304000_NS21CountingInputIteratorIllEEPS6_NSA_22TransformInputIteratorIb7NonZeroIiEPilEENS0_5tupleIJPlS6_EEENSJ_IJSD_SD_EEES6_SK_JS6_EEE10hipError_tPvRmT3_T4_T5_T6_T7_T9_mT8_P12ihipStream_tbDpT10_ENKUlT_T0_E_clISt17integral_constantIbLb1EES15_IbLb0EEEEDaS11_S12_EUlS11_E_NS1_11comp_targetILNS1_3genE8ELNS1_11target_archE1030ELNS1_3gpuE2ELNS1_3repE0EEENS1_30default_config_static_selectorELNS0_4arch9wavefront6targetE1EEEvT1_,@function
_ZN7rocprim17ROCPRIM_400000_NS6detail17trampoline_kernelINS0_14default_configENS1_25partition_config_selectorILNS1_17partition_subalgoE5ElNS0_10empty_typeEbEEZZNS1_14partition_implILS5_5ELb0ES3_mN6hipcub16HIPCUB_304000_NS21CountingInputIteratorIllEEPS6_NSA_22TransformInputIteratorIb7NonZeroIiEPilEENS0_5tupleIJPlS6_EEENSJ_IJSD_SD_EEES6_SK_JS6_EEE10hipError_tPvRmT3_T4_T5_T6_T7_T9_mT8_P12ihipStream_tbDpT10_ENKUlT_T0_E_clISt17integral_constantIbLb1EES15_IbLb0EEEEDaS11_S12_EUlS11_E_NS1_11comp_targetILNS1_3genE8ELNS1_11target_archE1030ELNS1_3gpuE2ELNS1_3repE0EEENS1_30default_config_static_selectorELNS0_4arch9wavefront6targetE1EEEvT1_: ; @_ZN7rocprim17ROCPRIM_400000_NS6detail17trampoline_kernelINS0_14default_configENS1_25partition_config_selectorILNS1_17partition_subalgoE5ElNS0_10empty_typeEbEEZZNS1_14partition_implILS5_5ELb0ES3_mN6hipcub16HIPCUB_304000_NS21CountingInputIteratorIllEEPS6_NSA_22TransformInputIteratorIb7NonZeroIiEPilEENS0_5tupleIJPlS6_EEENSJ_IJSD_SD_EEES6_SK_JS6_EEE10hipError_tPvRmT3_T4_T5_T6_T7_T9_mT8_P12ihipStream_tbDpT10_ENKUlT_T0_E_clISt17integral_constantIbLb1EES15_IbLb0EEEEDaS11_S12_EUlS11_E_NS1_11comp_targetILNS1_3genE8ELNS1_11target_archE1030ELNS1_3gpuE2ELNS1_3repE0EEENS1_30default_config_static_selectorELNS0_4arch9wavefront6targetE1EEEvT1_
; %bb.0:
	.section	.rodata,"a",@progbits
	.p2align	6, 0x0
	.amdhsa_kernel _ZN7rocprim17ROCPRIM_400000_NS6detail17trampoline_kernelINS0_14default_configENS1_25partition_config_selectorILNS1_17partition_subalgoE5ElNS0_10empty_typeEbEEZZNS1_14partition_implILS5_5ELb0ES3_mN6hipcub16HIPCUB_304000_NS21CountingInputIteratorIllEEPS6_NSA_22TransformInputIteratorIb7NonZeroIiEPilEENS0_5tupleIJPlS6_EEENSJ_IJSD_SD_EEES6_SK_JS6_EEE10hipError_tPvRmT3_T4_T5_T6_T7_T9_mT8_P12ihipStream_tbDpT10_ENKUlT_T0_E_clISt17integral_constantIbLb1EES15_IbLb0EEEEDaS11_S12_EUlS11_E_NS1_11comp_targetILNS1_3genE8ELNS1_11target_archE1030ELNS1_3gpuE2ELNS1_3repE0EEENS1_30default_config_static_selectorELNS0_4arch9wavefront6targetE1EEEvT1_
		.amdhsa_group_segment_fixed_size 0
		.amdhsa_private_segment_fixed_size 0
		.amdhsa_kernarg_size 120
		.amdhsa_user_sgpr_count 6
		.amdhsa_user_sgpr_private_segment_buffer 1
		.amdhsa_user_sgpr_dispatch_ptr 0
		.amdhsa_user_sgpr_queue_ptr 0
		.amdhsa_user_sgpr_kernarg_segment_ptr 1
		.amdhsa_user_sgpr_dispatch_id 0
		.amdhsa_user_sgpr_flat_scratch_init 0
		.amdhsa_user_sgpr_private_segment_size 0
		.amdhsa_uses_dynamic_stack 0
		.amdhsa_system_sgpr_private_segment_wavefront_offset 0
		.amdhsa_system_sgpr_workgroup_id_x 1
		.amdhsa_system_sgpr_workgroup_id_y 0
		.amdhsa_system_sgpr_workgroup_id_z 0
		.amdhsa_system_sgpr_workgroup_info 0
		.amdhsa_system_vgpr_workitem_id 0
		.amdhsa_next_free_vgpr 1
		.amdhsa_next_free_sgpr 0
		.amdhsa_reserve_vcc 0
		.amdhsa_reserve_flat_scratch 0
		.amdhsa_float_round_mode_32 0
		.amdhsa_float_round_mode_16_64 0
		.amdhsa_float_denorm_mode_32 3
		.amdhsa_float_denorm_mode_16_64 3
		.amdhsa_dx10_clamp 1
		.amdhsa_ieee_mode 1
		.amdhsa_fp16_overflow 0
		.amdhsa_exception_fp_ieee_invalid_op 0
		.amdhsa_exception_fp_denorm_src 0
		.amdhsa_exception_fp_ieee_div_zero 0
		.amdhsa_exception_fp_ieee_overflow 0
		.amdhsa_exception_fp_ieee_underflow 0
		.amdhsa_exception_fp_ieee_inexact 0
		.amdhsa_exception_int_div_zero 0
	.end_amdhsa_kernel
	.section	.text._ZN7rocprim17ROCPRIM_400000_NS6detail17trampoline_kernelINS0_14default_configENS1_25partition_config_selectorILNS1_17partition_subalgoE5ElNS0_10empty_typeEbEEZZNS1_14partition_implILS5_5ELb0ES3_mN6hipcub16HIPCUB_304000_NS21CountingInputIteratorIllEEPS6_NSA_22TransformInputIteratorIb7NonZeroIiEPilEENS0_5tupleIJPlS6_EEENSJ_IJSD_SD_EEES6_SK_JS6_EEE10hipError_tPvRmT3_T4_T5_T6_T7_T9_mT8_P12ihipStream_tbDpT10_ENKUlT_T0_E_clISt17integral_constantIbLb1EES15_IbLb0EEEEDaS11_S12_EUlS11_E_NS1_11comp_targetILNS1_3genE8ELNS1_11target_archE1030ELNS1_3gpuE2ELNS1_3repE0EEENS1_30default_config_static_selectorELNS0_4arch9wavefront6targetE1EEEvT1_,"axG",@progbits,_ZN7rocprim17ROCPRIM_400000_NS6detail17trampoline_kernelINS0_14default_configENS1_25partition_config_selectorILNS1_17partition_subalgoE5ElNS0_10empty_typeEbEEZZNS1_14partition_implILS5_5ELb0ES3_mN6hipcub16HIPCUB_304000_NS21CountingInputIteratorIllEEPS6_NSA_22TransformInputIteratorIb7NonZeroIiEPilEENS0_5tupleIJPlS6_EEENSJ_IJSD_SD_EEES6_SK_JS6_EEE10hipError_tPvRmT3_T4_T5_T6_T7_T9_mT8_P12ihipStream_tbDpT10_ENKUlT_T0_E_clISt17integral_constantIbLb1EES15_IbLb0EEEEDaS11_S12_EUlS11_E_NS1_11comp_targetILNS1_3genE8ELNS1_11target_archE1030ELNS1_3gpuE2ELNS1_3repE0EEENS1_30default_config_static_selectorELNS0_4arch9wavefront6targetE1EEEvT1_,comdat
.Lfunc_end208:
	.size	_ZN7rocprim17ROCPRIM_400000_NS6detail17trampoline_kernelINS0_14default_configENS1_25partition_config_selectorILNS1_17partition_subalgoE5ElNS0_10empty_typeEbEEZZNS1_14partition_implILS5_5ELb0ES3_mN6hipcub16HIPCUB_304000_NS21CountingInputIteratorIllEEPS6_NSA_22TransformInputIteratorIb7NonZeroIiEPilEENS0_5tupleIJPlS6_EEENSJ_IJSD_SD_EEES6_SK_JS6_EEE10hipError_tPvRmT3_T4_T5_T6_T7_T9_mT8_P12ihipStream_tbDpT10_ENKUlT_T0_E_clISt17integral_constantIbLb1EES15_IbLb0EEEEDaS11_S12_EUlS11_E_NS1_11comp_targetILNS1_3genE8ELNS1_11target_archE1030ELNS1_3gpuE2ELNS1_3repE0EEENS1_30default_config_static_selectorELNS0_4arch9wavefront6targetE1EEEvT1_, .Lfunc_end208-_ZN7rocprim17ROCPRIM_400000_NS6detail17trampoline_kernelINS0_14default_configENS1_25partition_config_selectorILNS1_17partition_subalgoE5ElNS0_10empty_typeEbEEZZNS1_14partition_implILS5_5ELb0ES3_mN6hipcub16HIPCUB_304000_NS21CountingInputIteratorIllEEPS6_NSA_22TransformInputIteratorIb7NonZeroIiEPilEENS0_5tupleIJPlS6_EEENSJ_IJSD_SD_EEES6_SK_JS6_EEE10hipError_tPvRmT3_T4_T5_T6_T7_T9_mT8_P12ihipStream_tbDpT10_ENKUlT_T0_E_clISt17integral_constantIbLb1EES15_IbLb0EEEEDaS11_S12_EUlS11_E_NS1_11comp_targetILNS1_3genE8ELNS1_11target_archE1030ELNS1_3gpuE2ELNS1_3repE0EEENS1_30default_config_static_selectorELNS0_4arch9wavefront6targetE1EEEvT1_
                                        ; -- End function
	.set _ZN7rocprim17ROCPRIM_400000_NS6detail17trampoline_kernelINS0_14default_configENS1_25partition_config_selectorILNS1_17partition_subalgoE5ElNS0_10empty_typeEbEEZZNS1_14partition_implILS5_5ELb0ES3_mN6hipcub16HIPCUB_304000_NS21CountingInputIteratorIllEEPS6_NSA_22TransformInputIteratorIb7NonZeroIiEPilEENS0_5tupleIJPlS6_EEENSJ_IJSD_SD_EEES6_SK_JS6_EEE10hipError_tPvRmT3_T4_T5_T6_T7_T9_mT8_P12ihipStream_tbDpT10_ENKUlT_T0_E_clISt17integral_constantIbLb1EES15_IbLb0EEEEDaS11_S12_EUlS11_E_NS1_11comp_targetILNS1_3genE8ELNS1_11target_archE1030ELNS1_3gpuE2ELNS1_3repE0EEENS1_30default_config_static_selectorELNS0_4arch9wavefront6targetE1EEEvT1_.num_vgpr, 0
	.set _ZN7rocprim17ROCPRIM_400000_NS6detail17trampoline_kernelINS0_14default_configENS1_25partition_config_selectorILNS1_17partition_subalgoE5ElNS0_10empty_typeEbEEZZNS1_14partition_implILS5_5ELb0ES3_mN6hipcub16HIPCUB_304000_NS21CountingInputIteratorIllEEPS6_NSA_22TransformInputIteratorIb7NonZeroIiEPilEENS0_5tupleIJPlS6_EEENSJ_IJSD_SD_EEES6_SK_JS6_EEE10hipError_tPvRmT3_T4_T5_T6_T7_T9_mT8_P12ihipStream_tbDpT10_ENKUlT_T0_E_clISt17integral_constantIbLb1EES15_IbLb0EEEEDaS11_S12_EUlS11_E_NS1_11comp_targetILNS1_3genE8ELNS1_11target_archE1030ELNS1_3gpuE2ELNS1_3repE0EEENS1_30default_config_static_selectorELNS0_4arch9wavefront6targetE1EEEvT1_.num_agpr, 0
	.set _ZN7rocprim17ROCPRIM_400000_NS6detail17trampoline_kernelINS0_14default_configENS1_25partition_config_selectorILNS1_17partition_subalgoE5ElNS0_10empty_typeEbEEZZNS1_14partition_implILS5_5ELb0ES3_mN6hipcub16HIPCUB_304000_NS21CountingInputIteratorIllEEPS6_NSA_22TransformInputIteratorIb7NonZeroIiEPilEENS0_5tupleIJPlS6_EEENSJ_IJSD_SD_EEES6_SK_JS6_EEE10hipError_tPvRmT3_T4_T5_T6_T7_T9_mT8_P12ihipStream_tbDpT10_ENKUlT_T0_E_clISt17integral_constantIbLb1EES15_IbLb0EEEEDaS11_S12_EUlS11_E_NS1_11comp_targetILNS1_3genE8ELNS1_11target_archE1030ELNS1_3gpuE2ELNS1_3repE0EEENS1_30default_config_static_selectorELNS0_4arch9wavefront6targetE1EEEvT1_.numbered_sgpr, 0
	.set _ZN7rocprim17ROCPRIM_400000_NS6detail17trampoline_kernelINS0_14default_configENS1_25partition_config_selectorILNS1_17partition_subalgoE5ElNS0_10empty_typeEbEEZZNS1_14partition_implILS5_5ELb0ES3_mN6hipcub16HIPCUB_304000_NS21CountingInputIteratorIllEEPS6_NSA_22TransformInputIteratorIb7NonZeroIiEPilEENS0_5tupleIJPlS6_EEENSJ_IJSD_SD_EEES6_SK_JS6_EEE10hipError_tPvRmT3_T4_T5_T6_T7_T9_mT8_P12ihipStream_tbDpT10_ENKUlT_T0_E_clISt17integral_constantIbLb1EES15_IbLb0EEEEDaS11_S12_EUlS11_E_NS1_11comp_targetILNS1_3genE8ELNS1_11target_archE1030ELNS1_3gpuE2ELNS1_3repE0EEENS1_30default_config_static_selectorELNS0_4arch9wavefront6targetE1EEEvT1_.num_named_barrier, 0
	.set _ZN7rocprim17ROCPRIM_400000_NS6detail17trampoline_kernelINS0_14default_configENS1_25partition_config_selectorILNS1_17partition_subalgoE5ElNS0_10empty_typeEbEEZZNS1_14partition_implILS5_5ELb0ES3_mN6hipcub16HIPCUB_304000_NS21CountingInputIteratorIllEEPS6_NSA_22TransformInputIteratorIb7NonZeroIiEPilEENS0_5tupleIJPlS6_EEENSJ_IJSD_SD_EEES6_SK_JS6_EEE10hipError_tPvRmT3_T4_T5_T6_T7_T9_mT8_P12ihipStream_tbDpT10_ENKUlT_T0_E_clISt17integral_constantIbLb1EES15_IbLb0EEEEDaS11_S12_EUlS11_E_NS1_11comp_targetILNS1_3genE8ELNS1_11target_archE1030ELNS1_3gpuE2ELNS1_3repE0EEENS1_30default_config_static_selectorELNS0_4arch9wavefront6targetE1EEEvT1_.private_seg_size, 0
	.set _ZN7rocprim17ROCPRIM_400000_NS6detail17trampoline_kernelINS0_14default_configENS1_25partition_config_selectorILNS1_17partition_subalgoE5ElNS0_10empty_typeEbEEZZNS1_14partition_implILS5_5ELb0ES3_mN6hipcub16HIPCUB_304000_NS21CountingInputIteratorIllEEPS6_NSA_22TransformInputIteratorIb7NonZeroIiEPilEENS0_5tupleIJPlS6_EEENSJ_IJSD_SD_EEES6_SK_JS6_EEE10hipError_tPvRmT3_T4_T5_T6_T7_T9_mT8_P12ihipStream_tbDpT10_ENKUlT_T0_E_clISt17integral_constantIbLb1EES15_IbLb0EEEEDaS11_S12_EUlS11_E_NS1_11comp_targetILNS1_3genE8ELNS1_11target_archE1030ELNS1_3gpuE2ELNS1_3repE0EEENS1_30default_config_static_selectorELNS0_4arch9wavefront6targetE1EEEvT1_.uses_vcc, 0
	.set _ZN7rocprim17ROCPRIM_400000_NS6detail17trampoline_kernelINS0_14default_configENS1_25partition_config_selectorILNS1_17partition_subalgoE5ElNS0_10empty_typeEbEEZZNS1_14partition_implILS5_5ELb0ES3_mN6hipcub16HIPCUB_304000_NS21CountingInputIteratorIllEEPS6_NSA_22TransformInputIteratorIb7NonZeroIiEPilEENS0_5tupleIJPlS6_EEENSJ_IJSD_SD_EEES6_SK_JS6_EEE10hipError_tPvRmT3_T4_T5_T6_T7_T9_mT8_P12ihipStream_tbDpT10_ENKUlT_T0_E_clISt17integral_constantIbLb1EES15_IbLb0EEEEDaS11_S12_EUlS11_E_NS1_11comp_targetILNS1_3genE8ELNS1_11target_archE1030ELNS1_3gpuE2ELNS1_3repE0EEENS1_30default_config_static_selectorELNS0_4arch9wavefront6targetE1EEEvT1_.uses_flat_scratch, 0
	.set _ZN7rocprim17ROCPRIM_400000_NS6detail17trampoline_kernelINS0_14default_configENS1_25partition_config_selectorILNS1_17partition_subalgoE5ElNS0_10empty_typeEbEEZZNS1_14partition_implILS5_5ELb0ES3_mN6hipcub16HIPCUB_304000_NS21CountingInputIteratorIllEEPS6_NSA_22TransformInputIteratorIb7NonZeroIiEPilEENS0_5tupleIJPlS6_EEENSJ_IJSD_SD_EEES6_SK_JS6_EEE10hipError_tPvRmT3_T4_T5_T6_T7_T9_mT8_P12ihipStream_tbDpT10_ENKUlT_T0_E_clISt17integral_constantIbLb1EES15_IbLb0EEEEDaS11_S12_EUlS11_E_NS1_11comp_targetILNS1_3genE8ELNS1_11target_archE1030ELNS1_3gpuE2ELNS1_3repE0EEENS1_30default_config_static_selectorELNS0_4arch9wavefront6targetE1EEEvT1_.has_dyn_sized_stack, 0
	.set _ZN7rocprim17ROCPRIM_400000_NS6detail17trampoline_kernelINS0_14default_configENS1_25partition_config_selectorILNS1_17partition_subalgoE5ElNS0_10empty_typeEbEEZZNS1_14partition_implILS5_5ELb0ES3_mN6hipcub16HIPCUB_304000_NS21CountingInputIteratorIllEEPS6_NSA_22TransformInputIteratorIb7NonZeroIiEPilEENS0_5tupleIJPlS6_EEENSJ_IJSD_SD_EEES6_SK_JS6_EEE10hipError_tPvRmT3_T4_T5_T6_T7_T9_mT8_P12ihipStream_tbDpT10_ENKUlT_T0_E_clISt17integral_constantIbLb1EES15_IbLb0EEEEDaS11_S12_EUlS11_E_NS1_11comp_targetILNS1_3genE8ELNS1_11target_archE1030ELNS1_3gpuE2ELNS1_3repE0EEENS1_30default_config_static_selectorELNS0_4arch9wavefront6targetE1EEEvT1_.has_recursion, 0
	.set _ZN7rocprim17ROCPRIM_400000_NS6detail17trampoline_kernelINS0_14default_configENS1_25partition_config_selectorILNS1_17partition_subalgoE5ElNS0_10empty_typeEbEEZZNS1_14partition_implILS5_5ELb0ES3_mN6hipcub16HIPCUB_304000_NS21CountingInputIteratorIllEEPS6_NSA_22TransformInputIteratorIb7NonZeroIiEPilEENS0_5tupleIJPlS6_EEENSJ_IJSD_SD_EEES6_SK_JS6_EEE10hipError_tPvRmT3_T4_T5_T6_T7_T9_mT8_P12ihipStream_tbDpT10_ENKUlT_T0_E_clISt17integral_constantIbLb1EES15_IbLb0EEEEDaS11_S12_EUlS11_E_NS1_11comp_targetILNS1_3genE8ELNS1_11target_archE1030ELNS1_3gpuE2ELNS1_3repE0EEENS1_30default_config_static_selectorELNS0_4arch9wavefront6targetE1EEEvT1_.has_indirect_call, 0
	.section	.AMDGPU.csdata,"",@progbits
; Kernel info:
; codeLenInByte = 0
; TotalNumSgprs: 4
; NumVgprs: 0
; ScratchSize: 0
; MemoryBound: 0
; FloatMode: 240
; IeeeMode: 1
; LDSByteSize: 0 bytes/workgroup (compile time only)
; SGPRBlocks: 0
; VGPRBlocks: 0
; NumSGPRsForWavesPerEU: 4
; NumVGPRsForWavesPerEU: 1
; Occupancy: 10
; WaveLimiterHint : 0
; COMPUTE_PGM_RSRC2:SCRATCH_EN: 0
; COMPUTE_PGM_RSRC2:USER_SGPR: 6
; COMPUTE_PGM_RSRC2:TRAP_HANDLER: 0
; COMPUTE_PGM_RSRC2:TGID_X_EN: 1
; COMPUTE_PGM_RSRC2:TGID_Y_EN: 0
; COMPUTE_PGM_RSRC2:TGID_Z_EN: 0
; COMPUTE_PGM_RSRC2:TIDIG_COMP_CNT: 0
	.section	.text._ZN7rocprim17ROCPRIM_400000_NS6detail17trampoline_kernelINS0_14default_configENS1_25partition_config_selectorILNS1_17partition_subalgoE5ElNS0_10empty_typeEbEEZZNS1_14partition_implILS5_5ELb0ES3_mN6hipcub16HIPCUB_304000_NS21CountingInputIteratorIllEEPS6_NSA_22TransformInputIteratorIb7NonZeroIiEPilEENS0_5tupleIJPlS6_EEENSJ_IJSD_SD_EEES6_SK_JS6_EEE10hipError_tPvRmT3_T4_T5_T6_T7_T9_mT8_P12ihipStream_tbDpT10_ENKUlT_T0_E_clISt17integral_constantIbLb0EES15_IbLb1EEEEDaS11_S12_EUlS11_E_NS1_11comp_targetILNS1_3genE0ELNS1_11target_archE4294967295ELNS1_3gpuE0ELNS1_3repE0EEENS1_30default_config_static_selectorELNS0_4arch9wavefront6targetE1EEEvT1_,"axG",@progbits,_ZN7rocprim17ROCPRIM_400000_NS6detail17trampoline_kernelINS0_14default_configENS1_25partition_config_selectorILNS1_17partition_subalgoE5ElNS0_10empty_typeEbEEZZNS1_14partition_implILS5_5ELb0ES3_mN6hipcub16HIPCUB_304000_NS21CountingInputIteratorIllEEPS6_NSA_22TransformInputIteratorIb7NonZeroIiEPilEENS0_5tupleIJPlS6_EEENSJ_IJSD_SD_EEES6_SK_JS6_EEE10hipError_tPvRmT3_T4_T5_T6_T7_T9_mT8_P12ihipStream_tbDpT10_ENKUlT_T0_E_clISt17integral_constantIbLb0EES15_IbLb1EEEEDaS11_S12_EUlS11_E_NS1_11comp_targetILNS1_3genE0ELNS1_11target_archE4294967295ELNS1_3gpuE0ELNS1_3repE0EEENS1_30default_config_static_selectorELNS0_4arch9wavefront6targetE1EEEvT1_,comdat
	.protected	_ZN7rocprim17ROCPRIM_400000_NS6detail17trampoline_kernelINS0_14default_configENS1_25partition_config_selectorILNS1_17partition_subalgoE5ElNS0_10empty_typeEbEEZZNS1_14partition_implILS5_5ELb0ES3_mN6hipcub16HIPCUB_304000_NS21CountingInputIteratorIllEEPS6_NSA_22TransformInputIteratorIb7NonZeroIiEPilEENS0_5tupleIJPlS6_EEENSJ_IJSD_SD_EEES6_SK_JS6_EEE10hipError_tPvRmT3_T4_T5_T6_T7_T9_mT8_P12ihipStream_tbDpT10_ENKUlT_T0_E_clISt17integral_constantIbLb0EES15_IbLb1EEEEDaS11_S12_EUlS11_E_NS1_11comp_targetILNS1_3genE0ELNS1_11target_archE4294967295ELNS1_3gpuE0ELNS1_3repE0EEENS1_30default_config_static_selectorELNS0_4arch9wavefront6targetE1EEEvT1_ ; -- Begin function _ZN7rocprim17ROCPRIM_400000_NS6detail17trampoline_kernelINS0_14default_configENS1_25partition_config_selectorILNS1_17partition_subalgoE5ElNS0_10empty_typeEbEEZZNS1_14partition_implILS5_5ELb0ES3_mN6hipcub16HIPCUB_304000_NS21CountingInputIteratorIllEEPS6_NSA_22TransformInputIteratorIb7NonZeroIiEPilEENS0_5tupleIJPlS6_EEENSJ_IJSD_SD_EEES6_SK_JS6_EEE10hipError_tPvRmT3_T4_T5_T6_T7_T9_mT8_P12ihipStream_tbDpT10_ENKUlT_T0_E_clISt17integral_constantIbLb0EES15_IbLb1EEEEDaS11_S12_EUlS11_E_NS1_11comp_targetILNS1_3genE0ELNS1_11target_archE4294967295ELNS1_3gpuE0ELNS1_3repE0EEENS1_30default_config_static_selectorELNS0_4arch9wavefront6targetE1EEEvT1_
	.globl	_ZN7rocprim17ROCPRIM_400000_NS6detail17trampoline_kernelINS0_14default_configENS1_25partition_config_selectorILNS1_17partition_subalgoE5ElNS0_10empty_typeEbEEZZNS1_14partition_implILS5_5ELb0ES3_mN6hipcub16HIPCUB_304000_NS21CountingInputIteratorIllEEPS6_NSA_22TransformInputIteratorIb7NonZeroIiEPilEENS0_5tupleIJPlS6_EEENSJ_IJSD_SD_EEES6_SK_JS6_EEE10hipError_tPvRmT3_T4_T5_T6_T7_T9_mT8_P12ihipStream_tbDpT10_ENKUlT_T0_E_clISt17integral_constantIbLb0EES15_IbLb1EEEEDaS11_S12_EUlS11_E_NS1_11comp_targetILNS1_3genE0ELNS1_11target_archE4294967295ELNS1_3gpuE0ELNS1_3repE0EEENS1_30default_config_static_selectorELNS0_4arch9wavefront6targetE1EEEvT1_
	.p2align	8
	.type	_ZN7rocprim17ROCPRIM_400000_NS6detail17trampoline_kernelINS0_14default_configENS1_25partition_config_selectorILNS1_17partition_subalgoE5ElNS0_10empty_typeEbEEZZNS1_14partition_implILS5_5ELb0ES3_mN6hipcub16HIPCUB_304000_NS21CountingInputIteratorIllEEPS6_NSA_22TransformInputIteratorIb7NonZeroIiEPilEENS0_5tupleIJPlS6_EEENSJ_IJSD_SD_EEES6_SK_JS6_EEE10hipError_tPvRmT3_T4_T5_T6_T7_T9_mT8_P12ihipStream_tbDpT10_ENKUlT_T0_E_clISt17integral_constantIbLb0EES15_IbLb1EEEEDaS11_S12_EUlS11_E_NS1_11comp_targetILNS1_3genE0ELNS1_11target_archE4294967295ELNS1_3gpuE0ELNS1_3repE0EEENS1_30default_config_static_selectorELNS0_4arch9wavefront6targetE1EEEvT1_,@function
_ZN7rocprim17ROCPRIM_400000_NS6detail17trampoline_kernelINS0_14default_configENS1_25partition_config_selectorILNS1_17partition_subalgoE5ElNS0_10empty_typeEbEEZZNS1_14partition_implILS5_5ELb0ES3_mN6hipcub16HIPCUB_304000_NS21CountingInputIteratorIllEEPS6_NSA_22TransformInputIteratorIb7NonZeroIiEPilEENS0_5tupleIJPlS6_EEENSJ_IJSD_SD_EEES6_SK_JS6_EEE10hipError_tPvRmT3_T4_T5_T6_T7_T9_mT8_P12ihipStream_tbDpT10_ENKUlT_T0_E_clISt17integral_constantIbLb0EES15_IbLb1EEEEDaS11_S12_EUlS11_E_NS1_11comp_targetILNS1_3genE0ELNS1_11target_archE4294967295ELNS1_3gpuE0ELNS1_3repE0EEENS1_30default_config_static_selectorELNS0_4arch9wavefront6targetE1EEEvT1_: ; @_ZN7rocprim17ROCPRIM_400000_NS6detail17trampoline_kernelINS0_14default_configENS1_25partition_config_selectorILNS1_17partition_subalgoE5ElNS0_10empty_typeEbEEZZNS1_14partition_implILS5_5ELb0ES3_mN6hipcub16HIPCUB_304000_NS21CountingInputIteratorIllEEPS6_NSA_22TransformInputIteratorIb7NonZeroIiEPilEENS0_5tupleIJPlS6_EEENSJ_IJSD_SD_EEES6_SK_JS6_EEE10hipError_tPvRmT3_T4_T5_T6_T7_T9_mT8_P12ihipStream_tbDpT10_ENKUlT_T0_E_clISt17integral_constantIbLb0EES15_IbLb1EEEEDaS11_S12_EUlS11_E_NS1_11comp_targetILNS1_3genE0ELNS1_11target_archE4294967295ELNS1_3gpuE0ELNS1_3repE0EEENS1_30default_config_static_selectorELNS0_4arch9wavefront6targetE1EEEvT1_
; %bb.0:
	.section	.rodata,"a",@progbits
	.p2align	6, 0x0
	.amdhsa_kernel _ZN7rocprim17ROCPRIM_400000_NS6detail17trampoline_kernelINS0_14default_configENS1_25partition_config_selectorILNS1_17partition_subalgoE5ElNS0_10empty_typeEbEEZZNS1_14partition_implILS5_5ELb0ES3_mN6hipcub16HIPCUB_304000_NS21CountingInputIteratorIllEEPS6_NSA_22TransformInputIteratorIb7NonZeroIiEPilEENS0_5tupleIJPlS6_EEENSJ_IJSD_SD_EEES6_SK_JS6_EEE10hipError_tPvRmT3_T4_T5_T6_T7_T9_mT8_P12ihipStream_tbDpT10_ENKUlT_T0_E_clISt17integral_constantIbLb0EES15_IbLb1EEEEDaS11_S12_EUlS11_E_NS1_11comp_targetILNS1_3genE0ELNS1_11target_archE4294967295ELNS1_3gpuE0ELNS1_3repE0EEENS1_30default_config_static_selectorELNS0_4arch9wavefront6targetE1EEEvT1_
		.amdhsa_group_segment_fixed_size 0
		.amdhsa_private_segment_fixed_size 0
		.amdhsa_kernarg_size 136
		.amdhsa_user_sgpr_count 6
		.amdhsa_user_sgpr_private_segment_buffer 1
		.amdhsa_user_sgpr_dispatch_ptr 0
		.amdhsa_user_sgpr_queue_ptr 0
		.amdhsa_user_sgpr_kernarg_segment_ptr 1
		.amdhsa_user_sgpr_dispatch_id 0
		.amdhsa_user_sgpr_flat_scratch_init 0
		.amdhsa_user_sgpr_private_segment_size 0
		.amdhsa_uses_dynamic_stack 0
		.amdhsa_system_sgpr_private_segment_wavefront_offset 0
		.amdhsa_system_sgpr_workgroup_id_x 1
		.amdhsa_system_sgpr_workgroup_id_y 0
		.amdhsa_system_sgpr_workgroup_id_z 0
		.amdhsa_system_sgpr_workgroup_info 0
		.amdhsa_system_vgpr_workitem_id 0
		.amdhsa_next_free_vgpr 1
		.amdhsa_next_free_sgpr 0
		.amdhsa_reserve_vcc 0
		.amdhsa_reserve_flat_scratch 0
		.amdhsa_float_round_mode_32 0
		.amdhsa_float_round_mode_16_64 0
		.amdhsa_float_denorm_mode_32 3
		.amdhsa_float_denorm_mode_16_64 3
		.amdhsa_dx10_clamp 1
		.amdhsa_ieee_mode 1
		.amdhsa_fp16_overflow 0
		.amdhsa_exception_fp_ieee_invalid_op 0
		.amdhsa_exception_fp_denorm_src 0
		.amdhsa_exception_fp_ieee_div_zero 0
		.amdhsa_exception_fp_ieee_overflow 0
		.amdhsa_exception_fp_ieee_underflow 0
		.amdhsa_exception_fp_ieee_inexact 0
		.amdhsa_exception_int_div_zero 0
	.end_amdhsa_kernel
	.section	.text._ZN7rocprim17ROCPRIM_400000_NS6detail17trampoline_kernelINS0_14default_configENS1_25partition_config_selectorILNS1_17partition_subalgoE5ElNS0_10empty_typeEbEEZZNS1_14partition_implILS5_5ELb0ES3_mN6hipcub16HIPCUB_304000_NS21CountingInputIteratorIllEEPS6_NSA_22TransformInputIteratorIb7NonZeroIiEPilEENS0_5tupleIJPlS6_EEENSJ_IJSD_SD_EEES6_SK_JS6_EEE10hipError_tPvRmT3_T4_T5_T6_T7_T9_mT8_P12ihipStream_tbDpT10_ENKUlT_T0_E_clISt17integral_constantIbLb0EES15_IbLb1EEEEDaS11_S12_EUlS11_E_NS1_11comp_targetILNS1_3genE0ELNS1_11target_archE4294967295ELNS1_3gpuE0ELNS1_3repE0EEENS1_30default_config_static_selectorELNS0_4arch9wavefront6targetE1EEEvT1_,"axG",@progbits,_ZN7rocprim17ROCPRIM_400000_NS6detail17trampoline_kernelINS0_14default_configENS1_25partition_config_selectorILNS1_17partition_subalgoE5ElNS0_10empty_typeEbEEZZNS1_14partition_implILS5_5ELb0ES3_mN6hipcub16HIPCUB_304000_NS21CountingInputIteratorIllEEPS6_NSA_22TransformInputIteratorIb7NonZeroIiEPilEENS0_5tupleIJPlS6_EEENSJ_IJSD_SD_EEES6_SK_JS6_EEE10hipError_tPvRmT3_T4_T5_T6_T7_T9_mT8_P12ihipStream_tbDpT10_ENKUlT_T0_E_clISt17integral_constantIbLb0EES15_IbLb1EEEEDaS11_S12_EUlS11_E_NS1_11comp_targetILNS1_3genE0ELNS1_11target_archE4294967295ELNS1_3gpuE0ELNS1_3repE0EEENS1_30default_config_static_selectorELNS0_4arch9wavefront6targetE1EEEvT1_,comdat
.Lfunc_end209:
	.size	_ZN7rocprim17ROCPRIM_400000_NS6detail17trampoline_kernelINS0_14default_configENS1_25partition_config_selectorILNS1_17partition_subalgoE5ElNS0_10empty_typeEbEEZZNS1_14partition_implILS5_5ELb0ES3_mN6hipcub16HIPCUB_304000_NS21CountingInputIteratorIllEEPS6_NSA_22TransformInputIteratorIb7NonZeroIiEPilEENS0_5tupleIJPlS6_EEENSJ_IJSD_SD_EEES6_SK_JS6_EEE10hipError_tPvRmT3_T4_T5_T6_T7_T9_mT8_P12ihipStream_tbDpT10_ENKUlT_T0_E_clISt17integral_constantIbLb0EES15_IbLb1EEEEDaS11_S12_EUlS11_E_NS1_11comp_targetILNS1_3genE0ELNS1_11target_archE4294967295ELNS1_3gpuE0ELNS1_3repE0EEENS1_30default_config_static_selectorELNS0_4arch9wavefront6targetE1EEEvT1_, .Lfunc_end209-_ZN7rocprim17ROCPRIM_400000_NS6detail17trampoline_kernelINS0_14default_configENS1_25partition_config_selectorILNS1_17partition_subalgoE5ElNS0_10empty_typeEbEEZZNS1_14partition_implILS5_5ELb0ES3_mN6hipcub16HIPCUB_304000_NS21CountingInputIteratorIllEEPS6_NSA_22TransformInputIteratorIb7NonZeroIiEPilEENS0_5tupleIJPlS6_EEENSJ_IJSD_SD_EEES6_SK_JS6_EEE10hipError_tPvRmT3_T4_T5_T6_T7_T9_mT8_P12ihipStream_tbDpT10_ENKUlT_T0_E_clISt17integral_constantIbLb0EES15_IbLb1EEEEDaS11_S12_EUlS11_E_NS1_11comp_targetILNS1_3genE0ELNS1_11target_archE4294967295ELNS1_3gpuE0ELNS1_3repE0EEENS1_30default_config_static_selectorELNS0_4arch9wavefront6targetE1EEEvT1_
                                        ; -- End function
	.set _ZN7rocprim17ROCPRIM_400000_NS6detail17trampoline_kernelINS0_14default_configENS1_25partition_config_selectorILNS1_17partition_subalgoE5ElNS0_10empty_typeEbEEZZNS1_14partition_implILS5_5ELb0ES3_mN6hipcub16HIPCUB_304000_NS21CountingInputIteratorIllEEPS6_NSA_22TransformInputIteratorIb7NonZeroIiEPilEENS0_5tupleIJPlS6_EEENSJ_IJSD_SD_EEES6_SK_JS6_EEE10hipError_tPvRmT3_T4_T5_T6_T7_T9_mT8_P12ihipStream_tbDpT10_ENKUlT_T0_E_clISt17integral_constantIbLb0EES15_IbLb1EEEEDaS11_S12_EUlS11_E_NS1_11comp_targetILNS1_3genE0ELNS1_11target_archE4294967295ELNS1_3gpuE0ELNS1_3repE0EEENS1_30default_config_static_selectorELNS0_4arch9wavefront6targetE1EEEvT1_.num_vgpr, 0
	.set _ZN7rocprim17ROCPRIM_400000_NS6detail17trampoline_kernelINS0_14default_configENS1_25partition_config_selectorILNS1_17partition_subalgoE5ElNS0_10empty_typeEbEEZZNS1_14partition_implILS5_5ELb0ES3_mN6hipcub16HIPCUB_304000_NS21CountingInputIteratorIllEEPS6_NSA_22TransformInputIteratorIb7NonZeroIiEPilEENS0_5tupleIJPlS6_EEENSJ_IJSD_SD_EEES6_SK_JS6_EEE10hipError_tPvRmT3_T4_T5_T6_T7_T9_mT8_P12ihipStream_tbDpT10_ENKUlT_T0_E_clISt17integral_constantIbLb0EES15_IbLb1EEEEDaS11_S12_EUlS11_E_NS1_11comp_targetILNS1_3genE0ELNS1_11target_archE4294967295ELNS1_3gpuE0ELNS1_3repE0EEENS1_30default_config_static_selectorELNS0_4arch9wavefront6targetE1EEEvT1_.num_agpr, 0
	.set _ZN7rocprim17ROCPRIM_400000_NS6detail17trampoline_kernelINS0_14default_configENS1_25partition_config_selectorILNS1_17partition_subalgoE5ElNS0_10empty_typeEbEEZZNS1_14partition_implILS5_5ELb0ES3_mN6hipcub16HIPCUB_304000_NS21CountingInputIteratorIllEEPS6_NSA_22TransformInputIteratorIb7NonZeroIiEPilEENS0_5tupleIJPlS6_EEENSJ_IJSD_SD_EEES6_SK_JS6_EEE10hipError_tPvRmT3_T4_T5_T6_T7_T9_mT8_P12ihipStream_tbDpT10_ENKUlT_T0_E_clISt17integral_constantIbLb0EES15_IbLb1EEEEDaS11_S12_EUlS11_E_NS1_11comp_targetILNS1_3genE0ELNS1_11target_archE4294967295ELNS1_3gpuE0ELNS1_3repE0EEENS1_30default_config_static_selectorELNS0_4arch9wavefront6targetE1EEEvT1_.numbered_sgpr, 0
	.set _ZN7rocprim17ROCPRIM_400000_NS6detail17trampoline_kernelINS0_14default_configENS1_25partition_config_selectorILNS1_17partition_subalgoE5ElNS0_10empty_typeEbEEZZNS1_14partition_implILS5_5ELb0ES3_mN6hipcub16HIPCUB_304000_NS21CountingInputIteratorIllEEPS6_NSA_22TransformInputIteratorIb7NonZeroIiEPilEENS0_5tupleIJPlS6_EEENSJ_IJSD_SD_EEES6_SK_JS6_EEE10hipError_tPvRmT3_T4_T5_T6_T7_T9_mT8_P12ihipStream_tbDpT10_ENKUlT_T0_E_clISt17integral_constantIbLb0EES15_IbLb1EEEEDaS11_S12_EUlS11_E_NS1_11comp_targetILNS1_3genE0ELNS1_11target_archE4294967295ELNS1_3gpuE0ELNS1_3repE0EEENS1_30default_config_static_selectorELNS0_4arch9wavefront6targetE1EEEvT1_.num_named_barrier, 0
	.set _ZN7rocprim17ROCPRIM_400000_NS6detail17trampoline_kernelINS0_14default_configENS1_25partition_config_selectorILNS1_17partition_subalgoE5ElNS0_10empty_typeEbEEZZNS1_14partition_implILS5_5ELb0ES3_mN6hipcub16HIPCUB_304000_NS21CountingInputIteratorIllEEPS6_NSA_22TransformInputIteratorIb7NonZeroIiEPilEENS0_5tupleIJPlS6_EEENSJ_IJSD_SD_EEES6_SK_JS6_EEE10hipError_tPvRmT3_T4_T5_T6_T7_T9_mT8_P12ihipStream_tbDpT10_ENKUlT_T0_E_clISt17integral_constantIbLb0EES15_IbLb1EEEEDaS11_S12_EUlS11_E_NS1_11comp_targetILNS1_3genE0ELNS1_11target_archE4294967295ELNS1_3gpuE0ELNS1_3repE0EEENS1_30default_config_static_selectorELNS0_4arch9wavefront6targetE1EEEvT1_.private_seg_size, 0
	.set _ZN7rocprim17ROCPRIM_400000_NS6detail17trampoline_kernelINS0_14default_configENS1_25partition_config_selectorILNS1_17partition_subalgoE5ElNS0_10empty_typeEbEEZZNS1_14partition_implILS5_5ELb0ES3_mN6hipcub16HIPCUB_304000_NS21CountingInputIteratorIllEEPS6_NSA_22TransformInputIteratorIb7NonZeroIiEPilEENS0_5tupleIJPlS6_EEENSJ_IJSD_SD_EEES6_SK_JS6_EEE10hipError_tPvRmT3_T4_T5_T6_T7_T9_mT8_P12ihipStream_tbDpT10_ENKUlT_T0_E_clISt17integral_constantIbLb0EES15_IbLb1EEEEDaS11_S12_EUlS11_E_NS1_11comp_targetILNS1_3genE0ELNS1_11target_archE4294967295ELNS1_3gpuE0ELNS1_3repE0EEENS1_30default_config_static_selectorELNS0_4arch9wavefront6targetE1EEEvT1_.uses_vcc, 0
	.set _ZN7rocprim17ROCPRIM_400000_NS6detail17trampoline_kernelINS0_14default_configENS1_25partition_config_selectorILNS1_17partition_subalgoE5ElNS0_10empty_typeEbEEZZNS1_14partition_implILS5_5ELb0ES3_mN6hipcub16HIPCUB_304000_NS21CountingInputIteratorIllEEPS6_NSA_22TransformInputIteratorIb7NonZeroIiEPilEENS0_5tupleIJPlS6_EEENSJ_IJSD_SD_EEES6_SK_JS6_EEE10hipError_tPvRmT3_T4_T5_T6_T7_T9_mT8_P12ihipStream_tbDpT10_ENKUlT_T0_E_clISt17integral_constantIbLb0EES15_IbLb1EEEEDaS11_S12_EUlS11_E_NS1_11comp_targetILNS1_3genE0ELNS1_11target_archE4294967295ELNS1_3gpuE0ELNS1_3repE0EEENS1_30default_config_static_selectorELNS0_4arch9wavefront6targetE1EEEvT1_.uses_flat_scratch, 0
	.set _ZN7rocprim17ROCPRIM_400000_NS6detail17trampoline_kernelINS0_14default_configENS1_25partition_config_selectorILNS1_17partition_subalgoE5ElNS0_10empty_typeEbEEZZNS1_14partition_implILS5_5ELb0ES3_mN6hipcub16HIPCUB_304000_NS21CountingInputIteratorIllEEPS6_NSA_22TransformInputIteratorIb7NonZeroIiEPilEENS0_5tupleIJPlS6_EEENSJ_IJSD_SD_EEES6_SK_JS6_EEE10hipError_tPvRmT3_T4_T5_T6_T7_T9_mT8_P12ihipStream_tbDpT10_ENKUlT_T0_E_clISt17integral_constantIbLb0EES15_IbLb1EEEEDaS11_S12_EUlS11_E_NS1_11comp_targetILNS1_3genE0ELNS1_11target_archE4294967295ELNS1_3gpuE0ELNS1_3repE0EEENS1_30default_config_static_selectorELNS0_4arch9wavefront6targetE1EEEvT1_.has_dyn_sized_stack, 0
	.set _ZN7rocprim17ROCPRIM_400000_NS6detail17trampoline_kernelINS0_14default_configENS1_25partition_config_selectorILNS1_17partition_subalgoE5ElNS0_10empty_typeEbEEZZNS1_14partition_implILS5_5ELb0ES3_mN6hipcub16HIPCUB_304000_NS21CountingInputIteratorIllEEPS6_NSA_22TransformInputIteratorIb7NonZeroIiEPilEENS0_5tupleIJPlS6_EEENSJ_IJSD_SD_EEES6_SK_JS6_EEE10hipError_tPvRmT3_T4_T5_T6_T7_T9_mT8_P12ihipStream_tbDpT10_ENKUlT_T0_E_clISt17integral_constantIbLb0EES15_IbLb1EEEEDaS11_S12_EUlS11_E_NS1_11comp_targetILNS1_3genE0ELNS1_11target_archE4294967295ELNS1_3gpuE0ELNS1_3repE0EEENS1_30default_config_static_selectorELNS0_4arch9wavefront6targetE1EEEvT1_.has_recursion, 0
	.set _ZN7rocprim17ROCPRIM_400000_NS6detail17trampoline_kernelINS0_14default_configENS1_25partition_config_selectorILNS1_17partition_subalgoE5ElNS0_10empty_typeEbEEZZNS1_14partition_implILS5_5ELb0ES3_mN6hipcub16HIPCUB_304000_NS21CountingInputIteratorIllEEPS6_NSA_22TransformInputIteratorIb7NonZeroIiEPilEENS0_5tupleIJPlS6_EEENSJ_IJSD_SD_EEES6_SK_JS6_EEE10hipError_tPvRmT3_T4_T5_T6_T7_T9_mT8_P12ihipStream_tbDpT10_ENKUlT_T0_E_clISt17integral_constantIbLb0EES15_IbLb1EEEEDaS11_S12_EUlS11_E_NS1_11comp_targetILNS1_3genE0ELNS1_11target_archE4294967295ELNS1_3gpuE0ELNS1_3repE0EEENS1_30default_config_static_selectorELNS0_4arch9wavefront6targetE1EEEvT1_.has_indirect_call, 0
	.section	.AMDGPU.csdata,"",@progbits
; Kernel info:
; codeLenInByte = 0
; TotalNumSgprs: 4
; NumVgprs: 0
; ScratchSize: 0
; MemoryBound: 0
; FloatMode: 240
; IeeeMode: 1
; LDSByteSize: 0 bytes/workgroup (compile time only)
; SGPRBlocks: 0
; VGPRBlocks: 0
; NumSGPRsForWavesPerEU: 4
; NumVGPRsForWavesPerEU: 1
; Occupancy: 10
; WaveLimiterHint : 0
; COMPUTE_PGM_RSRC2:SCRATCH_EN: 0
; COMPUTE_PGM_RSRC2:USER_SGPR: 6
; COMPUTE_PGM_RSRC2:TRAP_HANDLER: 0
; COMPUTE_PGM_RSRC2:TGID_X_EN: 1
; COMPUTE_PGM_RSRC2:TGID_Y_EN: 0
; COMPUTE_PGM_RSRC2:TGID_Z_EN: 0
; COMPUTE_PGM_RSRC2:TIDIG_COMP_CNT: 0
	.section	.text._ZN7rocprim17ROCPRIM_400000_NS6detail17trampoline_kernelINS0_14default_configENS1_25partition_config_selectorILNS1_17partition_subalgoE5ElNS0_10empty_typeEbEEZZNS1_14partition_implILS5_5ELb0ES3_mN6hipcub16HIPCUB_304000_NS21CountingInputIteratorIllEEPS6_NSA_22TransformInputIteratorIb7NonZeroIiEPilEENS0_5tupleIJPlS6_EEENSJ_IJSD_SD_EEES6_SK_JS6_EEE10hipError_tPvRmT3_T4_T5_T6_T7_T9_mT8_P12ihipStream_tbDpT10_ENKUlT_T0_E_clISt17integral_constantIbLb0EES15_IbLb1EEEEDaS11_S12_EUlS11_E_NS1_11comp_targetILNS1_3genE5ELNS1_11target_archE942ELNS1_3gpuE9ELNS1_3repE0EEENS1_30default_config_static_selectorELNS0_4arch9wavefront6targetE1EEEvT1_,"axG",@progbits,_ZN7rocprim17ROCPRIM_400000_NS6detail17trampoline_kernelINS0_14default_configENS1_25partition_config_selectorILNS1_17partition_subalgoE5ElNS0_10empty_typeEbEEZZNS1_14partition_implILS5_5ELb0ES3_mN6hipcub16HIPCUB_304000_NS21CountingInputIteratorIllEEPS6_NSA_22TransformInputIteratorIb7NonZeroIiEPilEENS0_5tupleIJPlS6_EEENSJ_IJSD_SD_EEES6_SK_JS6_EEE10hipError_tPvRmT3_T4_T5_T6_T7_T9_mT8_P12ihipStream_tbDpT10_ENKUlT_T0_E_clISt17integral_constantIbLb0EES15_IbLb1EEEEDaS11_S12_EUlS11_E_NS1_11comp_targetILNS1_3genE5ELNS1_11target_archE942ELNS1_3gpuE9ELNS1_3repE0EEENS1_30default_config_static_selectorELNS0_4arch9wavefront6targetE1EEEvT1_,comdat
	.protected	_ZN7rocprim17ROCPRIM_400000_NS6detail17trampoline_kernelINS0_14default_configENS1_25partition_config_selectorILNS1_17partition_subalgoE5ElNS0_10empty_typeEbEEZZNS1_14partition_implILS5_5ELb0ES3_mN6hipcub16HIPCUB_304000_NS21CountingInputIteratorIllEEPS6_NSA_22TransformInputIteratorIb7NonZeroIiEPilEENS0_5tupleIJPlS6_EEENSJ_IJSD_SD_EEES6_SK_JS6_EEE10hipError_tPvRmT3_T4_T5_T6_T7_T9_mT8_P12ihipStream_tbDpT10_ENKUlT_T0_E_clISt17integral_constantIbLb0EES15_IbLb1EEEEDaS11_S12_EUlS11_E_NS1_11comp_targetILNS1_3genE5ELNS1_11target_archE942ELNS1_3gpuE9ELNS1_3repE0EEENS1_30default_config_static_selectorELNS0_4arch9wavefront6targetE1EEEvT1_ ; -- Begin function _ZN7rocprim17ROCPRIM_400000_NS6detail17trampoline_kernelINS0_14default_configENS1_25partition_config_selectorILNS1_17partition_subalgoE5ElNS0_10empty_typeEbEEZZNS1_14partition_implILS5_5ELb0ES3_mN6hipcub16HIPCUB_304000_NS21CountingInputIteratorIllEEPS6_NSA_22TransformInputIteratorIb7NonZeroIiEPilEENS0_5tupleIJPlS6_EEENSJ_IJSD_SD_EEES6_SK_JS6_EEE10hipError_tPvRmT3_T4_T5_T6_T7_T9_mT8_P12ihipStream_tbDpT10_ENKUlT_T0_E_clISt17integral_constantIbLb0EES15_IbLb1EEEEDaS11_S12_EUlS11_E_NS1_11comp_targetILNS1_3genE5ELNS1_11target_archE942ELNS1_3gpuE9ELNS1_3repE0EEENS1_30default_config_static_selectorELNS0_4arch9wavefront6targetE1EEEvT1_
	.globl	_ZN7rocprim17ROCPRIM_400000_NS6detail17trampoline_kernelINS0_14default_configENS1_25partition_config_selectorILNS1_17partition_subalgoE5ElNS0_10empty_typeEbEEZZNS1_14partition_implILS5_5ELb0ES3_mN6hipcub16HIPCUB_304000_NS21CountingInputIteratorIllEEPS6_NSA_22TransformInputIteratorIb7NonZeroIiEPilEENS0_5tupleIJPlS6_EEENSJ_IJSD_SD_EEES6_SK_JS6_EEE10hipError_tPvRmT3_T4_T5_T6_T7_T9_mT8_P12ihipStream_tbDpT10_ENKUlT_T0_E_clISt17integral_constantIbLb0EES15_IbLb1EEEEDaS11_S12_EUlS11_E_NS1_11comp_targetILNS1_3genE5ELNS1_11target_archE942ELNS1_3gpuE9ELNS1_3repE0EEENS1_30default_config_static_selectorELNS0_4arch9wavefront6targetE1EEEvT1_
	.p2align	8
	.type	_ZN7rocprim17ROCPRIM_400000_NS6detail17trampoline_kernelINS0_14default_configENS1_25partition_config_selectorILNS1_17partition_subalgoE5ElNS0_10empty_typeEbEEZZNS1_14partition_implILS5_5ELb0ES3_mN6hipcub16HIPCUB_304000_NS21CountingInputIteratorIllEEPS6_NSA_22TransformInputIteratorIb7NonZeroIiEPilEENS0_5tupleIJPlS6_EEENSJ_IJSD_SD_EEES6_SK_JS6_EEE10hipError_tPvRmT3_T4_T5_T6_T7_T9_mT8_P12ihipStream_tbDpT10_ENKUlT_T0_E_clISt17integral_constantIbLb0EES15_IbLb1EEEEDaS11_S12_EUlS11_E_NS1_11comp_targetILNS1_3genE5ELNS1_11target_archE942ELNS1_3gpuE9ELNS1_3repE0EEENS1_30default_config_static_selectorELNS0_4arch9wavefront6targetE1EEEvT1_,@function
_ZN7rocprim17ROCPRIM_400000_NS6detail17trampoline_kernelINS0_14default_configENS1_25partition_config_selectorILNS1_17partition_subalgoE5ElNS0_10empty_typeEbEEZZNS1_14partition_implILS5_5ELb0ES3_mN6hipcub16HIPCUB_304000_NS21CountingInputIteratorIllEEPS6_NSA_22TransformInputIteratorIb7NonZeroIiEPilEENS0_5tupleIJPlS6_EEENSJ_IJSD_SD_EEES6_SK_JS6_EEE10hipError_tPvRmT3_T4_T5_T6_T7_T9_mT8_P12ihipStream_tbDpT10_ENKUlT_T0_E_clISt17integral_constantIbLb0EES15_IbLb1EEEEDaS11_S12_EUlS11_E_NS1_11comp_targetILNS1_3genE5ELNS1_11target_archE942ELNS1_3gpuE9ELNS1_3repE0EEENS1_30default_config_static_selectorELNS0_4arch9wavefront6targetE1EEEvT1_: ; @_ZN7rocprim17ROCPRIM_400000_NS6detail17trampoline_kernelINS0_14default_configENS1_25partition_config_selectorILNS1_17partition_subalgoE5ElNS0_10empty_typeEbEEZZNS1_14partition_implILS5_5ELb0ES3_mN6hipcub16HIPCUB_304000_NS21CountingInputIteratorIllEEPS6_NSA_22TransformInputIteratorIb7NonZeroIiEPilEENS0_5tupleIJPlS6_EEENSJ_IJSD_SD_EEES6_SK_JS6_EEE10hipError_tPvRmT3_T4_T5_T6_T7_T9_mT8_P12ihipStream_tbDpT10_ENKUlT_T0_E_clISt17integral_constantIbLb0EES15_IbLb1EEEEDaS11_S12_EUlS11_E_NS1_11comp_targetILNS1_3genE5ELNS1_11target_archE942ELNS1_3gpuE9ELNS1_3repE0EEENS1_30default_config_static_selectorELNS0_4arch9wavefront6targetE1EEEvT1_
; %bb.0:
	.section	.rodata,"a",@progbits
	.p2align	6, 0x0
	.amdhsa_kernel _ZN7rocprim17ROCPRIM_400000_NS6detail17trampoline_kernelINS0_14default_configENS1_25partition_config_selectorILNS1_17partition_subalgoE5ElNS0_10empty_typeEbEEZZNS1_14partition_implILS5_5ELb0ES3_mN6hipcub16HIPCUB_304000_NS21CountingInputIteratorIllEEPS6_NSA_22TransformInputIteratorIb7NonZeroIiEPilEENS0_5tupleIJPlS6_EEENSJ_IJSD_SD_EEES6_SK_JS6_EEE10hipError_tPvRmT3_T4_T5_T6_T7_T9_mT8_P12ihipStream_tbDpT10_ENKUlT_T0_E_clISt17integral_constantIbLb0EES15_IbLb1EEEEDaS11_S12_EUlS11_E_NS1_11comp_targetILNS1_3genE5ELNS1_11target_archE942ELNS1_3gpuE9ELNS1_3repE0EEENS1_30default_config_static_selectorELNS0_4arch9wavefront6targetE1EEEvT1_
		.amdhsa_group_segment_fixed_size 0
		.amdhsa_private_segment_fixed_size 0
		.amdhsa_kernarg_size 136
		.amdhsa_user_sgpr_count 6
		.amdhsa_user_sgpr_private_segment_buffer 1
		.amdhsa_user_sgpr_dispatch_ptr 0
		.amdhsa_user_sgpr_queue_ptr 0
		.amdhsa_user_sgpr_kernarg_segment_ptr 1
		.amdhsa_user_sgpr_dispatch_id 0
		.amdhsa_user_sgpr_flat_scratch_init 0
		.amdhsa_user_sgpr_private_segment_size 0
		.amdhsa_uses_dynamic_stack 0
		.amdhsa_system_sgpr_private_segment_wavefront_offset 0
		.amdhsa_system_sgpr_workgroup_id_x 1
		.amdhsa_system_sgpr_workgroup_id_y 0
		.amdhsa_system_sgpr_workgroup_id_z 0
		.amdhsa_system_sgpr_workgroup_info 0
		.amdhsa_system_vgpr_workitem_id 0
		.amdhsa_next_free_vgpr 1
		.amdhsa_next_free_sgpr 0
		.amdhsa_reserve_vcc 0
		.amdhsa_reserve_flat_scratch 0
		.amdhsa_float_round_mode_32 0
		.amdhsa_float_round_mode_16_64 0
		.amdhsa_float_denorm_mode_32 3
		.amdhsa_float_denorm_mode_16_64 3
		.amdhsa_dx10_clamp 1
		.amdhsa_ieee_mode 1
		.amdhsa_fp16_overflow 0
		.amdhsa_exception_fp_ieee_invalid_op 0
		.amdhsa_exception_fp_denorm_src 0
		.amdhsa_exception_fp_ieee_div_zero 0
		.amdhsa_exception_fp_ieee_overflow 0
		.amdhsa_exception_fp_ieee_underflow 0
		.amdhsa_exception_fp_ieee_inexact 0
		.amdhsa_exception_int_div_zero 0
	.end_amdhsa_kernel
	.section	.text._ZN7rocprim17ROCPRIM_400000_NS6detail17trampoline_kernelINS0_14default_configENS1_25partition_config_selectorILNS1_17partition_subalgoE5ElNS0_10empty_typeEbEEZZNS1_14partition_implILS5_5ELb0ES3_mN6hipcub16HIPCUB_304000_NS21CountingInputIteratorIllEEPS6_NSA_22TransformInputIteratorIb7NonZeroIiEPilEENS0_5tupleIJPlS6_EEENSJ_IJSD_SD_EEES6_SK_JS6_EEE10hipError_tPvRmT3_T4_T5_T6_T7_T9_mT8_P12ihipStream_tbDpT10_ENKUlT_T0_E_clISt17integral_constantIbLb0EES15_IbLb1EEEEDaS11_S12_EUlS11_E_NS1_11comp_targetILNS1_3genE5ELNS1_11target_archE942ELNS1_3gpuE9ELNS1_3repE0EEENS1_30default_config_static_selectorELNS0_4arch9wavefront6targetE1EEEvT1_,"axG",@progbits,_ZN7rocprim17ROCPRIM_400000_NS6detail17trampoline_kernelINS0_14default_configENS1_25partition_config_selectorILNS1_17partition_subalgoE5ElNS0_10empty_typeEbEEZZNS1_14partition_implILS5_5ELb0ES3_mN6hipcub16HIPCUB_304000_NS21CountingInputIteratorIllEEPS6_NSA_22TransformInputIteratorIb7NonZeroIiEPilEENS0_5tupleIJPlS6_EEENSJ_IJSD_SD_EEES6_SK_JS6_EEE10hipError_tPvRmT3_T4_T5_T6_T7_T9_mT8_P12ihipStream_tbDpT10_ENKUlT_T0_E_clISt17integral_constantIbLb0EES15_IbLb1EEEEDaS11_S12_EUlS11_E_NS1_11comp_targetILNS1_3genE5ELNS1_11target_archE942ELNS1_3gpuE9ELNS1_3repE0EEENS1_30default_config_static_selectorELNS0_4arch9wavefront6targetE1EEEvT1_,comdat
.Lfunc_end210:
	.size	_ZN7rocprim17ROCPRIM_400000_NS6detail17trampoline_kernelINS0_14default_configENS1_25partition_config_selectorILNS1_17partition_subalgoE5ElNS0_10empty_typeEbEEZZNS1_14partition_implILS5_5ELb0ES3_mN6hipcub16HIPCUB_304000_NS21CountingInputIteratorIllEEPS6_NSA_22TransformInputIteratorIb7NonZeroIiEPilEENS0_5tupleIJPlS6_EEENSJ_IJSD_SD_EEES6_SK_JS6_EEE10hipError_tPvRmT3_T4_T5_T6_T7_T9_mT8_P12ihipStream_tbDpT10_ENKUlT_T0_E_clISt17integral_constantIbLb0EES15_IbLb1EEEEDaS11_S12_EUlS11_E_NS1_11comp_targetILNS1_3genE5ELNS1_11target_archE942ELNS1_3gpuE9ELNS1_3repE0EEENS1_30default_config_static_selectorELNS0_4arch9wavefront6targetE1EEEvT1_, .Lfunc_end210-_ZN7rocprim17ROCPRIM_400000_NS6detail17trampoline_kernelINS0_14default_configENS1_25partition_config_selectorILNS1_17partition_subalgoE5ElNS0_10empty_typeEbEEZZNS1_14partition_implILS5_5ELb0ES3_mN6hipcub16HIPCUB_304000_NS21CountingInputIteratorIllEEPS6_NSA_22TransformInputIteratorIb7NonZeroIiEPilEENS0_5tupleIJPlS6_EEENSJ_IJSD_SD_EEES6_SK_JS6_EEE10hipError_tPvRmT3_T4_T5_T6_T7_T9_mT8_P12ihipStream_tbDpT10_ENKUlT_T0_E_clISt17integral_constantIbLb0EES15_IbLb1EEEEDaS11_S12_EUlS11_E_NS1_11comp_targetILNS1_3genE5ELNS1_11target_archE942ELNS1_3gpuE9ELNS1_3repE0EEENS1_30default_config_static_selectorELNS0_4arch9wavefront6targetE1EEEvT1_
                                        ; -- End function
	.set _ZN7rocprim17ROCPRIM_400000_NS6detail17trampoline_kernelINS0_14default_configENS1_25partition_config_selectorILNS1_17partition_subalgoE5ElNS0_10empty_typeEbEEZZNS1_14partition_implILS5_5ELb0ES3_mN6hipcub16HIPCUB_304000_NS21CountingInputIteratorIllEEPS6_NSA_22TransformInputIteratorIb7NonZeroIiEPilEENS0_5tupleIJPlS6_EEENSJ_IJSD_SD_EEES6_SK_JS6_EEE10hipError_tPvRmT3_T4_T5_T6_T7_T9_mT8_P12ihipStream_tbDpT10_ENKUlT_T0_E_clISt17integral_constantIbLb0EES15_IbLb1EEEEDaS11_S12_EUlS11_E_NS1_11comp_targetILNS1_3genE5ELNS1_11target_archE942ELNS1_3gpuE9ELNS1_3repE0EEENS1_30default_config_static_selectorELNS0_4arch9wavefront6targetE1EEEvT1_.num_vgpr, 0
	.set _ZN7rocprim17ROCPRIM_400000_NS6detail17trampoline_kernelINS0_14default_configENS1_25partition_config_selectorILNS1_17partition_subalgoE5ElNS0_10empty_typeEbEEZZNS1_14partition_implILS5_5ELb0ES3_mN6hipcub16HIPCUB_304000_NS21CountingInputIteratorIllEEPS6_NSA_22TransformInputIteratorIb7NonZeroIiEPilEENS0_5tupleIJPlS6_EEENSJ_IJSD_SD_EEES6_SK_JS6_EEE10hipError_tPvRmT3_T4_T5_T6_T7_T9_mT8_P12ihipStream_tbDpT10_ENKUlT_T0_E_clISt17integral_constantIbLb0EES15_IbLb1EEEEDaS11_S12_EUlS11_E_NS1_11comp_targetILNS1_3genE5ELNS1_11target_archE942ELNS1_3gpuE9ELNS1_3repE0EEENS1_30default_config_static_selectorELNS0_4arch9wavefront6targetE1EEEvT1_.num_agpr, 0
	.set _ZN7rocprim17ROCPRIM_400000_NS6detail17trampoline_kernelINS0_14default_configENS1_25partition_config_selectorILNS1_17partition_subalgoE5ElNS0_10empty_typeEbEEZZNS1_14partition_implILS5_5ELb0ES3_mN6hipcub16HIPCUB_304000_NS21CountingInputIteratorIllEEPS6_NSA_22TransformInputIteratorIb7NonZeroIiEPilEENS0_5tupleIJPlS6_EEENSJ_IJSD_SD_EEES6_SK_JS6_EEE10hipError_tPvRmT3_T4_T5_T6_T7_T9_mT8_P12ihipStream_tbDpT10_ENKUlT_T0_E_clISt17integral_constantIbLb0EES15_IbLb1EEEEDaS11_S12_EUlS11_E_NS1_11comp_targetILNS1_3genE5ELNS1_11target_archE942ELNS1_3gpuE9ELNS1_3repE0EEENS1_30default_config_static_selectorELNS0_4arch9wavefront6targetE1EEEvT1_.numbered_sgpr, 0
	.set _ZN7rocprim17ROCPRIM_400000_NS6detail17trampoline_kernelINS0_14default_configENS1_25partition_config_selectorILNS1_17partition_subalgoE5ElNS0_10empty_typeEbEEZZNS1_14partition_implILS5_5ELb0ES3_mN6hipcub16HIPCUB_304000_NS21CountingInputIteratorIllEEPS6_NSA_22TransformInputIteratorIb7NonZeroIiEPilEENS0_5tupleIJPlS6_EEENSJ_IJSD_SD_EEES6_SK_JS6_EEE10hipError_tPvRmT3_T4_T5_T6_T7_T9_mT8_P12ihipStream_tbDpT10_ENKUlT_T0_E_clISt17integral_constantIbLb0EES15_IbLb1EEEEDaS11_S12_EUlS11_E_NS1_11comp_targetILNS1_3genE5ELNS1_11target_archE942ELNS1_3gpuE9ELNS1_3repE0EEENS1_30default_config_static_selectorELNS0_4arch9wavefront6targetE1EEEvT1_.num_named_barrier, 0
	.set _ZN7rocprim17ROCPRIM_400000_NS6detail17trampoline_kernelINS0_14default_configENS1_25partition_config_selectorILNS1_17partition_subalgoE5ElNS0_10empty_typeEbEEZZNS1_14partition_implILS5_5ELb0ES3_mN6hipcub16HIPCUB_304000_NS21CountingInputIteratorIllEEPS6_NSA_22TransformInputIteratorIb7NonZeroIiEPilEENS0_5tupleIJPlS6_EEENSJ_IJSD_SD_EEES6_SK_JS6_EEE10hipError_tPvRmT3_T4_T5_T6_T7_T9_mT8_P12ihipStream_tbDpT10_ENKUlT_T0_E_clISt17integral_constantIbLb0EES15_IbLb1EEEEDaS11_S12_EUlS11_E_NS1_11comp_targetILNS1_3genE5ELNS1_11target_archE942ELNS1_3gpuE9ELNS1_3repE0EEENS1_30default_config_static_selectorELNS0_4arch9wavefront6targetE1EEEvT1_.private_seg_size, 0
	.set _ZN7rocprim17ROCPRIM_400000_NS6detail17trampoline_kernelINS0_14default_configENS1_25partition_config_selectorILNS1_17partition_subalgoE5ElNS0_10empty_typeEbEEZZNS1_14partition_implILS5_5ELb0ES3_mN6hipcub16HIPCUB_304000_NS21CountingInputIteratorIllEEPS6_NSA_22TransformInputIteratorIb7NonZeroIiEPilEENS0_5tupleIJPlS6_EEENSJ_IJSD_SD_EEES6_SK_JS6_EEE10hipError_tPvRmT3_T4_T5_T6_T7_T9_mT8_P12ihipStream_tbDpT10_ENKUlT_T0_E_clISt17integral_constantIbLb0EES15_IbLb1EEEEDaS11_S12_EUlS11_E_NS1_11comp_targetILNS1_3genE5ELNS1_11target_archE942ELNS1_3gpuE9ELNS1_3repE0EEENS1_30default_config_static_selectorELNS0_4arch9wavefront6targetE1EEEvT1_.uses_vcc, 0
	.set _ZN7rocprim17ROCPRIM_400000_NS6detail17trampoline_kernelINS0_14default_configENS1_25partition_config_selectorILNS1_17partition_subalgoE5ElNS0_10empty_typeEbEEZZNS1_14partition_implILS5_5ELb0ES3_mN6hipcub16HIPCUB_304000_NS21CountingInputIteratorIllEEPS6_NSA_22TransformInputIteratorIb7NonZeroIiEPilEENS0_5tupleIJPlS6_EEENSJ_IJSD_SD_EEES6_SK_JS6_EEE10hipError_tPvRmT3_T4_T5_T6_T7_T9_mT8_P12ihipStream_tbDpT10_ENKUlT_T0_E_clISt17integral_constantIbLb0EES15_IbLb1EEEEDaS11_S12_EUlS11_E_NS1_11comp_targetILNS1_3genE5ELNS1_11target_archE942ELNS1_3gpuE9ELNS1_3repE0EEENS1_30default_config_static_selectorELNS0_4arch9wavefront6targetE1EEEvT1_.uses_flat_scratch, 0
	.set _ZN7rocprim17ROCPRIM_400000_NS6detail17trampoline_kernelINS0_14default_configENS1_25partition_config_selectorILNS1_17partition_subalgoE5ElNS0_10empty_typeEbEEZZNS1_14partition_implILS5_5ELb0ES3_mN6hipcub16HIPCUB_304000_NS21CountingInputIteratorIllEEPS6_NSA_22TransformInputIteratorIb7NonZeroIiEPilEENS0_5tupleIJPlS6_EEENSJ_IJSD_SD_EEES6_SK_JS6_EEE10hipError_tPvRmT3_T4_T5_T6_T7_T9_mT8_P12ihipStream_tbDpT10_ENKUlT_T0_E_clISt17integral_constantIbLb0EES15_IbLb1EEEEDaS11_S12_EUlS11_E_NS1_11comp_targetILNS1_3genE5ELNS1_11target_archE942ELNS1_3gpuE9ELNS1_3repE0EEENS1_30default_config_static_selectorELNS0_4arch9wavefront6targetE1EEEvT1_.has_dyn_sized_stack, 0
	.set _ZN7rocprim17ROCPRIM_400000_NS6detail17trampoline_kernelINS0_14default_configENS1_25partition_config_selectorILNS1_17partition_subalgoE5ElNS0_10empty_typeEbEEZZNS1_14partition_implILS5_5ELb0ES3_mN6hipcub16HIPCUB_304000_NS21CountingInputIteratorIllEEPS6_NSA_22TransformInputIteratorIb7NonZeroIiEPilEENS0_5tupleIJPlS6_EEENSJ_IJSD_SD_EEES6_SK_JS6_EEE10hipError_tPvRmT3_T4_T5_T6_T7_T9_mT8_P12ihipStream_tbDpT10_ENKUlT_T0_E_clISt17integral_constantIbLb0EES15_IbLb1EEEEDaS11_S12_EUlS11_E_NS1_11comp_targetILNS1_3genE5ELNS1_11target_archE942ELNS1_3gpuE9ELNS1_3repE0EEENS1_30default_config_static_selectorELNS0_4arch9wavefront6targetE1EEEvT1_.has_recursion, 0
	.set _ZN7rocprim17ROCPRIM_400000_NS6detail17trampoline_kernelINS0_14default_configENS1_25partition_config_selectorILNS1_17partition_subalgoE5ElNS0_10empty_typeEbEEZZNS1_14partition_implILS5_5ELb0ES3_mN6hipcub16HIPCUB_304000_NS21CountingInputIteratorIllEEPS6_NSA_22TransformInputIteratorIb7NonZeroIiEPilEENS0_5tupleIJPlS6_EEENSJ_IJSD_SD_EEES6_SK_JS6_EEE10hipError_tPvRmT3_T4_T5_T6_T7_T9_mT8_P12ihipStream_tbDpT10_ENKUlT_T0_E_clISt17integral_constantIbLb0EES15_IbLb1EEEEDaS11_S12_EUlS11_E_NS1_11comp_targetILNS1_3genE5ELNS1_11target_archE942ELNS1_3gpuE9ELNS1_3repE0EEENS1_30default_config_static_selectorELNS0_4arch9wavefront6targetE1EEEvT1_.has_indirect_call, 0
	.section	.AMDGPU.csdata,"",@progbits
; Kernel info:
; codeLenInByte = 0
; TotalNumSgprs: 4
; NumVgprs: 0
; ScratchSize: 0
; MemoryBound: 0
; FloatMode: 240
; IeeeMode: 1
; LDSByteSize: 0 bytes/workgroup (compile time only)
; SGPRBlocks: 0
; VGPRBlocks: 0
; NumSGPRsForWavesPerEU: 4
; NumVGPRsForWavesPerEU: 1
; Occupancy: 10
; WaveLimiterHint : 0
; COMPUTE_PGM_RSRC2:SCRATCH_EN: 0
; COMPUTE_PGM_RSRC2:USER_SGPR: 6
; COMPUTE_PGM_RSRC2:TRAP_HANDLER: 0
; COMPUTE_PGM_RSRC2:TGID_X_EN: 1
; COMPUTE_PGM_RSRC2:TGID_Y_EN: 0
; COMPUTE_PGM_RSRC2:TGID_Z_EN: 0
; COMPUTE_PGM_RSRC2:TIDIG_COMP_CNT: 0
	.section	.text._ZN7rocprim17ROCPRIM_400000_NS6detail17trampoline_kernelINS0_14default_configENS1_25partition_config_selectorILNS1_17partition_subalgoE5ElNS0_10empty_typeEbEEZZNS1_14partition_implILS5_5ELb0ES3_mN6hipcub16HIPCUB_304000_NS21CountingInputIteratorIllEEPS6_NSA_22TransformInputIteratorIb7NonZeroIiEPilEENS0_5tupleIJPlS6_EEENSJ_IJSD_SD_EEES6_SK_JS6_EEE10hipError_tPvRmT3_T4_T5_T6_T7_T9_mT8_P12ihipStream_tbDpT10_ENKUlT_T0_E_clISt17integral_constantIbLb0EES15_IbLb1EEEEDaS11_S12_EUlS11_E_NS1_11comp_targetILNS1_3genE4ELNS1_11target_archE910ELNS1_3gpuE8ELNS1_3repE0EEENS1_30default_config_static_selectorELNS0_4arch9wavefront6targetE1EEEvT1_,"axG",@progbits,_ZN7rocprim17ROCPRIM_400000_NS6detail17trampoline_kernelINS0_14default_configENS1_25partition_config_selectorILNS1_17partition_subalgoE5ElNS0_10empty_typeEbEEZZNS1_14partition_implILS5_5ELb0ES3_mN6hipcub16HIPCUB_304000_NS21CountingInputIteratorIllEEPS6_NSA_22TransformInputIteratorIb7NonZeroIiEPilEENS0_5tupleIJPlS6_EEENSJ_IJSD_SD_EEES6_SK_JS6_EEE10hipError_tPvRmT3_T4_T5_T6_T7_T9_mT8_P12ihipStream_tbDpT10_ENKUlT_T0_E_clISt17integral_constantIbLb0EES15_IbLb1EEEEDaS11_S12_EUlS11_E_NS1_11comp_targetILNS1_3genE4ELNS1_11target_archE910ELNS1_3gpuE8ELNS1_3repE0EEENS1_30default_config_static_selectorELNS0_4arch9wavefront6targetE1EEEvT1_,comdat
	.protected	_ZN7rocprim17ROCPRIM_400000_NS6detail17trampoline_kernelINS0_14default_configENS1_25partition_config_selectorILNS1_17partition_subalgoE5ElNS0_10empty_typeEbEEZZNS1_14partition_implILS5_5ELb0ES3_mN6hipcub16HIPCUB_304000_NS21CountingInputIteratorIllEEPS6_NSA_22TransformInputIteratorIb7NonZeroIiEPilEENS0_5tupleIJPlS6_EEENSJ_IJSD_SD_EEES6_SK_JS6_EEE10hipError_tPvRmT3_T4_T5_T6_T7_T9_mT8_P12ihipStream_tbDpT10_ENKUlT_T0_E_clISt17integral_constantIbLb0EES15_IbLb1EEEEDaS11_S12_EUlS11_E_NS1_11comp_targetILNS1_3genE4ELNS1_11target_archE910ELNS1_3gpuE8ELNS1_3repE0EEENS1_30default_config_static_selectorELNS0_4arch9wavefront6targetE1EEEvT1_ ; -- Begin function _ZN7rocprim17ROCPRIM_400000_NS6detail17trampoline_kernelINS0_14default_configENS1_25partition_config_selectorILNS1_17partition_subalgoE5ElNS0_10empty_typeEbEEZZNS1_14partition_implILS5_5ELb0ES3_mN6hipcub16HIPCUB_304000_NS21CountingInputIteratorIllEEPS6_NSA_22TransformInputIteratorIb7NonZeroIiEPilEENS0_5tupleIJPlS6_EEENSJ_IJSD_SD_EEES6_SK_JS6_EEE10hipError_tPvRmT3_T4_T5_T6_T7_T9_mT8_P12ihipStream_tbDpT10_ENKUlT_T0_E_clISt17integral_constantIbLb0EES15_IbLb1EEEEDaS11_S12_EUlS11_E_NS1_11comp_targetILNS1_3genE4ELNS1_11target_archE910ELNS1_3gpuE8ELNS1_3repE0EEENS1_30default_config_static_selectorELNS0_4arch9wavefront6targetE1EEEvT1_
	.globl	_ZN7rocprim17ROCPRIM_400000_NS6detail17trampoline_kernelINS0_14default_configENS1_25partition_config_selectorILNS1_17partition_subalgoE5ElNS0_10empty_typeEbEEZZNS1_14partition_implILS5_5ELb0ES3_mN6hipcub16HIPCUB_304000_NS21CountingInputIteratorIllEEPS6_NSA_22TransformInputIteratorIb7NonZeroIiEPilEENS0_5tupleIJPlS6_EEENSJ_IJSD_SD_EEES6_SK_JS6_EEE10hipError_tPvRmT3_T4_T5_T6_T7_T9_mT8_P12ihipStream_tbDpT10_ENKUlT_T0_E_clISt17integral_constantIbLb0EES15_IbLb1EEEEDaS11_S12_EUlS11_E_NS1_11comp_targetILNS1_3genE4ELNS1_11target_archE910ELNS1_3gpuE8ELNS1_3repE0EEENS1_30default_config_static_selectorELNS0_4arch9wavefront6targetE1EEEvT1_
	.p2align	8
	.type	_ZN7rocprim17ROCPRIM_400000_NS6detail17trampoline_kernelINS0_14default_configENS1_25partition_config_selectorILNS1_17partition_subalgoE5ElNS0_10empty_typeEbEEZZNS1_14partition_implILS5_5ELb0ES3_mN6hipcub16HIPCUB_304000_NS21CountingInputIteratorIllEEPS6_NSA_22TransformInputIteratorIb7NonZeroIiEPilEENS0_5tupleIJPlS6_EEENSJ_IJSD_SD_EEES6_SK_JS6_EEE10hipError_tPvRmT3_T4_T5_T6_T7_T9_mT8_P12ihipStream_tbDpT10_ENKUlT_T0_E_clISt17integral_constantIbLb0EES15_IbLb1EEEEDaS11_S12_EUlS11_E_NS1_11comp_targetILNS1_3genE4ELNS1_11target_archE910ELNS1_3gpuE8ELNS1_3repE0EEENS1_30default_config_static_selectorELNS0_4arch9wavefront6targetE1EEEvT1_,@function
_ZN7rocprim17ROCPRIM_400000_NS6detail17trampoline_kernelINS0_14default_configENS1_25partition_config_selectorILNS1_17partition_subalgoE5ElNS0_10empty_typeEbEEZZNS1_14partition_implILS5_5ELb0ES3_mN6hipcub16HIPCUB_304000_NS21CountingInputIteratorIllEEPS6_NSA_22TransformInputIteratorIb7NonZeroIiEPilEENS0_5tupleIJPlS6_EEENSJ_IJSD_SD_EEES6_SK_JS6_EEE10hipError_tPvRmT3_T4_T5_T6_T7_T9_mT8_P12ihipStream_tbDpT10_ENKUlT_T0_E_clISt17integral_constantIbLb0EES15_IbLb1EEEEDaS11_S12_EUlS11_E_NS1_11comp_targetILNS1_3genE4ELNS1_11target_archE910ELNS1_3gpuE8ELNS1_3repE0EEENS1_30default_config_static_selectorELNS0_4arch9wavefront6targetE1EEEvT1_: ; @_ZN7rocprim17ROCPRIM_400000_NS6detail17trampoline_kernelINS0_14default_configENS1_25partition_config_selectorILNS1_17partition_subalgoE5ElNS0_10empty_typeEbEEZZNS1_14partition_implILS5_5ELb0ES3_mN6hipcub16HIPCUB_304000_NS21CountingInputIteratorIllEEPS6_NSA_22TransformInputIteratorIb7NonZeroIiEPilEENS0_5tupleIJPlS6_EEENSJ_IJSD_SD_EEES6_SK_JS6_EEE10hipError_tPvRmT3_T4_T5_T6_T7_T9_mT8_P12ihipStream_tbDpT10_ENKUlT_T0_E_clISt17integral_constantIbLb0EES15_IbLb1EEEEDaS11_S12_EUlS11_E_NS1_11comp_targetILNS1_3genE4ELNS1_11target_archE910ELNS1_3gpuE8ELNS1_3repE0EEENS1_30default_config_static_selectorELNS0_4arch9wavefront6targetE1EEEvT1_
; %bb.0:
	.section	.rodata,"a",@progbits
	.p2align	6, 0x0
	.amdhsa_kernel _ZN7rocprim17ROCPRIM_400000_NS6detail17trampoline_kernelINS0_14default_configENS1_25partition_config_selectorILNS1_17partition_subalgoE5ElNS0_10empty_typeEbEEZZNS1_14partition_implILS5_5ELb0ES3_mN6hipcub16HIPCUB_304000_NS21CountingInputIteratorIllEEPS6_NSA_22TransformInputIteratorIb7NonZeroIiEPilEENS0_5tupleIJPlS6_EEENSJ_IJSD_SD_EEES6_SK_JS6_EEE10hipError_tPvRmT3_T4_T5_T6_T7_T9_mT8_P12ihipStream_tbDpT10_ENKUlT_T0_E_clISt17integral_constantIbLb0EES15_IbLb1EEEEDaS11_S12_EUlS11_E_NS1_11comp_targetILNS1_3genE4ELNS1_11target_archE910ELNS1_3gpuE8ELNS1_3repE0EEENS1_30default_config_static_selectorELNS0_4arch9wavefront6targetE1EEEvT1_
		.amdhsa_group_segment_fixed_size 0
		.amdhsa_private_segment_fixed_size 0
		.amdhsa_kernarg_size 136
		.amdhsa_user_sgpr_count 6
		.amdhsa_user_sgpr_private_segment_buffer 1
		.amdhsa_user_sgpr_dispatch_ptr 0
		.amdhsa_user_sgpr_queue_ptr 0
		.amdhsa_user_sgpr_kernarg_segment_ptr 1
		.amdhsa_user_sgpr_dispatch_id 0
		.amdhsa_user_sgpr_flat_scratch_init 0
		.amdhsa_user_sgpr_private_segment_size 0
		.amdhsa_uses_dynamic_stack 0
		.amdhsa_system_sgpr_private_segment_wavefront_offset 0
		.amdhsa_system_sgpr_workgroup_id_x 1
		.amdhsa_system_sgpr_workgroup_id_y 0
		.amdhsa_system_sgpr_workgroup_id_z 0
		.amdhsa_system_sgpr_workgroup_info 0
		.amdhsa_system_vgpr_workitem_id 0
		.amdhsa_next_free_vgpr 1
		.amdhsa_next_free_sgpr 0
		.amdhsa_reserve_vcc 0
		.amdhsa_reserve_flat_scratch 0
		.amdhsa_float_round_mode_32 0
		.amdhsa_float_round_mode_16_64 0
		.amdhsa_float_denorm_mode_32 3
		.amdhsa_float_denorm_mode_16_64 3
		.amdhsa_dx10_clamp 1
		.amdhsa_ieee_mode 1
		.amdhsa_fp16_overflow 0
		.amdhsa_exception_fp_ieee_invalid_op 0
		.amdhsa_exception_fp_denorm_src 0
		.amdhsa_exception_fp_ieee_div_zero 0
		.amdhsa_exception_fp_ieee_overflow 0
		.amdhsa_exception_fp_ieee_underflow 0
		.amdhsa_exception_fp_ieee_inexact 0
		.amdhsa_exception_int_div_zero 0
	.end_amdhsa_kernel
	.section	.text._ZN7rocprim17ROCPRIM_400000_NS6detail17trampoline_kernelINS0_14default_configENS1_25partition_config_selectorILNS1_17partition_subalgoE5ElNS0_10empty_typeEbEEZZNS1_14partition_implILS5_5ELb0ES3_mN6hipcub16HIPCUB_304000_NS21CountingInputIteratorIllEEPS6_NSA_22TransformInputIteratorIb7NonZeroIiEPilEENS0_5tupleIJPlS6_EEENSJ_IJSD_SD_EEES6_SK_JS6_EEE10hipError_tPvRmT3_T4_T5_T6_T7_T9_mT8_P12ihipStream_tbDpT10_ENKUlT_T0_E_clISt17integral_constantIbLb0EES15_IbLb1EEEEDaS11_S12_EUlS11_E_NS1_11comp_targetILNS1_3genE4ELNS1_11target_archE910ELNS1_3gpuE8ELNS1_3repE0EEENS1_30default_config_static_selectorELNS0_4arch9wavefront6targetE1EEEvT1_,"axG",@progbits,_ZN7rocprim17ROCPRIM_400000_NS6detail17trampoline_kernelINS0_14default_configENS1_25partition_config_selectorILNS1_17partition_subalgoE5ElNS0_10empty_typeEbEEZZNS1_14partition_implILS5_5ELb0ES3_mN6hipcub16HIPCUB_304000_NS21CountingInputIteratorIllEEPS6_NSA_22TransformInputIteratorIb7NonZeroIiEPilEENS0_5tupleIJPlS6_EEENSJ_IJSD_SD_EEES6_SK_JS6_EEE10hipError_tPvRmT3_T4_T5_T6_T7_T9_mT8_P12ihipStream_tbDpT10_ENKUlT_T0_E_clISt17integral_constantIbLb0EES15_IbLb1EEEEDaS11_S12_EUlS11_E_NS1_11comp_targetILNS1_3genE4ELNS1_11target_archE910ELNS1_3gpuE8ELNS1_3repE0EEENS1_30default_config_static_selectorELNS0_4arch9wavefront6targetE1EEEvT1_,comdat
.Lfunc_end211:
	.size	_ZN7rocprim17ROCPRIM_400000_NS6detail17trampoline_kernelINS0_14default_configENS1_25partition_config_selectorILNS1_17partition_subalgoE5ElNS0_10empty_typeEbEEZZNS1_14partition_implILS5_5ELb0ES3_mN6hipcub16HIPCUB_304000_NS21CountingInputIteratorIllEEPS6_NSA_22TransformInputIteratorIb7NonZeroIiEPilEENS0_5tupleIJPlS6_EEENSJ_IJSD_SD_EEES6_SK_JS6_EEE10hipError_tPvRmT3_T4_T5_T6_T7_T9_mT8_P12ihipStream_tbDpT10_ENKUlT_T0_E_clISt17integral_constantIbLb0EES15_IbLb1EEEEDaS11_S12_EUlS11_E_NS1_11comp_targetILNS1_3genE4ELNS1_11target_archE910ELNS1_3gpuE8ELNS1_3repE0EEENS1_30default_config_static_selectorELNS0_4arch9wavefront6targetE1EEEvT1_, .Lfunc_end211-_ZN7rocprim17ROCPRIM_400000_NS6detail17trampoline_kernelINS0_14default_configENS1_25partition_config_selectorILNS1_17partition_subalgoE5ElNS0_10empty_typeEbEEZZNS1_14partition_implILS5_5ELb0ES3_mN6hipcub16HIPCUB_304000_NS21CountingInputIteratorIllEEPS6_NSA_22TransformInputIteratorIb7NonZeroIiEPilEENS0_5tupleIJPlS6_EEENSJ_IJSD_SD_EEES6_SK_JS6_EEE10hipError_tPvRmT3_T4_T5_T6_T7_T9_mT8_P12ihipStream_tbDpT10_ENKUlT_T0_E_clISt17integral_constantIbLb0EES15_IbLb1EEEEDaS11_S12_EUlS11_E_NS1_11comp_targetILNS1_3genE4ELNS1_11target_archE910ELNS1_3gpuE8ELNS1_3repE0EEENS1_30default_config_static_selectorELNS0_4arch9wavefront6targetE1EEEvT1_
                                        ; -- End function
	.set _ZN7rocprim17ROCPRIM_400000_NS6detail17trampoline_kernelINS0_14default_configENS1_25partition_config_selectorILNS1_17partition_subalgoE5ElNS0_10empty_typeEbEEZZNS1_14partition_implILS5_5ELb0ES3_mN6hipcub16HIPCUB_304000_NS21CountingInputIteratorIllEEPS6_NSA_22TransformInputIteratorIb7NonZeroIiEPilEENS0_5tupleIJPlS6_EEENSJ_IJSD_SD_EEES6_SK_JS6_EEE10hipError_tPvRmT3_T4_T5_T6_T7_T9_mT8_P12ihipStream_tbDpT10_ENKUlT_T0_E_clISt17integral_constantIbLb0EES15_IbLb1EEEEDaS11_S12_EUlS11_E_NS1_11comp_targetILNS1_3genE4ELNS1_11target_archE910ELNS1_3gpuE8ELNS1_3repE0EEENS1_30default_config_static_selectorELNS0_4arch9wavefront6targetE1EEEvT1_.num_vgpr, 0
	.set _ZN7rocprim17ROCPRIM_400000_NS6detail17trampoline_kernelINS0_14default_configENS1_25partition_config_selectorILNS1_17partition_subalgoE5ElNS0_10empty_typeEbEEZZNS1_14partition_implILS5_5ELb0ES3_mN6hipcub16HIPCUB_304000_NS21CountingInputIteratorIllEEPS6_NSA_22TransformInputIteratorIb7NonZeroIiEPilEENS0_5tupleIJPlS6_EEENSJ_IJSD_SD_EEES6_SK_JS6_EEE10hipError_tPvRmT3_T4_T5_T6_T7_T9_mT8_P12ihipStream_tbDpT10_ENKUlT_T0_E_clISt17integral_constantIbLb0EES15_IbLb1EEEEDaS11_S12_EUlS11_E_NS1_11comp_targetILNS1_3genE4ELNS1_11target_archE910ELNS1_3gpuE8ELNS1_3repE0EEENS1_30default_config_static_selectorELNS0_4arch9wavefront6targetE1EEEvT1_.num_agpr, 0
	.set _ZN7rocprim17ROCPRIM_400000_NS6detail17trampoline_kernelINS0_14default_configENS1_25partition_config_selectorILNS1_17partition_subalgoE5ElNS0_10empty_typeEbEEZZNS1_14partition_implILS5_5ELb0ES3_mN6hipcub16HIPCUB_304000_NS21CountingInputIteratorIllEEPS6_NSA_22TransformInputIteratorIb7NonZeroIiEPilEENS0_5tupleIJPlS6_EEENSJ_IJSD_SD_EEES6_SK_JS6_EEE10hipError_tPvRmT3_T4_T5_T6_T7_T9_mT8_P12ihipStream_tbDpT10_ENKUlT_T0_E_clISt17integral_constantIbLb0EES15_IbLb1EEEEDaS11_S12_EUlS11_E_NS1_11comp_targetILNS1_3genE4ELNS1_11target_archE910ELNS1_3gpuE8ELNS1_3repE0EEENS1_30default_config_static_selectorELNS0_4arch9wavefront6targetE1EEEvT1_.numbered_sgpr, 0
	.set _ZN7rocprim17ROCPRIM_400000_NS6detail17trampoline_kernelINS0_14default_configENS1_25partition_config_selectorILNS1_17partition_subalgoE5ElNS0_10empty_typeEbEEZZNS1_14partition_implILS5_5ELb0ES3_mN6hipcub16HIPCUB_304000_NS21CountingInputIteratorIllEEPS6_NSA_22TransformInputIteratorIb7NonZeroIiEPilEENS0_5tupleIJPlS6_EEENSJ_IJSD_SD_EEES6_SK_JS6_EEE10hipError_tPvRmT3_T4_T5_T6_T7_T9_mT8_P12ihipStream_tbDpT10_ENKUlT_T0_E_clISt17integral_constantIbLb0EES15_IbLb1EEEEDaS11_S12_EUlS11_E_NS1_11comp_targetILNS1_3genE4ELNS1_11target_archE910ELNS1_3gpuE8ELNS1_3repE0EEENS1_30default_config_static_selectorELNS0_4arch9wavefront6targetE1EEEvT1_.num_named_barrier, 0
	.set _ZN7rocprim17ROCPRIM_400000_NS6detail17trampoline_kernelINS0_14default_configENS1_25partition_config_selectorILNS1_17partition_subalgoE5ElNS0_10empty_typeEbEEZZNS1_14partition_implILS5_5ELb0ES3_mN6hipcub16HIPCUB_304000_NS21CountingInputIteratorIllEEPS6_NSA_22TransformInputIteratorIb7NonZeroIiEPilEENS0_5tupleIJPlS6_EEENSJ_IJSD_SD_EEES6_SK_JS6_EEE10hipError_tPvRmT3_T4_T5_T6_T7_T9_mT8_P12ihipStream_tbDpT10_ENKUlT_T0_E_clISt17integral_constantIbLb0EES15_IbLb1EEEEDaS11_S12_EUlS11_E_NS1_11comp_targetILNS1_3genE4ELNS1_11target_archE910ELNS1_3gpuE8ELNS1_3repE0EEENS1_30default_config_static_selectorELNS0_4arch9wavefront6targetE1EEEvT1_.private_seg_size, 0
	.set _ZN7rocprim17ROCPRIM_400000_NS6detail17trampoline_kernelINS0_14default_configENS1_25partition_config_selectorILNS1_17partition_subalgoE5ElNS0_10empty_typeEbEEZZNS1_14partition_implILS5_5ELb0ES3_mN6hipcub16HIPCUB_304000_NS21CountingInputIteratorIllEEPS6_NSA_22TransformInputIteratorIb7NonZeroIiEPilEENS0_5tupleIJPlS6_EEENSJ_IJSD_SD_EEES6_SK_JS6_EEE10hipError_tPvRmT3_T4_T5_T6_T7_T9_mT8_P12ihipStream_tbDpT10_ENKUlT_T0_E_clISt17integral_constantIbLb0EES15_IbLb1EEEEDaS11_S12_EUlS11_E_NS1_11comp_targetILNS1_3genE4ELNS1_11target_archE910ELNS1_3gpuE8ELNS1_3repE0EEENS1_30default_config_static_selectorELNS0_4arch9wavefront6targetE1EEEvT1_.uses_vcc, 0
	.set _ZN7rocprim17ROCPRIM_400000_NS6detail17trampoline_kernelINS0_14default_configENS1_25partition_config_selectorILNS1_17partition_subalgoE5ElNS0_10empty_typeEbEEZZNS1_14partition_implILS5_5ELb0ES3_mN6hipcub16HIPCUB_304000_NS21CountingInputIteratorIllEEPS6_NSA_22TransformInputIteratorIb7NonZeroIiEPilEENS0_5tupleIJPlS6_EEENSJ_IJSD_SD_EEES6_SK_JS6_EEE10hipError_tPvRmT3_T4_T5_T6_T7_T9_mT8_P12ihipStream_tbDpT10_ENKUlT_T0_E_clISt17integral_constantIbLb0EES15_IbLb1EEEEDaS11_S12_EUlS11_E_NS1_11comp_targetILNS1_3genE4ELNS1_11target_archE910ELNS1_3gpuE8ELNS1_3repE0EEENS1_30default_config_static_selectorELNS0_4arch9wavefront6targetE1EEEvT1_.uses_flat_scratch, 0
	.set _ZN7rocprim17ROCPRIM_400000_NS6detail17trampoline_kernelINS0_14default_configENS1_25partition_config_selectorILNS1_17partition_subalgoE5ElNS0_10empty_typeEbEEZZNS1_14partition_implILS5_5ELb0ES3_mN6hipcub16HIPCUB_304000_NS21CountingInputIteratorIllEEPS6_NSA_22TransformInputIteratorIb7NonZeroIiEPilEENS0_5tupleIJPlS6_EEENSJ_IJSD_SD_EEES6_SK_JS6_EEE10hipError_tPvRmT3_T4_T5_T6_T7_T9_mT8_P12ihipStream_tbDpT10_ENKUlT_T0_E_clISt17integral_constantIbLb0EES15_IbLb1EEEEDaS11_S12_EUlS11_E_NS1_11comp_targetILNS1_3genE4ELNS1_11target_archE910ELNS1_3gpuE8ELNS1_3repE0EEENS1_30default_config_static_selectorELNS0_4arch9wavefront6targetE1EEEvT1_.has_dyn_sized_stack, 0
	.set _ZN7rocprim17ROCPRIM_400000_NS6detail17trampoline_kernelINS0_14default_configENS1_25partition_config_selectorILNS1_17partition_subalgoE5ElNS0_10empty_typeEbEEZZNS1_14partition_implILS5_5ELb0ES3_mN6hipcub16HIPCUB_304000_NS21CountingInputIteratorIllEEPS6_NSA_22TransformInputIteratorIb7NonZeroIiEPilEENS0_5tupleIJPlS6_EEENSJ_IJSD_SD_EEES6_SK_JS6_EEE10hipError_tPvRmT3_T4_T5_T6_T7_T9_mT8_P12ihipStream_tbDpT10_ENKUlT_T0_E_clISt17integral_constantIbLb0EES15_IbLb1EEEEDaS11_S12_EUlS11_E_NS1_11comp_targetILNS1_3genE4ELNS1_11target_archE910ELNS1_3gpuE8ELNS1_3repE0EEENS1_30default_config_static_selectorELNS0_4arch9wavefront6targetE1EEEvT1_.has_recursion, 0
	.set _ZN7rocprim17ROCPRIM_400000_NS6detail17trampoline_kernelINS0_14default_configENS1_25partition_config_selectorILNS1_17partition_subalgoE5ElNS0_10empty_typeEbEEZZNS1_14partition_implILS5_5ELb0ES3_mN6hipcub16HIPCUB_304000_NS21CountingInputIteratorIllEEPS6_NSA_22TransformInputIteratorIb7NonZeroIiEPilEENS0_5tupleIJPlS6_EEENSJ_IJSD_SD_EEES6_SK_JS6_EEE10hipError_tPvRmT3_T4_T5_T6_T7_T9_mT8_P12ihipStream_tbDpT10_ENKUlT_T0_E_clISt17integral_constantIbLb0EES15_IbLb1EEEEDaS11_S12_EUlS11_E_NS1_11comp_targetILNS1_3genE4ELNS1_11target_archE910ELNS1_3gpuE8ELNS1_3repE0EEENS1_30default_config_static_selectorELNS0_4arch9wavefront6targetE1EEEvT1_.has_indirect_call, 0
	.section	.AMDGPU.csdata,"",@progbits
; Kernel info:
; codeLenInByte = 0
; TotalNumSgprs: 4
; NumVgprs: 0
; ScratchSize: 0
; MemoryBound: 0
; FloatMode: 240
; IeeeMode: 1
; LDSByteSize: 0 bytes/workgroup (compile time only)
; SGPRBlocks: 0
; VGPRBlocks: 0
; NumSGPRsForWavesPerEU: 4
; NumVGPRsForWavesPerEU: 1
; Occupancy: 10
; WaveLimiterHint : 0
; COMPUTE_PGM_RSRC2:SCRATCH_EN: 0
; COMPUTE_PGM_RSRC2:USER_SGPR: 6
; COMPUTE_PGM_RSRC2:TRAP_HANDLER: 0
; COMPUTE_PGM_RSRC2:TGID_X_EN: 1
; COMPUTE_PGM_RSRC2:TGID_Y_EN: 0
; COMPUTE_PGM_RSRC2:TGID_Z_EN: 0
; COMPUTE_PGM_RSRC2:TIDIG_COMP_CNT: 0
	.section	.text._ZN7rocprim17ROCPRIM_400000_NS6detail17trampoline_kernelINS0_14default_configENS1_25partition_config_selectorILNS1_17partition_subalgoE5ElNS0_10empty_typeEbEEZZNS1_14partition_implILS5_5ELb0ES3_mN6hipcub16HIPCUB_304000_NS21CountingInputIteratorIllEEPS6_NSA_22TransformInputIteratorIb7NonZeroIiEPilEENS0_5tupleIJPlS6_EEENSJ_IJSD_SD_EEES6_SK_JS6_EEE10hipError_tPvRmT3_T4_T5_T6_T7_T9_mT8_P12ihipStream_tbDpT10_ENKUlT_T0_E_clISt17integral_constantIbLb0EES15_IbLb1EEEEDaS11_S12_EUlS11_E_NS1_11comp_targetILNS1_3genE3ELNS1_11target_archE908ELNS1_3gpuE7ELNS1_3repE0EEENS1_30default_config_static_selectorELNS0_4arch9wavefront6targetE1EEEvT1_,"axG",@progbits,_ZN7rocprim17ROCPRIM_400000_NS6detail17trampoline_kernelINS0_14default_configENS1_25partition_config_selectorILNS1_17partition_subalgoE5ElNS0_10empty_typeEbEEZZNS1_14partition_implILS5_5ELb0ES3_mN6hipcub16HIPCUB_304000_NS21CountingInputIteratorIllEEPS6_NSA_22TransformInputIteratorIb7NonZeroIiEPilEENS0_5tupleIJPlS6_EEENSJ_IJSD_SD_EEES6_SK_JS6_EEE10hipError_tPvRmT3_T4_T5_T6_T7_T9_mT8_P12ihipStream_tbDpT10_ENKUlT_T0_E_clISt17integral_constantIbLb0EES15_IbLb1EEEEDaS11_S12_EUlS11_E_NS1_11comp_targetILNS1_3genE3ELNS1_11target_archE908ELNS1_3gpuE7ELNS1_3repE0EEENS1_30default_config_static_selectorELNS0_4arch9wavefront6targetE1EEEvT1_,comdat
	.protected	_ZN7rocprim17ROCPRIM_400000_NS6detail17trampoline_kernelINS0_14default_configENS1_25partition_config_selectorILNS1_17partition_subalgoE5ElNS0_10empty_typeEbEEZZNS1_14partition_implILS5_5ELb0ES3_mN6hipcub16HIPCUB_304000_NS21CountingInputIteratorIllEEPS6_NSA_22TransformInputIteratorIb7NonZeroIiEPilEENS0_5tupleIJPlS6_EEENSJ_IJSD_SD_EEES6_SK_JS6_EEE10hipError_tPvRmT3_T4_T5_T6_T7_T9_mT8_P12ihipStream_tbDpT10_ENKUlT_T0_E_clISt17integral_constantIbLb0EES15_IbLb1EEEEDaS11_S12_EUlS11_E_NS1_11comp_targetILNS1_3genE3ELNS1_11target_archE908ELNS1_3gpuE7ELNS1_3repE0EEENS1_30default_config_static_selectorELNS0_4arch9wavefront6targetE1EEEvT1_ ; -- Begin function _ZN7rocprim17ROCPRIM_400000_NS6detail17trampoline_kernelINS0_14default_configENS1_25partition_config_selectorILNS1_17partition_subalgoE5ElNS0_10empty_typeEbEEZZNS1_14partition_implILS5_5ELb0ES3_mN6hipcub16HIPCUB_304000_NS21CountingInputIteratorIllEEPS6_NSA_22TransformInputIteratorIb7NonZeroIiEPilEENS0_5tupleIJPlS6_EEENSJ_IJSD_SD_EEES6_SK_JS6_EEE10hipError_tPvRmT3_T4_T5_T6_T7_T9_mT8_P12ihipStream_tbDpT10_ENKUlT_T0_E_clISt17integral_constantIbLb0EES15_IbLb1EEEEDaS11_S12_EUlS11_E_NS1_11comp_targetILNS1_3genE3ELNS1_11target_archE908ELNS1_3gpuE7ELNS1_3repE0EEENS1_30default_config_static_selectorELNS0_4arch9wavefront6targetE1EEEvT1_
	.globl	_ZN7rocprim17ROCPRIM_400000_NS6detail17trampoline_kernelINS0_14default_configENS1_25partition_config_selectorILNS1_17partition_subalgoE5ElNS0_10empty_typeEbEEZZNS1_14partition_implILS5_5ELb0ES3_mN6hipcub16HIPCUB_304000_NS21CountingInputIteratorIllEEPS6_NSA_22TransformInputIteratorIb7NonZeroIiEPilEENS0_5tupleIJPlS6_EEENSJ_IJSD_SD_EEES6_SK_JS6_EEE10hipError_tPvRmT3_T4_T5_T6_T7_T9_mT8_P12ihipStream_tbDpT10_ENKUlT_T0_E_clISt17integral_constantIbLb0EES15_IbLb1EEEEDaS11_S12_EUlS11_E_NS1_11comp_targetILNS1_3genE3ELNS1_11target_archE908ELNS1_3gpuE7ELNS1_3repE0EEENS1_30default_config_static_selectorELNS0_4arch9wavefront6targetE1EEEvT1_
	.p2align	8
	.type	_ZN7rocprim17ROCPRIM_400000_NS6detail17trampoline_kernelINS0_14default_configENS1_25partition_config_selectorILNS1_17partition_subalgoE5ElNS0_10empty_typeEbEEZZNS1_14partition_implILS5_5ELb0ES3_mN6hipcub16HIPCUB_304000_NS21CountingInputIteratorIllEEPS6_NSA_22TransformInputIteratorIb7NonZeroIiEPilEENS0_5tupleIJPlS6_EEENSJ_IJSD_SD_EEES6_SK_JS6_EEE10hipError_tPvRmT3_T4_T5_T6_T7_T9_mT8_P12ihipStream_tbDpT10_ENKUlT_T0_E_clISt17integral_constantIbLb0EES15_IbLb1EEEEDaS11_S12_EUlS11_E_NS1_11comp_targetILNS1_3genE3ELNS1_11target_archE908ELNS1_3gpuE7ELNS1_3repE0EEENS1_30default_config_static_selectorELNS0_4arch9wavefront6targetE1EEEvT1_,@function
_ZN7rocprim17ROCPRIM_400000_NS6detail17trampoline_kernelINS0_14default_configENS1_25partition_config_selectorILNS1_17partition_subalgoE5ElNS0_10empty_typeEbEEZZNS1_14partition_implILS5_5ELb0ES3_mN6hipcub16HIPCUB_304000_NS21CountingInputIteratorIllEEPS6_NSA_22TransformInputIteratorIb7NonZeroIiEPilEENS0_5tupleIJPlS6_EEENSJ_IJSD_SD_EEES6_SK_JS6_EEE10hipError_tPvRmT3_T4_T5_T6_T7_T9_mT8_P12ihipStream_tbDpT10_ENKUlT_T0_E_clISt17integral_constantIbLb0EES15_IbLb1EEEEDaS11_S12_EUlS11_E_NS1_11comp_targetILNS1_3genE3ELNS1_11target_archE908ELNS1_3gpuE7ELNS1_3repE0EEENS1_30default_config_static_selectorELNS0_4arch9wavefront6targetE1EEEvT1_: ; @_ZN7rocprim17ROCPRIM_400000_NS6detail17trampoline_kernelINS0_14default_configENS1_25partition_config_selectorILNS1_17partition_subalgoE5ElNS0_10empty_typeEbEEZZNS1_14partition_implILS5_5ELb0ES3_mN6hipcub16HIPCUB_304000_NS21CountingInputIteratorIllEEPS6_NSA_22TransformInputIteratorIb7NonZeroIiEPilEENS0_5tupleIJPlS6_EEENSJ_IJSD_SD_EEES6_SK_JS6_EEE10hipError_tPvRmT3_T4_T5_T6_T7_T9_mT8_P12ihipStream_tbDpT10_ENKUlT_T0_E_clISt17integral_constantIbLb0EES15_IbLb1EEEEDaS11_S12_EUlS11_E_NS1_11comp_targetILNS1_3genE3ELNS1_11target_archE908ELNS1_3gpuE7ELNS1_3repE0EEENS1_30default_config_static_selectorELNS0_4arch9wavefront6targetE1EEEvT1_
; %bb.0:
	.section	.rodata,"a",@progbits
	.p2align	6, 0x0
	.amdhsa_kernel _ZN7rocprim17ROCPRIM_400000_NS6detail17trampoline_kernelINS0_14default_configENS1_25partition_config_selectorILNS1_17partition_subalgoE5ElNS0_10empty_typeEbEEZZNS1_14partition_implILS5_5ELb0ES3_mN6hipcub16HIPCUB_304000_NS21CountingInputIteratorIllEEPS6_NSA_22TransformInputIteratorIb7NonZeroIiEPilEENS0_5tupleIJPlS6_EEENSJ_IJSD_SD_EEES6_SK_JS6_EEE10hipError_tPvRmT3_T4_T5_T6_T7_T9_mT8_P12ihipStream_tbDpT10_ENKUlT_T0_E_clISt17integral_constantIbLb0EES15_IbLb1EEEEDaS11_S12_EUlS11_E_NS1_11comp_targetILNS1_3genE3ELNS1_11target_archE908ELNS1_3gpuE7ELNS1_3repE0EEENS1_30default_config_static_selectorELNS0_4arch9wavefront6targetE1EEEvT1_
		.amdhsa_group_segment_fixed_size 0
		.amdhsa_private_segment_fixed_size 0
		.amdhsa_kernarg_size 136
		.amdhsa_user_sgpr_count 6
		.amdhsa_user_sgpr_private_segment_buffer 1
		.amdhsa_user_sgpr_dispatch_ptr 0
		.amdhsa_user_sgpr_queue_ptr 0
		.amdhsa_user_sgpr_kernarg_segment_ptr 1
		.amdhsa_user_sgpr_dispatch_id 0
		.amdhsa_user_sgpr_flat_scratch_init 0
		.amdhsa_user_sgpr_private_segment_size 0
		.amdhsa_uses_dynamic_stack 0
		.amdhsa_system_sgpr_private_segment_wavefront_offset 0
		.amdhsa_system_sgpr_workgroup_id_x 1
		.amdhsa_system_sgpr_workgroup_id_y 0
		.amdhsa_system_sgpr_workgroup_id_z 0
		.amdhsa_system_sgpr_workgroup_info 0
		.amdhsa_system_vgpr_workitem_id 0
		.amdhsa_next_free_vgpr 1
		.amdhsa_next_free_sgpr 0
		.amdhsa_reserve_vcc 0
		.amdhsa_reserve_flat_scratch 0
		.amdhsa_float_round_mode_32 0
		.amdhsa_float_round_mode_16_64 0
		.amdhsa_float_denorm_mode_32 3
		.amdhsa_float_denorm_mode_16_64 3
		.amdhsa_dx10_clamp 1
		.amdhsa_ieee_mode 1
		.amdhsa_fp16_overflow 0
		.amdhsa_exception_fp_ieee_invalid_op 0
		.amdhsa_exception_fp_denorm_src 0
		.amdhsa_exception_fp_ieee_div_zero 0
		.amdhsa_exception_fp_ieee_overflow 0
		.amdhsa_exception_fp_ieee_underflow 0
		.amdhsa_exception_fp_ieee_inexact 0
		.amdhsa_exception_int_div_zero 0
	.end_amdhsa_kernel
	.section	.text._ZN7rocprim17ROCPRIM_400000_NS6detail17trampoline_kernelINS0_14default_configENS1_25partition_config_selectorILNS1_17partition_subalgoE5ElNS0_10empty_typeEbEEZZNS1_14partition_implILS5_5ELb0ES3_mN6hipcub16HIPCUB_304000_NS21CountingInputIteratorIllEEPS6_NSA_22TransformInputIteratorIb7NonZeroIiEPilEENS0_5tupleIJPlS6_EEENSJ_IJSD_SD_EEES6_SK_JS6_EEE10hipError_tPvRmT3_T4_T5_T6_T7_T9_mT8_P12ihipStream_tbDpT10_ENKUlT_T0_E_clISt17integral_constantIbLb0EES15_IbLb1EEEEDaS11_S12_EUlS11_E_NS1_11comp_targetILNS1_3genE3ELNS1_11target_archE908ELNS1_3gpuE7ELNS1_3repE0EEENS1_30default_config_static_selectorELNS0_4arch9wavefront6targetE1EEEvT1_,"axG",@progbits,_ZN7rocprim17ROCPRIM_400000_NS6detail17trampoline_kernelINS0_14default_configENS1_25partition_config_selectorILNS1_17partition_subalgoE5ElNS0_10empty_typeEbEEZZNS1_14partition_implILS5_5ELb0ES3_mN6hipcub16HIPCUB_304000_NS21CountingInputIteratorIllEEPS6_NSA_22TransformInputIteratorIb7NonZeroIiEPilEENS0_5tupleIJPlS6_EEENSJ_IJSD_SD_EEES6_SK_JS6_EEE10hipError_tPvRmT3_T4_T5_T6_T7_T9_mT8_P12ihipStream_tbDpT10_ENKUlT_T0_E_clISt17integral_constantIbLb0EES15_IbLb1EEEEDaS11_S12_EUlS11_E_NS1_11comp_targetILNS1_3genE3ELNS1_11target_archE908ELNS1_3gpuE7ELNS1_3repE0EEENS1_30default_config_static_selectorELNS0_4arch9wavefront6targetE1EEEvT1_,comdat
.Lfunc_end212:
	.size	_ZN7rocprim17ROCPRIM_400000_NS6detail17trampoline_kernelINS0_14default_configENS1_25partition_config_selectorILNS1_17partition_subalgoE5ElNS0_10empty_typeEbEEZZNS1_14partition_implILS5_5ELb0ES3_mN6hipcub16HIPCUB_304000_NS21CountingInputIteratorIllEEPS6_NSA_22TransformInputIteratorIb7NonZeroIiEPilEENS0_5tupleIJPlS6_EEENSJ_IJSD_SD_EEES6_SK_JS6_EEE10hipError_tPvRmT3_T4_T5_T6_T7_T9_mT8_P12ihipStream_tbDpT10_ENKUlT_T0_E_clISt17integral_constantIbLb0EES15_IbLb1EEEEDaS11_S12_EUlS11_E_NS1_11comp_targetILNS1_3genE3ELNS1_11target_archE908ELNS1_3gpuE7ELNS1_3repE0EEENS1_30default_config_static_selectorELNS0_4arch9wavefront6targetE1EEEvT1_, .Lfunc_end212-_ZN7rocprim17ROCPRIM_400000_NS6detail17trampoline_kernelINS0_14default_configENS1_25partition_config_selectorILNS1_17partition_subalgoE5ElNS0_10empty_typeEbEEZZNS1_14partition_implILS5_5ELb0ES3_mN6hipcub16HIPCUB_304000_NS21CountingInputIteratorIllEEPS6_NSA_22TransformInputIteratorIb7NonZeroIiEPilEENS0_5tupleIJPlS6_EEENSJ_IJSD_SD_EEES6_SK_JS6_EEE10hipError_tPvRmT3_T4_T5_T6_T7_T9_mT8_P12ihipStream_tbDpT10_ENKUlT_T0_E_clISt17integral_constantIbLb0EES15_IbLb1EEEEDaS11_S12_EUlS11_E_NS1_11comp_targetILNS1_3genE3ELNS1_11target_archE908ELNS1_3gpuE7ELNS1_3repE0EEENS1_30default_config_static_selectorELNS0_4arch9wavefront6targetE1EEEvT1_
                                        ; -- End function
	.set _ZN7rocprim17ROCPRIM_400000_NS6detail17trampoline_kernelINS0_14default_configENS1_25partition_config_selectorILNS1_17partition_subalgoE5ElNS0_10empty_typeEbEEZZNS1_14partition_implILS5_5ELb0ES3_mN6hipcub16HIPCUB_304000_NS21CountingInputIteratorIllEEPS6_NSA_22TransformInputIteratorIb7NonZeroIiEPilEENS0_5tupleIJPlS6_EEENSJ_IJSD_SD_EEES6_SK_JS6_EEE10hipError_tPvRmT3_T4_T5_T6_T7_T9_mT8_P12ihipStream_tbDpT10_ENKUlT_T0_E_clISt17integral_constantIbLb0EES15_IbLb1EEEEDaS11_S12_EUlS11_E_NS1_11comp_targetILNS1_3genE3ELNS1_11target_archE908ELNS1_3gpuE7ELNS1_3repE0EEENS1_30default_config_static_selectorELNS0_4arch9wavefront6targetE1EEEvT1_.num_vgpr, 0
	.set _ZN7rocprim17ROCPRIM_400000_NS6detail17trampoline_kernelINS0_14default_configENS1_25partition_config_selectorILNS1_17partition_subalgoE5ElNS0_10empty_typeEbEEZZNS1_14partition_implILS5_5ELb0ES3_mN6hipcub16HIPCUB_304000_NS21CountingInputIteratorIllEEPS6_NSA_22TransformInputIteratorIb7NonZeroIiEPilEENS0_5tupleIJPlS6_EEENSJ_IJSD_SD_EEES6_SK_JS6_EEE10hipError_tPvRmT3_T4_T5_T6_T7_T9_mT8_P12ihipStream_tbDpT10_ENKUlT_T0_E_clISt17integral_constantIbLb0EES15_IbLb1EEEEDaS11_S12_EUlS11_E_NS1_11comp_targetILNS1_3genE3ELNS1_11target_archE908ELNS1_3gpuE7ELNS1_3repE0EEENS1_30default_config_static_selectorELNS0_4arch9wavefront6targetE1EEEvT1_.num_agpr, 0
	.set _ZN7rocprim17ROCPRIM_400000_NS6detail17trampoline_kernelINS0_14default_configENS1_25partition_config_selectorILNS1_17partition_subalgoE5ElNS0_10empty_typeEbEEZZNS1_14partition_implILS5_5ELb0ES3_mN6hipcub16HIPCUB_304000_NS21CountingInputIteratorIllEEPS6_NSA_22TransformInputIteratorIb7NonZeroIiEPilEENS0_5tupleIJPlS6_EEENSJ_IJSD_SD_EEES6_SK_JS6_EEE10hipError_tPvRmT3_T4_T5_T6_T7_T9_mT8_P12ihipStream_tbDpT10_ENKUlT_T0_E_clISt17integral_constantIbLb0EES15_IbLb1EEEEDaS11_S12_EUlS11_E_NS1_11comp_targetILNS1_3genE3ELNS1_11target_archE908ELNS1_3gpuE7ELNS1_3repE0EEENS1_30default_config_static_selectorELNS0_4arch9wavefront6targetE1EEEvT1_.numbered_sgpr, 0
	.set _ZN7rocprim17ROCPRIM_400000_NS6detail17trampoline_kernelINS0_14default_configENS1_25partition_config_selectorILNS1_17partition_subalgoE5ElNS0_10empty_typeEbEEZZNS1_14partition_implILS5_5ELb0ES3_mN6hipcub16HIPCUB_304000_NS21CountingInputIteratorIllEEPS6_NSA_22TransformInputIteratorIb7NonZeroIiEPilEENS0_5tupleIJPlS6_EEENSJ_IJSD_SD_EEES6_SK_JS6_EEE10hipError_tPvRmT3_T4_T5_T6_T7_T9_mT8_P12ihipStream_tbDpT10_ENKUlT_T0_E_clISt17integral_constantIbLb0EES15_IbLb1EEEEDaS11_S12_EUlS11_E_NS1_11comp_targetILNS1_3genE3ELNS1_11target_archE908ELNS1_3gpuE7ELNS1_3repE0EEENS1_30default_config_static_selectorELNS0_4arch9wavefront6targetE1EEEvT1_.num_named_barrier, 0
	.set _ZN7rocprim17ROCPRIM_400000_NS6detail17trampoline_kernelINS0_14default_configENS1_25partition_config_selectorILNS1_17partition_subalgoE5ElNS0_10empty_typeEbEEZZNS1_14partition_implILS5_5ELb0ES3_mN6hipcub16HIPCUB_304000_NS21CountingInputIteratorIllEEPS6_NSA_22TransformInputIteratorIb7NonZeroIiEPilEENS0_5tupleIJPlS6_EEENSJ_IJSD_SD_EEES6_SK_JS6_EEE10hipError_tPvRmT3_T4_T5_T6_T7_T9_mT8_P12ihipStream_tbDpT10_ENKUlT_T0_E_clISt17integral_constantIbLb0EES15_IbLb1EEEEDaS11_S12_EUlS11_E_NS1_11comp_targetILNS1_3genE3ELNS1_11target_archE908ELNS1_3gpuE7ELNS1_3repE0EEENS1_30default_config_static_selectorELNS0_4arch9wavefront6targetE1EEEvT1_.private_seg_size, 0
	.set _ZN7rocprim17ROCPRIM_400000_NS6detail17trampoline_kernelINS0_14default_configENS1_25partition_config_selectorILNS1_17partition_subalgoE5ElNS0_10empty_typeEbEEZZNS1_14partition_implILS5_5ELb0ES3_mN6hipcub16HIPCUB_304000_NS21CountingInputIteratorIllEEPS6_NSA_22TransformInputIteratorIb7NonZeroIiEPilEENS0_5tupleIJPlS6_EEENSJ_IJSD_SD_EEES6_SK_JS6_EEE10hipError_tPvRmT3_T4_T5_T6_T7_T9_mT8_P12ihipStream_tbDpT10_ENKUlT_T0_E_clISt17integral_constantIbLb0EES15_IbLb1EEEEDaS11_S12_EUlS11_E_NS1_11comp_targetILNS1_3genE3ELNS1_11target_archE908ELNS1_3gpuE7ELNS1_3repE0EEENS1_30default_config_static_selectorELNS0_4arch9wavefront6targetE1EEEvT1_.uses_vcc, 0
	.set _ZN7rocprim17ROCPRIM_400000_NS6detail17trampoline_kernelINS0_14default_configENS1_25partition_config_selectorILNS1_17partition_subalgoE5ElNS0_10empty_typeEbEEZZNS1_14partition_implILS5_5ELb0ES3_mN6hipcub16HIPCUB_304000_NS21CountingInputIteratorIllEEPS6_NSA_22TransformInputIteratorIb7NonZeroIiEPilEENS0_5tupleIJPlS6_EEENSJ_IJSD_SD_EEES6_SK_JS6_EEE10hipError_tPvRmT3_T4_T5_T6_T7_T9_mT8_P12ihipStream_tbDpT10_ENKUlT_T0_E_clISt17integral_constantIbLb0EES15_IbLb1EEEEDaS11_S12_EUlS11_E_NS1_11comp_targetILNS1_3genE3ELNS1_11target_archE908ELNS1_3gpuE7ELNS1_3repE0EEENS1_30default_config_static_selectorELNS0_4arch9wavefront6targetE1EEEvT1_.uses_flat_scratch, 0
	.set _ZN7rocprim17ROCPRIM_400000_NS6detail17trampoline_kernelINS0_14default_configENS1_25partition_config_selectorILNS1_17partition_subalgoE5ElNS0_10empty_typeEbEEZZNS1_14partition_implILS5_5ELb0ES3_mN6hipcub16HIPCUB_304000_NS21CountingInputIteratorIllEEPS6_NSA_22TransformInputIteratorIb7NonZeroIiEPilEENS0_5tupleIJPlS6_EEENSJ_IJSD_SD_EEES6_SK_JS6_EEE10hipError_tPvRmT3_T4_T5_T6_T7_T9_mT8_P12ihipStream_tbDpT10_ENKUlT_T0_E_clISt17integral_constantIbLb0EES15_IbLb1EEEEDaS11_S12_EUlS11_E_NS1_11comp_targetILNS1_3genE3ELNS1_11target_archE908ELNS1_3gpuE7ELNS1_3repE0EEENS1_30default_config_static_selectorELNS0_4arch9wavefront6targetE1EEEvT1_.has_dyn_sized_stack, 0
	.set _ZN7rocprim17ROCPRIM_400000_NS6detail17trampoline_kernelINS0_14default_configENS1_25partition_config_selectorILNS1_17partition_subalgoE5ElNS0_10empty_typeEbEEZZNS1_14partition_implILS5_5ELb0ES3_mN6hipcub16HIPCUB_304000_NS21CountingInputIteratorIllEEPS6_NSA_22TransformInputIteratorIb7NonZeroIiEPilEENS0_5tupleIJPlS6_EEENSJ_IJSD_SD_EEES6_SK_JS6_EEE10hipError_tPvRmT3_T4_T5_T6_T7_T9_mT8_P12ihipStream_tbDpT10_ENKUlT_T0_E_clISt17integral_constantIbLb0EES15_IbLb1EEEEDaS11_S12_EUlS11_E_NS1_11comp_targetILNS1_3genE3ELNS1_11target_archE908ELNS1_3gpuE7ELNS1_3repE0EEENS1_30default_config_static_selectorELNS0_4arch9wavefront6targetE1EEEvT1_.has_recursion, 0
	.set _ZN7rocprim17ROCPRIM_400000_NS6detail17trampoline_kernelINS0_14default_configENS1_25partition_config_selectorILNS1_17partition_subalgoE5ElNS0_10empty_typeEbEEZZNS1_14partition_implILS5_5ELb0ES3_mN6hipcub16HIPCUB_304000_NS21CountingInputIteratorIllEEPS6_NSA_22TransformInputIteratorIb7NonZeroIiEPilEENS0_5tupleIJPlS6_EEENSJ_IJSD_SD_EEES6_SK_JS6_EEE10hipError_tPvRmT3_T4_T5_T6_T7_T9_mT8_P12ihipStream_tbDpT10_ENKUlT_T0_E_clISt17integral_constantIbLb0EES15_IbLb1EEEEDaS11_S12_EUlS11_E_NS1_11comp_targetILNS1_3genE3ELNS1_11target_archE908ELNS1_3gpuE7ELNS1_3repE0EEENS1_30default_config_static_selectorELNS0_4arch9wavefront6targetE1EEEvT1_.has_indirect_call, 0
	.section	.AMDGPU.csdata,"",@progbits
; Kernel info:
; codeLenInByte = 0
; TotalNumSgprs: 4
; NumVgprs: 0
; ScratchSize: 0
; MemoryBound: 0
; FloatMode: 240
; IeeeMode: 1
; LDSByteSize: 0 bytes/workgroup (compile time only)
; SGPRBlocks: 0
; VGPRBlocks: 0
; NumSGPRsForWavesPerEU: 4
; NumVGPRsForWavesPerEU: 1
; Occupancy: 10
; WaveLimiterHint : 0
; COMPUTE_PGM_RSRC2:SCRATCH_EN: 0
; COMPUTE_PGM_RSRC2:USER_SGPR: 6
; COMPUTE_PGM_RSRC2:TRAP_HANDLER: 0
; COMPUTE_PGM_RSRC2:TGID_X_EN: 1
; COMPUTE_PGM_RSRC2:TGID_Y_EN: 0
; COMPUTE_PGM_RSRC2:TGID_Z_EN: 0
; COMPUTE_PGM_RSRC2:TIDIG_COMP_CNT: 0
	.section	.text._ZN7rocprim17ROCPRIM_400000_NS6detail17trampoline_kernelINS0_14default_configENS1_25partition_config_selectorILNS1_17partition_subalgoE5ElNS0_10empty_typeEbEEZZNS1_14partition_implILS5_5ELb0ES3_mN6hipcub16HIPCUB_304000_NS21CountingInputIteratorIllEEPS6_NSA_22TransformInputIteratorIb7NonZeroIiEPilEENS0_5tupleIJPlS6_EEENSJ_IJSD_SD_EEES6_SK_JS6_EEE10hipError_tPvRmT3_T4_T5_T6_T7_T9_mT8_P12ihipStream_tbDpT10_ENKUlT_T0_E_clISt17integral_constantIbLb0EES15_IbLb1EEEEDaS11_S12_EUlS11_E_NS1_11comp_targetILNS1_3genE2ELNS1_11target_archE906ELNS1_3gpuE6ELNS1_3repE0EEENS1_30default_config_static_selectorELNS0_4arch9wavefront6targetE1EEEvT1_,"axG",@progbits,_ZN7rocprim17ROCPRIM_400000_NS6detail17trampoline_kernelINS0_14default_configENS1_25partition_config_selectorILNS1_17partition_subalgoE5ElNS0_10empty_typeEbEEZZNS1_14partition_implILS5_5ELb0ES3_mN6hipcub16HIPCUB_304000_NS21CountingInputIteratorIllEEPS6_NSA_22TransformInputIteratorIb7NonZeroIiEPilEENS0_5tupleIJPlS6_EEENSJ_IJSD_SD_EEES6_SK_JS6_EEE10hipError_tPvRmT3_T4_T5_T6_T7_T9_mT8_P12ihipStream_tbDpT10_ENKUlT_T0_E_clISt17integral_constantIbLb0EES15_IbLb1EEEEDaS11_S12_EUlS11_E_NS1_11comp_targetILNS1_3genE2ELNS1_11target_archE906ELNS1_3gpuE6ELNS1_3repE0EEENS1_30default_config_static_selectorELNS0_4arch9wavefront6targetE1EEEvT1_,comdat
	.protected	_ZN7rocprim17ROCPRIM_400000_NS6detail17trampoline_kernelINS0_14default_configENS1_25partition_config_selectorILNS1_17partition_subalgoE5ElNS0_10empty_typeEbEEZZNS1_14partition_implILS5_5ELb0ES3_mN6hipcub16HIPCUB_304000_NS21CountingInputIteratorIllEEPS6_NSA_22TransformInputIteratorIb7NonZeroIiEPilEENS0_5tupleIJPlS6_EEENSJ_IJSD_SD_EEES6_SK_JS6_EEE10hipError_tPvRmT3_T4_T5_T6_T7_T9_mT8_P12ihipStream_tbDpT10_ENKUlT_T0_E_clISt17integral_constantIbLb0EES15_IbLb1EEEEDaS11_S12_EUlS11_E_NS1_11comp_targetILNS1_3genE2ELNS1_11target_archE906ELNS1_3gpuE6ELNS1_3repE0EEENS1_30default_config_static_selectorELNS0_4arch9wavefront6targetE1EEEvT1_ ; -- Begin function _ZN7rocprim17ROCPRIM_400000_NS6detail17trampoline_kernelINS0_14default_configENS1_25partition_config_selectorILNS1_17partition_subalgoE5ElNS0_10empty_typeEbEEZZNS1_14partition_implILS5_5ELb0ES3_mN6hipcub16HIPCUB_304000_NS21CountingInputIteratorIllEEPS6_NSA_22TransformInputIteratorIb7NonZeroIiEPilEENS0_5tupleIJPlS6_EEENSJ_IJSD_SD_EEES6_SK_JS6_EEE10hipError_tPvRmT3_T4_T5_T6_T7_T9_mT8_P12ihipStream_tbDpT10_ENKUlT_T0_E_clISt17integral_constantIbLb0EES15_IbLb1EEEEDaS11_S12_EUlS11_E_NS1_11comp_targetILNS1_3genE2ELNS1_11target_archE906ELNS1_3gpuE6ELNS1_3repE0EEENS1_30default_config_static_selectorELNS0_4arch9wavefront6targetE1EEEvT1_
	.globl	_ZN7rocprim17ROCPRIM_400000_NS6detail17trampoline_kernelINS0_14default_configENS1_25partition_config_selectorILNS1_17partition_subalgoE5ElNS0_10empty_typeEbEEZZNS1_14partition_implILS5_5ELb0ES3_mN6hipcub16HIPCUB_304000_NS21CountingInputIteratorIllEEPS6_NSA_22TransformInputIteratorIb7NonZeroIiEPilEENS0_5tupleIJPlS6_EEENSJ_IJSD_SD_EEES6_SK_JS6_EEE10hipError_tPvRmT3_T4_T5_T6_T7_T9_mT8_P12ihipStream_tbDpT10_ENKUlT_T0_E_clISt17integral_constantIbLb0EES15_IbLb1EEEEDaS11_S12_EUlS11_E_NS1_11comp_targetILNS1_3genE2ELNS1_11target_archE906ELNS1_3gpuE6ELNS1_3repE0EEENS1_30default_config_static_selectorELNS0_4arch9wavefront6targetE1EEEvT1_
	.p2align	8
	.type	_ZN7rocprim17ROCPRIM_400000_NS6detail17trampoline_kernelINS0_14default_configENS1_25partition_config_selectorILNS1_17partition_subalgoE5ElNS0_10empty_typeEbEEZZNS1_14partition_implILS5_5ELb0ES3_mN6hipcub16HIPCUB_304000_NS21CountingInputIteratorIllEEPS6_NSA_22TransformInputIteratorIb7NonZeroIiEPilEENS0_5tupleIJPlS6_EEENSJ_IJSD_SD_EEES6_SK_JS6_EEE10hipError_tPvRmT3_T4_T5_T6_T7_T9_mT8_P12ihipStream_tbDpT10_ENKUlT_T0_E_clISt17integral_constantIbLb0EES15_IbLb1EEEEDaS11_S12_EUlS11_E_NS1_11comp_targetILNS1_3genE2ELNS1_11target_archE906ELNS1_3gpuE6ELNS1_3repE0EEENS1_30default_config_static_selectorELNS0_4arch9wavefront6targetE1EEEvT1_,@function
_ZN7rocprim17ROCPRIM_400000_NS6detail17trampoline_kernelINS0_14default_configENS1_25partition_config_selectorILNS1_17partition_subalgoE5ElNS0_10empty_typeEbEEZZNS1_14partition_implILS5_5ELb0ES3_mN6hipcub16HIPCUB_304000_NS21CountingInputIteratorIllEEPS6_NSA_22TransformInputIteratorIb7NonZeroIiEPilEENS0_5tupleIJPlS6_EEENSJ_IJSD_SD_EEES6_SK_JS6_EEE10hipError_tPvRmT3_T4_T5_T6_T7_T9_mT8_P12ihipStream_tbDpT10_ENKUlT_T0_E_clISt17integral_constantIbLb0EES15_IbLb1EEEEDaS11_S12_EUlS11_E_NS1_11comp_targetILNS1_3genE2ELNS1_11target_archE906ELNS1_3gpuE6ELNS1_3repE0EEENS1_30default_config_static_selectorELNS0_4arch9wavefront6targetE1EEEvT1_: ; @_ZN7rocprim17ROCPRIM_400000_NS6detail17trampoline_kernelINS0_14default_configENS1_25partition_config_selectorILNS1_17partition_subalgoE5ElNS0_10empty_typeEbEEZZNS1_14partition_implILS5_5ELb0ES3_mN6hipcub16HIPCUB_304000_NS21CountingInputIteratorIllEEPS6_NSA_22TransformInputIteratorIb7NonZeroIiEPilEENS0_5tupleIJPlS6_EEENSJ_IJSD_SD_EEES6_SK_JS6_EEE10hipError_tPvRmT3_T4_T5_T6_T7_T9_mT8_P12ihipStream_tbDpT10_ENKUlT_T0_E_clISt17integral_constantIbLb0EES15_IbLb1EEEEDaS11_S12_EUlS11_E_NS1_11comp_targetILNS1_3genE2ELNS1_11target_archE906ELNS1_3gpuE6ELNS1_3repE0EEENS1_30default_config_static_selectorELNS0_4arch9wavefront6targetE1EEEvT1_
; %bb.0:
	s_load_dwordx2 s[6:7], s[4:5], 0x20
	s_load_dwordx2 s[16:17], s[4:5], 0x30
	;; [unrolled: 1-line block ×3, first 2 shown]
	s_load_dwordx4 s[8:11], s[4:5], 0x48
	s_load_dwordx2 s[20:21], s[4:5], 0x68
	v_cmp_eq_u32_e64 s[0:1], 0, v0
	s_and_saveexec_b64 s[12:13], s[0:1]
	s_cbranch_execz .LBB213_4
; %bb.1:
	s_mov_b64 s[18:19], exec
	v_mbcnt_lo_u32_b32 v1, s18, 0
	v_mbcnt_hi_u32_b32 v1, s19, v1
	v_cmp_eq_u32_e32 vcc, 0, v1
                                        ; implicit-def: $vgpr2
	s_and_saveexec_b64 s[14:15], vcc
	s_cbranch_execz .LBB213_3
; %bb.2:
	s_load_dwordx2 s[22:23], s[4:5], 0x78
	s_bcnt1_i32_b64 s18, s[18:19]
	v_mov_b32_e32 v2, 0
	v_mov_b32_e32 v3, s18
	s_waitcnt lgkmcnt(0)
	global_atomic_add v2, v2, v3, s[22:23] glc
.LBB213_3:
	s_or_b64 exec, exec, s[14:15]
	s_waitcnt vmcnt(0)
	v_readfirstlane_b32 s14, v2
	v_add_u32_e32 v1, s14, v1
	v_mov_b32_e32 v2, 0
	ds_write_b32 v2, v1
.LBB213_4:
	s_or_b64 exec, exec, s[12:13]
	v_mov_b32_e32 v1, 0
	s_load_dwordx4 s[12:15], s[4:5], 0x8
	s_load_dword s18, s[4:5], 0x70
	s_waitcnt lgkmcnt(0)
	s_barrier
	ds_read_b32 v5, v1
	s_waitcnt lgkmcnt(0)
	s_barrier
	global_load_dwordx2 v[1:2], v1, s[10:11]
	s_add_u32 s26, s14, s12
	s_mul_i32 s25, s18, 0x700
	s_addc_u32 s27, s15, s13
	s_add_i32 s18, s18, -1
	s_add_u32 s10, s14, s25
	s_addc_u32 s11, s15, 0
	v_mov_b32_e32 v3, s10
	v_mov_b32_e32 v4, s11
	v_readfirstlane_b32 s24, v5
	v_cmp_le_u64_e32 vcc, s[2:3], v[3:4]
	s_cmp_eq_u32 s24, s18
	s_cselect_b64 s[12:13], -1, 0
	s_and_b64 s[10:11], vcc, s[12:13]
	s_xor_b64 s[18:19], s[10:11], -1
	s_mov_b32 s5, 0
	s_mov_b64 s[22:23], -1
	s_mul_i32 s4, s24, 0x700
	s_and_b64 vcc, exec, s[18:19]
	s_waitcnt vmcnt(0)
	v_readfirstlane_b32 s10, v1
	v_readfirstlane_b32 s11, v2
	s_cbranch_vccz .LBB213_6
; %bb.5:
	s_add_u32 s3, s4, s26
	s_addc_u32 s22, 0, s27
	v_mov_b32_e32 v2, s22
	v_add_co_u32_e32 v1, vcc, s3, v0
	v_addc_co_u32_e32 v2, vcc, 0, v2, vcc
	v_add_co_u32_e32 v3, vcc, 0x100, v1
	v_addc_co_u32_e32 v4, vcc, 0, v2, vcc
	;; [unrolled: 2-line block ×6, first 2 shown]
	v_add_co_u32_e32 v13, vcc, 0x600, v1
	v_lshlrev_b32_e32 v15, 3, v0
	v_addc_co_u32_e32 v14, vcc, 0, v2, vcc
	ds_write2st64_b64 v15, v[1:2], v[3:4] offset1:4
	ds_write2st64_b64 v15, v[5:6], v[7:8] offset0:8 offset1:12
	ds_write2st64_b64 v15, v[9:10], v[11:12] offset0:16 offset1:20
	ds_write_b64 v15, v[13:14] offset:12288
	s_waitcnt lgkmcnt(0)
	s_barrier
	s_mov_b64 s[22:23], 0
.LBB213_6:
	s_andn2_b64 vcc, exec, s[22:23]
	s_cbranch_vccnz .LBB213_8
; %bb.7:
	s_add_u32 s3, s26, s4
	s_addc_u32 s22, s27, 0
	v_mov_b32_e32 v2, s22
	v_add_co_u32_e32 v1, vcc, s3, v0
	v_addc_co_u32_e32 v2, vcc, 0, v2, vcc
	v_or_b32_e32 v3, 0x100, v0
	v_mov_b32_e32 v4, s22
	v_add_co_u32_e32 v3, vcc, s3, v3
	v_addc_co_u32_e32 v4, vcc, 0, v4, vcc
	v_or_b32_e32 v5, 0x200, v0
	;; [unrolled: 4-line block ×6, first 2 shown]
	v_mov_b32_e32 v14, s22
	v_add_co_u32_e32 v13, vcc, s3, v13
	v_lshlrev_b32_e32 v15, 3, v0
	v_addc_co_u32_e32 v14, vcc, 0, v14, vcc
	ds_write2st64_b64 v15, v[1:2], v[3:4] offset1:4
	ds_write2st64_b64 v15, v[5:6], v[7:8] offset0:8 offset1:12
	ds_write2st64_b64 v15, v[9:10], v[11:12] offset0:16 offset1:20
	ds_write_b64 v15, v[13:14] offset:12288
	s_waitcnt lgkmcnt(0)
	s_barrier
.LBB213_8:
	v_mul_u32_u24_e32 v1, 7, v0
	v_lshlrev_b32_e32 v13, 3, v1
	ds_read_b64 v[21:22], v13 offset:48
	ds_read2_b64 v[1:4], v13 offset0:4 offset1:5
	ds_read2_b64 v[5:8], v13 offset0:2 offset1:3
	ds_read2_b64 v[9:12], v13 offset1:1
	s_lshl_b64 s[22:23], s[14:15], 2
	s_add_u32 s3, s6, s22
	s_addc_u32 s6, s7, s23
	s_lshl_b64 s[4:5], s[4:5], 2
	s_add_u32 s4, s3, s4
	s_addc_u32 s5, s6, s5
	s_mov_b64 s[6:7], -1
	s_and_b64 vcc, exec, s[18:19]
	v_lshlrev_b32_e32 v17, 2, v0
	s_waitcnt lgkmcnt(0)
	s_barrier
	s_cbranch_vccz .LBB213_10
; %bb.9:
	global_load_dword v16, v17, s[4:5]
	global_load_dword v18, v17, s[4:5] offset:1024
	v_mov_b32_e32 v14, s5
	v_add_co_u32_e32 v15, vcc, s4, v17
	v_addc_co_u32_e32 v19, vcc, 0, v14, vcc
	global_load_dword v20, v17, s[4:5] offset:2048
	global_load_dword v23, v17, s[4:5] offset:3072
	s_movk_i32 s3, 0x1000
	v_add_co_u32_e32 v14, vcc, s3, v15
	v_addc_co_u32_e32 v15, vcc, 0, v19, vcc
	global_load_dword v19, v[14:15], off
	global_load_dword v24, v[14:15], off offset:1024
	global_load_dword v25, v[14:15], off offset:2048
	s_mov_b64 s[6:7], 0
	s_waitcnt vmcnt(6)
	v_cmp_ne_u32_e32 vcc, 0, v16
	v_cndmask_b32_e64 v14, 0, 1, vcc
	s_waitcnt vmcnt(5)
	v_cmp_ne_u32_e32 vcc, 0, v18
	v_cndmask_b32_e64 v15, 0, 1, vcc
	;; [unrolled: 3-line block ×4, first 2 shown]
	ds_write_b8 v0, v14
	ds_write_b8 v0, v15 offset:256
	ds_write_b8 v0, v16 offset:512
	;; [unrolled: 1-line block ×3, first 2 shown]
	s_waitcnt vmcnt(2)
	v_cmp_ne_u32_e32 vcc, 0, v19
	v_cndmask_b32_e64 v14, 0, 1, vcc
	s_waitcnt vmcnt(1)
	v_cmp_ne_u32_e32 vcc, 0, v24
	v_cndmask_b32_e64 v15, 0, 1, vcc
	;; [unrolled: 3-line block ×3, first 2 shown]
	ds_write_b8 v0, v14 offset:1024
	ds_write_b8 v0, v15 offset:1280
	;; [unrolled: 1-line block ×3, first 2 shown]
	s_waitcnt lgkmcnt(0)
	s_barrier
.LBB213_10:
	s_andn2_b64 vcc, exec, s[6:7]
	s_cbranch_vccnz .LBB213_26
; %bb.11:
	s_add_i32 s25, s25, s14
	s_sub_i32 s6, s2, s25
	s_addk_i32 s6, 0x700
	v_mov_b32_e32 v14, 0
	v_cmp_gt_u32_e32 vcc, s6, v0
	s_mov_b32 s7, 0
	v_mov_b32_e32 v16, v14
	v_mov_b32_e32 v15, v14
	s_and_saveexec_b64 s[2:3], vcc
	s_cbranch_execz .LBB213_13
; %bb.12:
	global_load_dword v14, v17, s[4:5]
	v_mov_b32_e32 v16, s7
	s_waitcnt vmcnt(0)
	v_cmp_ne_u32_e32 vcc, 0, v14
	v_cndmask_b32_e64 v14, 0, 1, vcc
	v_mov_b32_e32 v15, v14
.LBB213_13:
	s_or_b64 exec, exec, s[2:3]
	v_or_b32_e32 v18, 0x100, v0
	v_cmp_gt_u32_e32 vcc, s6, v18
	s_and_saveexec_b64 s[2:3], vcc
	s_cbranch_execz .LBB213_15
; %bb.14:
	global_load_dword v18, v17, s[4:5] offset:1024
	v_mov_b32_e32 v19, 8
	v_lshrrev_b32_sdwa v19, v19, v16 dst_sel:BYTE_1 dst_unused:UNUSED_PAD src0_sel:DWORD src1_sel:DWORD
	v_bfe_u32 v20, v16, 16, 8
	v_lshrrev_b32_e32 v23, 16, v14
	s_mov_b32 s7, 0xc0c0304
	v_or_b32_sdwa v16, v16, v19 dst_sel:DWORD dst_unused:UNUSED_PAD src0_sel:BYTE_0 src1_sel:DWORD
	v_and_b32_e32 v16, 0xffff, v16
	v_lshl_or_b32 v16, v20, 16, v16
	s_waitcnt vmcnt(0)
	v_cmp_ne_u32_e32 vcc, 0, v18
	v_cndmask_b32_e64 v18, 0, 1, vcc
	v_lshlrev_b16_e32 v18, 8, v18
	v_or_b32_sdwa v18, v14, v18 dst_sel:DWORD dst_unused:UNUSED_PAD src0_sel:BYTE_0 src1_sel:DWORD
	v_and_b32_e32 v18, 0xffff, v18
	v_perm_b32 v14, v23, v14, s7
	v_lshl_or_b32 v14, v14, 16, v18
.LBB213_15:
	s_or_b64 exec, exec, s[2:3]
	v_or_b32_e32 v18, 0x200, v0
	v_cmp_gt_u32_e32 vcc, s6, v18
	s_and_saveexec_b64 s[2:3], vcc
	s_cbranch_execz .LBB213_17
; %bb.16:
	global_load_dword v18, v17, s[4:5] offset:2048
	v_mov_b32_e32 v19, 8
	v_lshrrev_b32_e32 v23, 24, v14
	v_lshrrev_b32_sdwa v19, v19, v16 dst_sel:BYTE_1 dst_unused:UNUSED_PAD src0_sel:DWORD src1_sel:DWORD
	v_bfe_u32 v20, v16, 16, 8
	s_mov_b32 s7, 0xc0c0104
	v_lshlrev_b16_e32 v23, 8, v23
	v_or_b32_sdwa v16, v16, v19 dst_sel:DWORD dst_unused:UNUSED_PAD src0_sel:BYTE_0 src1_sel:DWORD
	v_and_b32_e32 v16, 0xffff, v16
	v_perm_b32 v14, v14, v14, s7
	v_lshl_or_b32 v16, v20, 16, v16
	s_waitcnt vmcnt(0)
	v_cmp_ne_u32_e32 vcc, 0, v18
	v_cndmask_b32_e64 v18, 0, 1, vcc
	v_or_b32_sdwa v18, v18, v23 dst_sel:WORD_1 dst_unused:UNUSED_PAD src0_sel:DWORD src1_sel:DWORD
	v_or_b32_e32 v14, v14, v18
.LBB213_17:
	s_or_b64 exec, exec, s[2:3]
	v_or_b32_e32 v18, 0x300, v0
	v_cmp_gt_u32_e32 vcc, s6, v18
	s_and_saveexec_b64 s[2:3], vcc
	s_cbranch_execz .LBB213_19
; %bb.18:
	global_load_dword v17, v17, s[4:5] offset:3072
	v_mov_b32_e32 v18, 8
	s_movk_i32 s7, 0xff
	v_lshrrev_b32_sdwa v18, v18, v16 dst_sel:BYTE_1 dst_unused:UNUSED_PAD src0_sel:DWORD src1_sel:DWORD
	v_bfe_u32 v19, v16, 16, 8
	s_mov_b32 s14, 0xc0c0104
	v_and_b32_sdwa v20, v14, s7 dst_sel:DWORD dst_unused:UNUSED_PAD src0_sel:WORD_1 src1_sel:DWORD
	v_or_b32_sdwa v16, v16, v18 dst_sel:DWORD dst_unused:UNUSED_PAD src0_sel:BYTE_0 src1_sel:DWORD
	v_and_b32_e32 v16, 0xffff, v16
	v_perm_b32 v14, v14, v14, s14
	v_lshl_or_b32 v16, v19, 16, v16
	s_waitcnt vmcnt(0)
	v_cmp_ne_u32_e32 vcc, 0, v17
	v_cndmask_b32_e64 v17, 0, 1, vcc
	v_lshlrev_b16_e32 v17, 8, v17
	v_or_b32_sdwa v17, v20, v17 dst_sel:WORD_1 dst_unused:UNUSED_PAD src0_sel:DWORD src1_sel:DWORD
	v_or_b32_e32 v14, v14, v17
.LBB213_19:
	s_or_b64 exec, exec, s[2:3]
	v_or_b32_e32 v17, 0x400, v0
	v_cmp_gt_u32_e32 vcc, s6, v17
	s_and_saveexec_b64 s[2:3], vcc
	s_cbranch_execz .LBB213_21
; %bb.20:
	v_lshlrev_b32_e32 v17, 2, v17
	global_load_dword v17, v17, s[4:5]
	v_mov_b32_e32 v18, 8
	v_bfe_u32 v19, v16, 16, 8
	v_lshrrev_b32_sdwa v16, v18, v16 dst_sel:BYTE_1 dst_unused:UNUSED_PAD src0_sel:DWORD src1_sel:DWORD
	s_mov_b32 s7, 0x3020104
	v_perm_b32 v14, v14, v14, s7
	s_waitcnt vmcnt(0)
	v_cmp_ne_u32_e32 vcc, 0, v17
	v_cndmask_b32_e64 v17, 0, 1, vcc
	v_or_b32_e32 v16, v17, v16
	v_and_b32_e32 v16, 0xffff, v16
	v_lshl_or_b32 v16, v19, 16, v16
.LBB213_21:
	s_or_b64 exec, exec, s[2:3]
	v_or_b32_e32 v17, 0x500, v0
	v_cmp_gt_u32_e32 vcc, s6, v17
	s_and_saveexec_b64 s[2:3], vcc
	s_cbranch_execz .LBB213_23
; %bb.22:
	v_lshlrev_b32_e32 v17, 2, v17
	global_load_dword v17, v17, s[4:5]
	v_bfe_u32 v18, v16, 16, 8
	s_mov_b32 s7, 0x3020104
	v_perm_b32 v14, v14, v14, s7
	s_waitcnt vmcnt(0)
	v_cmp_ne_u32_e32 vcc, 0, v17
	v_cndmask_b32_e64 v17, 0, 1, vcc
	v_lshlrev_b16_e32 v17, 8, v17
	v_or_b32_sdwa v16, v16, v17 dst_sel:DWORD dst_unused:UNUSED_PAD src0_sel:BYTE_0 src1_sel:DWORD
	v_and_b32_e32 v16, 0xffff, v16
	v_lshl_or_b32 v16, v18, 16, v16
.LBB213_23:
	s_or_b64 exec, exec, s[2:3]
	v_or_b32_e32 v17, 0x600, v0
	v_cmp_gt_u32_e32 vcc, s6, v17
	s_and_saveexec_b64 s[2:3], vcc
	s_cbranch_execz .LBB213_25
; %bb.24:
	v_lshlrev_b32_e32 v17, 2, v17
	global_load_dword v17, v17, s[4:5]
	v_mov_b32_e32 v18, 8
	v_lshrrev_b32_sdwa v18, v18, v16 dst_sel:BYTE_1 dst_unused:UNUSED_PAD src0_sel:DWORD src1_sel:DWORD
	v_or_b32_sdwa v16, v16, v18 dst_sel:DWORD dst_unused:UNUSED_PAD src0_sel:BYTE_0 src1_sel:DWORD
	s_mov_b32 s4, 0x3020104
	v_and_b32_e32 v16, 0xffff, v16
	v_perm_b32 v14, v14, v14, s4
	s_waitcnt vmcnt(0)
	v_cmp_ne_u32_e32 vcc, 0, v17
	v_cndmask_b32_e64 v17, 0, 1, vcc
	v_lshl_or_b32 v16, v17, 16, v16
.LBB213_25:
	s_or_b64 exec, exec, s[2:3]
	ds_write_b8 v0, v15
	v_lshrrev_b32_e32 v15, 8, v14
	ds_write_b8 v0, v15 offset:256
	ds_write_b8_d16_hi v0, v14 offset:512
	v_lshrrev_b32_e32 v14, 24, v14
	ds_write_b8 v0, v14 offset:768
	ds_write_b8 v0, v16 offset:1024
	v_lshrrev_b32_e32 v14, 8, v16
	ds_write_b8 v0, v14 offset:1280
	ds_write_b8_d16_hi v0, v16 offset:1536
	s_waitcnt lgkmcnt(0)
	s_barrier
.LBB213_26:
	s_movk_i32 s2, 0xffcf
	v_mad_i32_i24 v43, v0, s2, v13
	ds_read_u8 v13, v43
	ds_read_u8 v15, v43 offset:1
	ds_read_u8 v16, v43 offset:2
	;; [unrolled: 1-line block ×6, first 2 shown]
	s_waitcnt lgkmcnt(6)
	v_and_b32_e32 v41, 1, v13
	s_waitcnt lgkmcnt(5)
	v_and_b32_e32 v40, 1, v15
	;; [unrolled: 2-line block ×4, first 2 shown]
	v_add3_u32 v13, v40, v41, v39
	s_waitcnt lgkmcnt(2)
	v_and_b32_e32 v37, 1, v18
	v_add_co_u32_e32 v13, vcc, v13, v38
	v_addc_co_u32_e64 v15, s[2:3], 0, 0, vcc
	v_add_co_u32_e32 v13, vcc, v13, v37
	s_waitcnt lgkmcnt(1)
	v_and_b32_e32 v36, 1, v19
	v_addc_co_u32_e32 v15, vcc, 0, v15, vcc
	v_add_co_u32_e32 v13, vcc, v13, v36
	s_waitcnt lgkmcnt(0)
	v_and_b32_e32 v35, 1, v20
	v_addc_co_u32_e32 v15, vcc, 0, v15, vcc
	v_add_co_u32_e32 v23, vcc, v13, v35
	v_mbcnt_lo_u32_b32 v13, -1, 0
	v_mbcnt_hi_u32_b32 v42, -1, v13
	v_and_b32_e32 v44, 15, v42
	s_cmp_lg_u32 s24, 0
	v_mov_b32_e32 v14, 0
	v_addc_co_u32_e32 v24, vcc, 0, v15, vcc
	v_cmp_ne_u32_e64 s[2:3], 0, v44
	s_barrier
	s_cbranch_scc0 .LBB213_82
; %bb.27:
	v_mov_b32_e32 v15, v23
	v_mov_b32_dpp v13, v23 row_shr:1 row_mask:0xf bank_mask:0xf
	v_mov_b32_dpp v18, v14 row_shr:1 row_mask:0xf bank_mask:0xf
	v_mov_b32_e32 v17, v23
	v_mov_b32_e32 v16, v24
	s_and_saveexec_b64 s[4:5], s[2:3]
; %bb.28:
	v_add_co_u32_e32 v17, vcc, v23, v13
	v_addc_co_u32_e32 v14, vcc, 0, v24, vcc
	v_add_co_u32_e32 v13, vcc, 0, v17
	v_addc_co_u32_e32 v14, vcc, v18, v14, vcc
	v_mov_b32_e32 v16, v14
	v_mov_b32_e32 v15, v13
; %bb.29:
	s_or_b64 exec, exec, s[4:5]
	v_mov_b32_dpp v13, v17 row_shr:2 row_mask:0xf bank_mask:0xf
	v_mov_b32_dpp v18, v14 row_shr:2 row_mask:0xf bank_mask:0xf
	v_cmp_lt_u32_e32 vcc, 1, v44
	s_and_saveexec_b64 s[4:5], vcc
; %bb.30:
	v_add_co_u32_e32 v17, vcc, v15, v13
	v_addc_co_u32_e32 v14, vcc, 0, v16, vcc
	v_add_co_u32_e32 v13, vcc, 0, v17
	v_addc_co_u32_e32 v14, vcc, v18, v14, vcc
	v_mov_b32_e32 v16, v14
	v_mov_b32_e32 v15, v13
; %bb.31:
	s_or_b64 exec, exec, s[4:5]
	v_mov_b32_dpp v13, v17 row_shr:4 row_mask:0xf bank_mask:0xf
	v_mov_b32_dpp v18, v14 row_shr:4 row_mask:0xf bank_mask:0xf
	v_cmp_lt_u32_e32 vcc, 3, v44
	s_and_saveexec_b64 s[4:5], vcc
; %bb.32:
	v_add_co_u32_e32 v17, vcc, v15, v13
	v_addc_co_u32_e32 v14, vcc, 0, v16, vcc
	v_add_co_u32_e32 v13, vcc, 0, v17
	v_addc_co_u32_e32 v14, vcc, v18, v14, vcc
	v_mov_b32_e32 v16, v14
	v_mov_b32_e32 v15, v13
; %bb.33:
	s_or_b64 exec, exec, s[4:5]
	v_mov_b32_dpp v13, v17 row_shr:8 row_mask:0xf bank_mask:0xf
	v_mov_b32_dpp v18, v14 row_shr:8 row_mask:0xf bank_mask:0xf
	v_cmp_lt_u32_e32 vcc, 7, v44
	s_and_saveexec_b64 s[4:5], vcc
; %bb.34:
	v_add_co_u32_e32 v17, vcc, v15, v13
	v_addc_co_u32_e32 v14, vcc, 0, v16, vcc
	v_add_co_u32_e32 v13, vcc, 0, v17
	v_addc_co_u32_e32 v14, vcc, v18, v14, vcc
	v_mov_b32_e32 v16, v14
	v_mov_b32_e32 v15, v13
; %bb.35:
	s_or_b64 exec, exec, s[4:5]
	v_and_b32_e32 v19, 16, v42
	v_mov_b32_dpp v13, v17 row_bcast:15 row_mask:0xf bank_mask:0xf
	v_mov_b32_dpp v18, v14 row_bcast:15 row_mask:0xf bank_mask:0xf
	v_cmp_ne_u32_e32 vcc, 0, v19
	s_and_saveexec_b64 s[4:5], vcc
; %bb.36:
	v_add_co_u32_e32 v17, vcc, v15, v13
	v_addc_co_u32_e32 v14, vcc, 0, v16, vcc
	v_add_co_u32_e32 v13, vcc, 0, v17
	v_addc_co_u32_e32 v14, vcc, v18, v14, vcc
	v_mov_b32_e32 v16, v14
	v_mov_b32_e32 v15, v13
; %bb.37:
	s_or_b64 exec, exec, s[4:5]
	v_mov_b32_dpp v13, v17 row_bcast:31 row_mask:0xf bank_mask:0xf
	v_mov_b32_dpp v18, v14 row_bcast:31 row_mask:0xf bank_mask:0xf
	v_cmp_lt_u32_e32 vcc, 31, v42
	s_and_saveexec_b64 s[4:5], vcc
; %bb.38:
	v_add_co_u32_e32 v17, vcc, v15, v13
	v_addc_co_u32_e32 v14, vcc, 0, v16, vcc
	v_add_co_u32_e32 v13, vcc, 0, v17
	v_addc_co_u32_e32 v14, vcc, v18, v14, vcc
	v_mov_b32_e32 v16, v14
	v_mov_b32_e32 v15, v13
; %bb.39:
	s_or_b64 exec, exec, s[4:5]
	v_or_b32_e32 v18, 63, v0
	v_lshrrev_b32_e32 v13, 6, v0
	v_cmp_eq_u32_e32 vcc, v0, v18
	s_and_saveexec_b64 s[4:5], vcc
; %bb.40:
	v_lshlrev_b32_e32 v18, 3, v13
	ds_write_b64 v18, v[15:16]
; %bb.41:
	s_or_b64 exec, exec, s[4:5]
	v_cmp_gt_u32_e32 vcc, 4, v0
	s_waitcnt lgkmcnt(0)
	s_barrier
	s_and_saveexec_b64 s[4:5], vcc
	s_cbranch_execz .LBB213_45
; %bb.42:
	v_lshlrev_b32_e32 v18, 3, v0
	ds_read_b64 v[15:16], v18
	v_and_b32_e32 v19, 3, v42
	v_cmp_ne_u32_e32 vcc, 0, v19
	s_waitcnt lgkmcnt(0)
	v_mov_b32_dpp v26, v15 row_shr:1 row_mask:0xf bank_mask:0xf
	v_mov_b32_dpp v25, v16 row_shr:1 row_mask:0xf bank_mask:0xf
	v_mov_b32_e32 v20, v15
	s_and_saveexec_b64 s[6:7], vcc
; %bb.43:
	v_add_co_u32_e32 v20, vcc, v15, v26
	v_addc_co_u32_e32 v16, vcc, 0, v16, vcc
	v_add_co_u32_e32 v15, vcc, 0, v20
	v_addc_co_u32_e32 v16, vcc, v25, v16, vcc
; %bb.44:
	s_or_b64 exec, exec, s[6:7]
	v_mov_b32_dpp v20, v20 row_shr:2 row_mask:0xf bank_mask:0xf
	v_add_co_u32_e32 v20, vcc, v15, v20
	v_addc_co_u32_e32 v26, vcc, 0, v16, vcc
	v_mov_b32_dpp v25, v16 row_shr:2 row_mask:0xf bank_mask:0xf
	v_add_co_u32_e32 v20, vcc, 0, v20
	v_addc_co_u32_e32 v25, vcc, v26, v25, vcc
	v_cmp_lt_u32_e32 vcc, 1, v19
	v_cndmask_b32_e32 v16, v16, v25, vcc
	v_cndmask_b32_e32 v15, v15, v20, vcc
	ds_write_b64 v18, v[15:16]
.LBB213_45:
	s_or_b64 exec, exec, s[4:5]
	v_cmp_gt_u32_e32 vcc, 64, v0
	v_cmp_lt_u32_e64 s[4:5], 63, v0
	s_waitcnt lgkmcnt(0)
	s_barrier
                                        ; implicit-def: $vgpr25_vgpr26
	s_and_saveexec_b64 s[6:7], s[4:5]
	s_cbranch_execz .LBB213_47
; %bb.46:
	v_lshl_add_u32 v13, v13, 3, -8
	ds_read_b64 v[25:26], v13
	s_waitcnt lgkmcnt(0)
	v_add_co_u32_e64 v17, s[4:5], v17, v25
	v_addc_co_u32_e64 v14, s[4:5], v14, v26, s[4:5]
.LBB213_47:
	s_or_b64 exec, exec, s[6:7]
	v_subrev_co_u32_e64 v13, s[4:5], 1, v42
	v_and_b32_e32 v15, 64, v42
	v_cmp_lt_i32_e64 s[6:7], v13, v15
	v_cndmask_b32_e64 v13, v13, v42, s[6:7]
	v_lshlrev_b32_e32 v13, 2, v13
	ds_bpermute_b32 v34, v13, v17
	ds_bpermute_b32 v33, v13, v14
	s_and_saveexec_b64 s[6:7], vcc
	s_cbranch_execz .LBB213_87
; %bb.48:
	v_mov_b32_e32 v16, 0
	ds_read_b64 v[13:14], v16 offset:24
	s_and_saveexec_b64 s[14:15], s[4:5]
	s_cbranch_execz .LBB213_50
; %bb.49:
	s_add_i32 s22, s24, 64
	s_mov_b32 s23, 0
	s_lshl_b64 s[22:23], s[22:23], 4
	s_add_u32 s22, s20, s22
	s_addc_u32 s23, s21, s23
	v_mov_b32_e32 v17, s22
	v_mov_b32_e32 v15, 1
	;; [unrolled: 1-line block ×3, first 2 shown]
	s_waitcnt lgkmcnt(0)
	;;#ASMSTART
	global_store_dwordx4 v[17:18], v[13:16] off	
s_waitcnt vmcnt(0)
	;;#ASMEND
.LBB213_50:
	s_or_b64 exec, exec, s[14:15]
	v_xad_u32 v27, v42, -1, s24
	v_add_u32_e32 v15, 64, v27
	v_lshlrev_b64 v[17:18], 4, v[15:16]
	v_mov_b32_e32 v15, s21
	v_add_co_u32_e32 v28, vcc, s20, v17
	v_addc_co_u32_e32 v29, vcc, v15, v18, vcc
	;;#ASMSTART
	global_load_dwordx4 v[17:20], v[28:29] off glc	
s_waitcnt vmcnt(0)
	;;#ASMEND
	v_cmp_eq_u16_sdwa s[22:23], v19, v16 src0_sel:BYTE_0 src1_sel:DWORD
	s_and_saveexec_b64 s[14:15], s[22:23]
	s_cbranch_execz .LBB213_54
; %bb.51:
	s_mov_b64 s[22:23], 0
	v_mov_b32_e32 v15, 0
.LBB213_52:                             ; =>This Inner Loop Header: Depth=1
	;;#ASMSTART
	global_load_dwordx4 v[17:20], v[28:29] off glc	
s_waitcnt vmcnt(0)
	;;#ASMEND
	v_cmp_ne_u16_sdwa s[26:27], v19, v15 src0_sel:BYTE_0 src1_sel:DWORD
	s_or_b64 s[22:23], s[26:27], s[22:23]
	s_andn2_b64 exec, exec, s[22:23]
	s_cbranch_execnz .LBB213_52
; %bb.53:
	s_or_b64 exec, exec, s[22:23]
.LBB213_54:
	s_or_b64 exec, exec, s[14:15]
	v_and_b32_e32 v45, 63, v42
	v_mov_b32_e32 v15, 2
	v_lshlrev_b64 v[29:30], v42, -1
	v_cmp_ne_u32_e32 vcc, 63, v45
	v_cmp_eq_u16_sdwa s[14:15], v19, v15 src0_sel:BYTE_0 src1_sel:DWORD
	v_addc_co_u32_e32 v20, vcc, 0, v42, vcc
	v_and_b32_e32 v15, s15, v30
	v_lshlrev_b32_e32 v46, 2, v20
	v_or_b32_e32 v15, 0x80000000, v15
	ds_bpermute_b32 v28, v46, v17
	ds_bpermute_b32 v20, v46, v18
	v_and_b32_e32 v16, s14, v29
	v_ffbl_b32_e32 v15, v15
	v_add_u32_e32 v15, 32, v15
	v_ffbl_b32_e32 v16, v16
	v_min_u32_e32 v15, v16, v15
	v_cmp_lt_u32_e32 vcc, v45, v15
	v_mov_b32_e32 v16, v17
	s_and_saveexec_b64 s[14:15], vcc
	s_cbranch_execz .LBB213_56
; %bb.55:
	s_waitcnt lgkmcnt(1)
	v_add_co_u32_e32 v16, vcc, v17, v28
	v_addc_co_u32_e32 v18, vcc, 0, v18, vcc
	v_add_co_u32_e32 v17, vcc, 0, v16
	s_waitcnt lgkmcnt(0)
	v_addc_co_u32_e32 v18, vcc, v20, v18, vcc
.LBB213_56:
	s_or_b64 exec, exec, s[14:15]
	v_cmp_gt_u32_e32 vcc, 62, v45
	s_waitcnt lgkmcnt(0)
	v_cndmask_b32_e64 v20, 0, 2, vcc
	v_add_lshl_u32 v47, v20, v42, 2
	ds_bpermute_b32 v28, v47, v16
	ds_bpermute_b32 v20, v47, v18
	v_add_u32_e32 v48, 2, v45
	v_cmp_le_u32_e32 vcc, v48, v15
	s_and_saveexec_b64 s[14:15], vcc
	s_cbranch_execz .LBB213_58
; %bb.57:
	s_waitcnt lgkmcnt(1)
	v_add_co_u32_e32 v16, vcc, v17, v28
	v_addc_co_u32_e32 v18, vcc, 0, v18, vcc
	v_add_co_u32_e32 v17, vcc, 0, v16
	s_waitcnt lgkmcnt(0)
	v_addc_co_u32_e32 v18, vcc, v20, v18, vcc
.LBB213_58:
	s_or_b64 exec, exec, s[14:15]
	v_cmp_gt_u32_e32 vcc, 60, v45
	s_waitcnt lgkmcnt(0)
	v_cndmask_b32_e64 v20, 0, 4, vcc
	v_add_lshl_u32 v49, v20, v42, 2
	ds_bpermute_b32 v28, v49, v16
	ds_bpermute_b32 v20, v49, v18
	v_add_u32_e32 v50, 4, v45
	v_cmp_le_u32_e32 vcc, v50, v15
	;; [unrolled: 19-line block ×4, first 2 shown]
	s_and_saveexec_b64 s[14:15], vcc
	s_cbranch_execz .LBB213_64
; %bb.63:
	s_waitcnt lgkmcnt(1)
	v_add_co_u32_e32 v16, vcc, v17, v28
	v_addc_co_u32_e32 v18, vcc, 0, v18, vcc
	v_add_co_u32_e32 v17, vcc, 0, v16
	s_waitcnt lgkmcnt(0)
	v_addc_co_u32_e32 v18, vcc, v20, v18, vcc
.LBB213_64:
	s_or_b64 exec, exec, s[14:15]
	s_waitcnt lgkmcnt(0)
	v_mov_b32_e32 v20, 0x80
	v_lshl_or_b32 v55, v42, 2, v20
	ds_bpermute_b32 v16, v55, v16
	ds_bpermute_b32 v20, v55, v18
	v_add_u32_e32 v56, 32, v45
	v_mov_b32_e32 v28, 0
	v_mov_b32_e32 v57, 2
	s_waitcnt lgkmcnt(1)
	v_add_co_u32_e32 v16, vcc, v17, v16
	v_addc_co_u32_e32 v31, vcc, 0, v18, vcc
	v_add_co_u32_e32 v16, vcc, 0, v16
	s_waitcnt lgkmcnt(0)
	v_addc_co_u32_e32 v20, vcc, v31, v20, vcc
	v_cmp_gt_u32_e32 vcc, v56, v15
	v_cndmask_b32_e32 v18, v20, v18, vcc
	v_cndmask_b32_e32 v17, v16, v17, vcc
	s_branch .LBB213_67
.LBB213_65:                             ;   in Loop: Header=BB213_67 Depth=1
	s_or_b64 exec, exec, s[14:15]
	ds_bpermute_b32 v31, v55, v31
	s_waitcnt lgkmcnt(1)
	ds_bpermute_b32 v32, v55, v18
	v_subrev_u32_e32 v27, 64, v27
	s_mov_b64 s[14:15], 0
	s_waitcnt lgkmcnt(1)
	v_add_co_u32_e32 v31, vcc, v17, v31
	v_addc_co_u32_e32 v58, vcc, 0, v18, vcc
	v_add_co_u32_e32 v31, vcc, 0, v31
	s_waitcnt lgkmcnt(0)
	v_addc_co_u32_e32 v32, vcc, v58, v32, vcc
	v_cmp_gt_u32_e32 vcc, v56, v20
	v_cndmask_b32_e32 v17, v31, v17, vcc
	v_cndmask_b32_e32 v18, v32, v18, vcc
	v_add_co_u32_e32 v17, vcc, v17, v15
	v_addc_co_u32_e32 v18, vcc, v18, v16, vcc
.LBB213_66:                             ;   in Loop: Header=BB213_67 Depth=1
	s_and_b64 vcc, exec, s[14:15]
	s_cbranch_vccnz .LBB213_83
.LBB213_67:                             ; =>This Loop Header: Depth=1
                                        ;     Child Loop BB213_70 Depth 2
	v_mov_b32_e32 v15, v17
	v_cmp_ne_u16_sdwa s[14:15], v19, v57 src0_sel:BYTE_0 src1_sel:DWORD
	v_mov_b32_e32 v16, v18
	s_cmp_lg_u64 s[14:15], exec
	s_mov_b64 s[14:15], -1
                                        ; implicit-def: $vgpr17_vgpr18
                                        ; implicit-def: $vgpr19
	s_cbranch_scc1 .LBB213_66
; %bb.68:                               ;   in Loop: Header=BB213_67 Depth=1
	v_lshlrev_b64 v[17:18], 4, v[27:28]
	v_mov_b32_e32 v19, s21
	v_add_co_u32_e32 v31, vcc, s20, v17
	v_addc_co_u32_e32 v32, vcc, v19, v18, vcc
	;;#ASMSTART
	global_load_dwordx4 v[17:20], v[31:32] off glc	
s_waitcnt vmcnt(0)
	;;#ASMEND
	v_cmp_eq_u16_sdwa s[22:23], v19, v28 src0_sel:BYTE_0 src1_sel:DWORD
	s_and_saveexec_b64 s[14:15], s[22:23]
	s_cbranch_execz .LBB213_72
; %bb.69:                               ;   in Loop: Header=BB213_67 Depth=1
	s_mov_b64 s[22:23], 0
.LBB213_70:                             ;   Parent Loop BB213_67 Depth=1
                                        ; =>  This Inner Loop Header: Depth=2
	;;#ASMSTART
	global_load_dwordx4 v[17:20], v[31:32] off glc	
s_waitcnt vmcnt(0)
	;;#ASMEND
	v_cmp_ne_u16_sdwa s[26:27], v19, v28 src0_sel:BYTE_0 src1_sel:DWORD
	s_or_b64 s[22:23], s[26:27], s[22:23]
	s_andn2_b64 exec, exec, s[22:23]
	s_cbranch_execnz .LBB213_70
; %bb.71:                               ;   in Loop: Header=BB213_67 Depth=1
	s_or_b64 exec, exec, s[22:23]
.LBB213_72:                             ;   in Loop: Header=BB213_67 Depth=1
	s_or_b64 exec, exec, s[14:15]
	v_cmp_eq_u16_sdwa s[14:15], v19, v57 src0_sel:BYTE_0 src1_sel:DWORD
	v_and_b32_e32 v20, s15, v30
	v_or_b32_e32 v20, 0x80000000, v20
	ds_bpermute_b32 v58, v46, v17
	ds_bpermute_b32 v32, v46, v18
	v_and_b32_e32 v31, s14, v29
	v_ffbl_b32_e32 v20, v20
	v_add_u32_e32 v20, 32, v20
	v_ffbl_b32_e32 v31, v31
	v_min_u32_e32 v20, v31, v20
	v_cmp_lt_u32_e32 vcc, v45, v20
	v_mov_b32_e32 v31, v17
	s_and_saveexec_b64 s[14:15], vcc
	s_cbranch_execz .LBB213_74
; %bb.73:                               ;   in Loop: Header=BB213_67 Depth=1
	s_waitcnt lgkmcnt(1)
	v_add_co_u32_e32 v31, vcc, v17, v58
	v_addc_co_u32_e32 v18, vcc, 0, v18, vcc
	v_add_co_u32_e32 v17, vcc, 0, v31
	s_waitcnt lgkmcnt(0)
	v_addc_co_u32_e32 v18, vcc, v32, v18, vcc
.LBB213_74:                             ;   in Loop: Header=BB213_67 Depth=1
	s_or_b64 exec, exec, s[14:15]
	s_waitcnt lgkmcnt(1)
	ds_bpermute_b32 v58, v47, v31
	s_waitcnt lgkmcnt(1)
	ds_bpermute_b32 v32, v47, v18
	v_cmp_le_u32_e32 vcc, v48, v20
	s_and_saveexec_b64 s[14:15], vcc
	s_cbranch_execz .LBB213_76
; %bb.75:                               ;   in Loop: Header=BB213_67 Depth=1
	s_waitcnt lgkmcnt(1)
	v_add_co_u32_e32 v31, vcc, v17, v58
	v_addc_co_u32_e32 v18, vcc, 0, v18, vcc
	v_add_co_u32_e32 v17, vcc, 0, v31
	s_waitcnt lgkmcnt(0)
	v_addc_co_u32_e32 v18, vcc, v32, v18, vcc
.LBB213_76:                             ;   in Loop: Header=BB213_67 Depth=1
	s_or_b64 exec, exec, s[14:15]
	s_waitcnt lgkmcnt(1)
	ds_bpermute_b32 v58, v49, v31
	s_waitcnt lgkmcnt(1)
	ds_bpermute_b32 v32, v49, v18
	v_cmp_le_u32_e32 vcc, v50, v20
	;; [unrolled: 16-line block ×4, first 2 shown]
	s_and_saveexec_b64 s[14:15], vcc
	s_cbranch_execz .LBB213_65
; %bb.81:                               ;   in Loop: Header=BB213_67 Depth=1
	s_waitcnt lgkmcnt(1)
	v_add_co_u32_e32 v31, vcc, v17, v58
	v_addc_co_u32_e32 v18, vcc, 0, v18, vcc
	v_add_co_u32_e32 v17, vcc, 0, v31
	s_waitcnt lgkmcnt(0)
	v_addc_co_u32_e32 v18, vcc, v32, v18, vcc
	s_branch .LBB213_65
.LBB213_82:
                                        ; implicit-def: $vgpr19_vgpr20
                                        ; implicit-def: $vgpr17_vgpr18
                                        ; implicit-def: $vgpr25_vgpr26
                                        ; implicit-def: $vgpr27_vgpr28
                                        ; implicit-def: $vgpr29_vgpr30
                                        ; implicit-def: $vgpr31_vgpr32
                                        ; implicit-def: $vgpr33_vgpr34
                                        ; implicit-def: $vgpr15_vgpr16
	s_cbranch_execnz .LBB213_88
	s_branch .LBB213_109
.LBB213_83:
	s_and_saveexec_b64 s[14:15], s[4:5]
	s_cbranch_execz .LBB213_85
; %bb.84:
	s_add_i32 s22, s24, 64
	s_mov_b32 s23, 0
	s_lshl_b64 s[22:23], s[22:23], 4
	s_add_u32 s22, s20, s22
	s_addc_u32 s23, s21, s23
	v_add_co_u32_e32 v17, vcc, v15, v13
	v_mov_b32_e32 v28, s23
	v_addc_co_u32_e32 v18, vcc, v16, v14, vcc
	v_mov_b32_e32 v19, 2
	v_mov_b32_e32 v20, 0
	;; [unrolled: 1-line block ×3, first 2 shown]
	;;#ASMSTART
	global_store_dwordx4 v[27:28], v[17:20] off	
s_waitcnt vmcnt(0)
	;;#ASMEND
	ds_write_b128 v20, v[13:16] offset:14336
.LBB213_85:
	s_or_b64 exec, exec, s[14:15]
	s_and_b64 exec, exec, s[0:1]
; %bb.86:
	v_mov_b32_e32 v13, 0
	ds_write_b64 v13, v[15:16] offset:24
.LBB213_87:
	s_or_b64 exec, exec, s[6:7]
	v_mov_b32_e32 v16, 0
	s_waitcnt lgkmcnt(0)
	s_barrier
	ds_read_b64 v[13:14], v16 offset:24
	v_cndmask_b32_e64 v15, v34, v25, s[4:5]
	v_cndmask_b32_e64 v17, v33, v26, s[4:5]
	v_cndmask_b32_e64 v15, v15, 0, s[0:1]
	v_cndmask_b32_e64 v17, v17, 0, s[0:1]
	s_waitcnt lgkmcnt(0)
	v_add_co_u32_e32 v33, vcc, v13, v15
	v_addc_co_u32_e32 v34, vcc, v14, v17, vcc
	v_add_co_u32_e32 v31, vcc, v33, v41
	v_addc_co_u32_e32 v32, vcc, 0, v34, vcc
	;; [unrolled: 2-line block ×5, first 2 shown]
	s_barrier
	ds_read_b128 v[13:16], v16 offset:14336
	v_add_co_u32_e32 v17, vcc, v25, v37
	v_addc_co_u32_e32 v18, vcc, 0, v26, vcc
	v_add_co_u32_e32 v19, vcc, v17, v36
	v_addc_co_u32_e32 v20, vcc, 0, v18, vcc
	s_branch .LBB213_109
.LBB213_88:
	s_waitcnt lgkmcnt(0)
	v_mov_b32_e32 v14, 0
	v_mov_b32_dpp v16, v23 row_shr:1 row_mask:0xf bank_mask:0xf
	v_mov_b32_e32 v15, v23
	v_mov_b32_dpp v13, v14 row_shr:1 row_mask:0xf bank_mask:0xf
	s_and_saveexec_b64 s[4:5], s[2:3]
; %bb.89:
	v_add_co_u32_e32 v15, vcc, v23, v16
	v_addc_co_u32_e32 v14, vcc, 0, v24, vcc
	v_add_co_u32_e32 v23, vcc, 0, v15
	v_addc_co_u32_e32 v24, vcc, v13, v14, vcc
	v_mov_b32_e32 v14, v24
; %bb.90:
	s_or_b64 exec, exec, s[4:5]
	v_mov_b32_dpp v13, v15 row_shr:2 row_mask:0xf bank_mask:0xf
	v_mov_b32_dpp v16, v14 row_shr:2 row_mask:0xf bank_mask:0xf
	v_cmp_lt_u32_e32 vcc, 1, v44
	s_and_saveexec_b64 s[2:3], vcc
; %bb.91:
	v_add_co_u32_e32 v15, vcc, v23, v13
	v_addc_co_u32_e32 v14, vcc, 0, v24, vcc
	v_add_co_u32_e32 v13, vcc, 0, v15
	v_addc_co_u32_e32 v14, vcc, v16, v14, vcc
	v_mov_b32_e32 v24, v14
	v_mov_b32_e32 v23, v13
; %bb.92:
	s_or_b64 exec, exec, s[2:3]
	v_mov_b32_dpp v13, v15 row_shr:4 row_mask:0xf bank_mask:0xf
	v_mov_b32_dpp v16, v14 row_shr:4 row_mask:0xf bank_mask:0xf
	v_cmp_lt_u32_e32 vcc, 3, v44
	s_and_saveexec_b64 s[2:3], vcc
; %bb.93:
	v_add_co_u32_e32 v15, vcc, v23, v13
	v_addc_co_u32_e32 v14, vcc, 0, v24, vcc
	v_add_co_u32_e32 v13, vcc, 0, v15
	v_addc_co_u32_e32 v14, vcc, v16, v14, vcc
	v_mov_b32_e32 v24, v14
	;; [unrolled: 13-line block ×3, first 2 shown]
	v_mov_b32_e32 v23, v13
; %bb.96:
	s_or_b64 exec, exec, s[2:3]
	v_and_b32_e32 v17, 16, v42
	v_mov_b32_dpp v16, v15 row_bcast:15 row_mask:0xf bank_mask:0xf
	v_mov_b32_dpp v13, v14 row_bcast:15 row_mask:0xf bank_mask:0xf
	v_cmp_ne_u32_e32 vcc, 0, v17
	s_and_saveexec_b64 s[2:3], vcc
; %bb.97:
	v_add_co_u32_e32 v15, vcc, v23, v16
	v_addc_co_u32_e32 v14, vcc, 0, v24, vcc
	v_add_co_u32_e32 v23, vcc, 0, v15
	v_addc_co_u32_e32 v24, vcc, v13, v14, vcc
	v_mov_b32_e32 v14, v24
; %bb.98:
	s_or_b64 exec, exec, s[2:3]
	v_mov_b32_dpp v13, v15 row_bcast:31 row_mask:0xf bank_mask:0xf
	v_add_co_u32_e32 v13, vcc, v23, v13
	v_addc_co_u32_e32 v15, vcc, 0, v24, vcc
	v_mov_b32_dpp v14, v14 row_bcast:31 row_mask:0xf bank_mask:0xf
	v_add_co_u32_e32 v13, vcc, 0, v13
	v_addc_co_u32_e32 v14, vcc, v15, v14, vcc
	v_cmp_lt_u32_e32 vcc, 31, v42
	v_or_b32_e32 v15, 63, v0
	v_cndmask_b32_e32 v14, v24, v14, vcc
	v_cndmask_b32_e32 v13, v23, v13, vcc
	v_lshrrev_b32_e32 v19, 6, v0
	v_cmp_eq_u32_e32 vcc, v0, v15
	s_and_saveexec_b64 s[2:3], vcc
; %bb.99:
	v_lshlrev_b32_e32 v15, 3, v19
	ds_write_b64 v15, v[13:14]
; %bb.100:
	s_or_b64 exec, exec, s[2:3]
	v_cmp_gt_u32_e32 vcc, 4, v0
	s_waitcnt lgkmcnt(0)
	s_barrier
	s_and_saveexec_b64 s[2:3], vcc
	s_cbranch_execz .LBB213_104
; %bb.101:
	v_add_u32_e32 v17, v43, v0
	ds_read_b64 v[15:16], v17
	v_and_b32_e32 v18, 3, v42
	v_cmp_ne_u32_e32 vcc, 0, v18
	s_waitcnt lgkmcnt(0)
	v_mov_b32_dpp v24, v15 row_shr:1 row_mask:0xf bank_mask:0xf
	v_mov_b32_dpp v23, v16 row_shr:1 row_mask:0xf bank_mask:0xf
	v_mov_b32_e32 v20, v15
	s_and_saveexec_b64 s[4:5], vcc
; %bb.102:
	v_add_co_u32_e32 v20, vcc, v15, v24
	v_addc_co_u32_e32 v16, vcc, 0, v16, vcc
	v_add_co_u32_e32 v15, vcc, 0, v20
	v_addc_co_u32_e32 v16, vcc, v23, v16, vcc
; %bb.103:
	s_or_b64 exec, exec, s[4:5]
	v_mov_b32_dpp v20, v20 row_shr:2 row_mask:0xf bank_mask:0xf
	v_add_co_u32_e32 v20, vcc, v15, v20
	v_addc_co_u32_e32 v24, vcc, 0, v16, vcc
	v_mov_b32_dpp v23, v16 row_shr:2 row_mask:0xf bank_mask:0xf
	v_add_co_u32_e32 v20, vcc, 0, v20
	v_addc_co_u32_e32 v23, vcc, v24, v23, vcc
	v_cmp_lt_u32_e32 vcc, 1, v18
	v_cndmask_b32_e32 v16, v16, v23, vcc
	v_cndmask_b32_e32 v15, v15, v20, vcc
	ds_write_b64 v17, v[15:16]
.LBB213_104:
	s_or_b64 exec, exec, s[2:3]
	v_mov_b32_e32 v17, 0
	v_mov_b32_e32 v18, 0
	v_cmp_lt_u32_e32 vcc, 63, v0
	s_waitcnt lgkmcnt(0)
	s_barrier
	s_and_saveexec_b64 s[2:3], vcc
; %bb.105:
	v_lshl_add_u32 v15, v19, 3, -8
	ds_read_b64 v[17:18], v15
; %bb.106:
	s_or_b64 exec, exec, s[2:3]
	s_waitcnt lgkmcnt(0)
	v_add_co_u32_e32 v13, vcc, v17, v13
	v_addc_co_u32_e32 v14, vcc, v18, v14, vcc
	v_subrev_co_u32_e32 v15, vcc, 1, v42
	v_and_b32_e32 v16, 64, v42
	v_cmp_lt_i32_e64 s[2:3], v15, v16
	v_cndmask_b32_e64 v15, v15, v42, s[2:3]
	v_lshlrev_b32_e32 v15, 2, v15
	v_mov_b32_e32 v16, 0
	ds_bpermute_b32 v19, v15, v13
	ds_bpermute_b32 v20, v15, v14
	ds_read_b64 v[13:14], v16 offset:24
	s_and_saveexec_b64 s[2:3], s[0:1]
	s_cbranch_execz .LBB213_108
; %bb.107:
	s_add_u32 s4, s20, 0x400
	s_addc_u32 s5, s21, 0
	v_mov_b32_e32 v24, s5
	v_mov_b32_e32 v15, 2
	;; [unrolled: 1-line block ×3, first 2 shown]
	s_waitcnt lgkmcnt(0)
	;;#ASMSTART
	global_store_dwordx4 v[23:24], v[13:16] off	
s_waitcnt vmcnt(0)
	;;#ASMEND
.LBB213_108:
	s_or_b64 exec, exec, s[2:3]
	s_waitcnt lgkmcnt(2)
	v_cndmask_b32_e32 v15, v19, v17, vcc
	s_waitcnt lgkmcnt(1)
	v_cndmask_b32_e32 v16, v20, v18, vcc
	v_cndmask_b32_e64 v33, v15, 0, s[0:1]
	v_cndmask_b32_e64 v34, v16, 0, s[0:1]
	v_add_co_u32_e32 v31, vcc, v33, v41
	v_addc_co_u32_e32 v32, vcc, 0, v34, vcc
	v_add_co_u32_e32 v29, vcc, v31, v40
	v_addc_co_u32_e32 v30, vcc, 0, v32, vcc
	;; [unrolled: 2-line block ×5, first 2 shown]
	v_add_co_u32_e32 v19, vcc, v17, v36
	v_mov_b32_e32 v15, 0
	v_addc_co_u32_e32 v20, vcc, 0, v18, vcc
	s_waitcnt lgkmcnt(0)
	s_barrier
	v_mov_b32_e32 v16, 0
.LBB213_109:
	s_mov_b64 s[2:3], 0x101
	s_waitcnt lgkmcnt(0)
	v_cmp_gt_u64_e32 vcc, s[2:3], v[13:14]
	s_mov_b64 s[4:5], -1
	v_cmp_eq_u32_e64 s[2:3], 1, v41
	s_cbranch_vccnz .LBB213_113
; %bb.110:
	s_and_b64 vcc, exec, s[4:5]
	s_cbranch_vccnz .LBB213_128
.LBB213_111:
	s_and_b64 s[0:1], s[0:1], s[12:13]
	s_and_saveexec_b64 s[2:3], s[0:1]
	s_cbranch_execnz .LBB213_139
.LBB213_112:
	s_endpgm
.LBB213_113:
	v_add_co_u32_e32 v23, vcc, v15, v13
	v_addc_co_u32_e32 v24, vcc, v16, v14, vcc
	v_cmp_lt_u64_e32 vcc, v[33:34], v[23:24]
	s_or_b64 s[4:5], s[18:19], vcc
	s_and_b64 s[4:5], s[4:5], s[2:3]
	s_and_saveexec_b64 s[2:3], s[4:5]
	s_cbranch_execz .LBB213_115
; %bb.114:
	s_lshl_b64 s[4:5], s[10:11], 3
	s_add_u32 s4, s16, s4
	v_lshlrev_b64 v[42:43], 3, v[33:34]
	s_addc_u32 s5, s17, s5
	v_mov_b32_e32 v34, s5
	v_add_co_u32_e32 v42, vcc, s4, v42
	v_addc_co_u32_e32 v43, vcc, v34, v43, vcc
	global_store_dwordx2 v[42:43], v[9:10], off
.LBB213_115:
	s_or_b64 exec, exec, s[2:3]
	v_cmp_lt_u64_e32 vcc, v[31:32], v[23:24]
	s_or_b64 s[2:3], s[18:19], vcc
	v_cmp_eq_u32_e32 vcc, 1, v40
	s_and_b64 s[4:5], s[2:3], vcc
	s_and_saveexec_b64 s[2:3], s[4:5]
	s_cbranch_execz .LBB213_117
; %bb.116:
	s_lshl_b64 s[4:5], s[10:11], 3
	s_add_u32 s4, s16, s4
	v_lshlrev_b64 v[42:43], 3, v[31:32]
	s_addc_u32 s5, s17, s5
	v_mov_b32_e32 v32, s5
	v_add_co_u32_e32 v42, vcc, s4, v42
	v_addc_co_u32_e32 v43, vcc, v32, v43, vcc
	global_store_dwordx2 v[42:43], v[11:12], off
.LBB213_117:
	s_or_b64 exec, exec, s[2:3]
	v_cmp_lt_u64_e32 vcc, v[29:30], v[23:24]
	s_or_b64 s[2:3], s[18:19], vcc
	v_cmp_eq_u32_e32 vcc, 1, v39
	s_and_b64 s[4:5], s[2:3], vcc
	;; [unrolled: 17-line block ×6, first 2 shown]
	s_and_saveexec_b64 s[2:3], s[4:5]
	s_cbranch_execz .LBB213_127
; %bb.126:
	s_lshl_b64 s[4:5], s[10:11], 3
	s_add_u32 s4, s16, s4
	v_lshlrev_b64 v[23:24], 3, v[19:20]
	s_addc_u32 s5, s17, s5
	v_mov_b32_e32 v18, s5
	v_add_co_u32_e32 v23, vcc, s4, v23
	v_addc_co_u32_e32 v24, vcc, v18, v24, vcc
	global_store_dwordx2 v[23:24], v[21:22], off
.LBB213_127:
	s_or_b64 exec, exec, s[2:3]
	s_branch .LBB213_111
.LBB213_128:
	v_cmp_eq_u32_e32 vcc, 1, v41
	s_and_saveexec_b64 s[2:3], vcc
	s_cbranch_execnz .LBB213_140
; %bb.129:
	s_or_b64 exec, exec, s[2:3]
	v_cmp_eq_u32_e32 vcc, 1, v40
	s_and_saveexec_b64 s[2:3], vcc
	s_cbranch_execnz .LBB213_141
.LBB213_130:
	s_or_b64 exec, exec, s[2:3]
	v_cmp_eq_u32_e32 vcc, 1, v39
	s_and_saveexec_b64 s[2:3], vcc
	s_cbranch_execnz .LBB213_142
.LBB213_131:
	s_or_b64 exec, exec, s[2:3]
	v_cmp_eq_u32_e32 vcc, 1, v38
	s_and_saveexec_b64 s[2:3], vcc
	s_cbranch_execnz .LBB213_143
.LBB213_132:
	s_or_b64 exec, exec, s[2:3]
	v_cmp_eq_u32_e32 vcc, 1, v37
	s_and_saveexec_b64 s[2:3], vcc
	s_cbranch_execnz .LBB213_144
.LBB213_133:
	s_or_b64 exec, exec, s[2:3]
	v_cmp_eq_u32_e32 vcc, 1, v36
	s_and_saveexec_b64 s[2:3], vcc
	s_cbranch_execnz .LBB213_145
.LBB213_134:
	s_or_b64 exec, exec, s[2:3]
	v_cmp_eq_u32_e32 vcc, 1, v35
	s_and_saveexec_b64 s[2:3], vcc
.LBB213_135:
	v_sub_u32_e32 v1, v19, v15
	v_lshlrev_b32_e32 v1, 3, v1
	ds_write_b64 v1, v[21:22]
.LBB213_136:
	s_or_b64 exec, exec, s[2:3]
	v_lshlrev_b64 v[4:5], 3, v[15:16]
	v_mov_b32_e32 v6, s17
	v_add_co_u32_e32 v4, vcc, s16, v4
	v_mov_b32_e32 v1, 0
	v_addc_co_u32_e32 v5, vcc, v6, v5, vcc
	s_lshl_b64 s[2:3], s[10:11], 3
	v_mov_b32_e32 v3, v1
	v_mov_b32_e32 v6, s3
	v_add_co_u32_e32 v4, vcc, s2, v4
	v_mov_b32_e32 v2, v0
	v_addc_co_u32_e32 v5, vcc, v5, v6, vcc
	v_or_b32_e32 v0, 0x100, v0
	s_mov_b64 s[4:5], 0
	s_waitcnt vmcnt(0) lgkmcnt(0)
	s_barrier
.LBB213_137:                            ; =>This Inner Loop Header: Depth=1
	v_lshlrev_b32_e32 v8, 3, v2
	ds_read_b64 v[8:9], v8
	v_lshlrev_b64 v[6:7], 3, v[2:3]
	v_cmp_le_u64_e32 vcc, v[13:14], v[0:1]
	v_mov_b32_e32 v3, v1
	v_add_co_u32_e64 v6, s[2:3], v4, v6
	v_mov_b32_e32 v2, v0
	v_add_u32_e32 v0, 0x100, v0
	v_addc_co_u32_e64 v7, s[2:3], v5, v7, s[2:3]
	s_or_b64 s[4:5], vcc, s[4:5]
	s_waitcnt lgkmcnt(0)
	global_store_dwordx2 v[6:7], v[8:9], off
	s_andn2_b64 exec, exec, s[4:5]
	s_cbranch_execnz .LBB213_137
; %bb.138:
	s_or_b64 exec, exec, s[4:5]
	s_and_b64 s[0:1], s[0:1], s[12:13]
	s_and_saveexec_b64 s[2:3], s[0:1]
	s_cbranch_execz .LBB213_112
.LBB213_139:
	v_add_co_u32_e32 v0, vcc, v15, v13
	v_addc_co_u32_e32 v1, vcc, v16, v14, vcc
	v_mov_b32_e32 v3, s11
	v_add_co_u32_e32 v0, vcc, s10, v0
	v_mov_b32_e32 v2, 0
	v_addc_co_u32_e32 v1, vcc, v1, v3, vcc
	global_store_dwordx2 v2, v[0:1], s[8:9]
	s_endpgm
.LBB213_140:
	v_sub_u32_e32 v18, v33, v15
	v_lshlrev_b32_e32 v18, 3, v18
	ds_write_b64 v18, v[9:10]
	s_or_b64 exec, exec, s[2:3]
	v_cmp_eq_u32_e32 vcc, 1, v40
	s_and_saveexec_b64 s[2:3], vcc
	s_cbranch_execz .LBB213_130
.LBB213_141:
	v_sub_u32_e32 v9, v31, v15
	v_lshlrev_b32_e32 v9, 3, v9
	ds_write_b64 v9, v[11:12]
	s_or_b64 exec, exec, s[2:3]
	v_cmp_eq_u32_e32 vcc, 1, v39
	s_and_saveexec_b64 s[2:3], vcc
	s_cbranch_execz .LBB213_131
.LBB213_142:
	v_sub_u32_e32 v9, v29, v15
	v_lshlrev_b32_e32 v9, 3, v9
	ds_write_b64 v9, v[5:6]
	s_or_b64 exec, exec, s[2:3]
	v_cmp_eq_u32_e32 vcc, 1, v38
	s_and_saveexec_b64 s[2:3], vcc
	s_cbranch_execz .LBB213_132
.LBB213_143:
	v_sub_u32_e32 v5, v27, v15
	v_lshlrev_b32_e32 v5, 3, v5
	ds_write_b64 v5, v[7:8]
	s_or_b64 exec, exec, s[2:3]
	v_cmp_eq_u32_e32 vcc, 1, v37
	s_and_saveexec_b64 s[2:3], vcc
	s_cbranch_execz .LBB213_133
.LBB213_144:
	v_sub_u32_e32 v5, v25, v15
	v_lshlrev_b32_e32 v5, 3, v5
	ds_write_b64 v5, v[1:2]
	s_or_b64 exec, exec, s[2:3]
	v_cmp_eq_u32_e32 vcc, 1, v36
	s_and_saveexec_b64 s[2:3], vcc
	s_cbranch_execz .LBB213_134
.LBB213_145:
	v_sub_u32_e32 v1, v17, v15
	v_lshlrev_b32_e32 v1, 3, v1
	ds_write_b64 v1, v[3:4]
	s_or_b64 exec, exec, s[2:3]
	v_cmp_eq_u32_e32 vcc, 1, v35
	s_and_saveexec_b64 s[2:3], vcc
	s_cbranch_execnz .LBB213_135
	s_branch .LBB213_136
	.section	.rodata,"a",@progbits
	.p2align	6, 0x0
	.amdhsa_kernel _ZN7rocprim17ROCPRIM_400000_NS6detail17trampoline_kernelINS0_14default_configENS1_25partition_config_selectorILNS1_17partition_subalgoE5ElNS0_10empty_typeEbEEZZNS1_14partition_implILS5_5ELb0ES3_mN6hipcub16HIPCUB_304000_NS21CountingInputIteratorIllEEPS6_NSA_22TransformInputIteratorIb7NonZeroIiEPilEENS0_5tupleIJPlS6_EEENSJ_IJSD_SD_EEES6_SK_JS6_EEE10hipError_tPvRmT3_T4_T5_T6_T7_T9_mT8_P12ihipStream_tbDpT10_ENKUlT_T0_E_clISt17integral_constantIbLb0EES15_IbLb1EEEEDaS11_S12_EUlS11_E_NS1_11comp_targetILNS1_3genE2ELNS1_11target_archE906ELNS1_3gpuE6ELNS1_3repE0EEENS1_30default_config_static_selectorELNS0_4arch9wavefront6targetE1EEEvT1_
		.amdhsa_group_segment_fixed_size 14352
		.amdhsa_private_segment_fixed_size 0
		.amdhsa_kernarg_size 136
		.amdhsa_user_sgpr_count 6
		.amdhsa_user_sgpr_private_segment_buffer 1
		.amdhsa_user_sgpr_dispatch_ptr 0
		.amdhsa_user_sgpr_queue_ptr 0
		.amdhsa_user_sgpr_kernarg_segment_ptr 1
		.amdhsa_user_sgpr_dispatch_id 0
		.amdhsa_user_sgpr_flat_scratch_init 0
		.amdhsa_user_sgpr_private_segment_size 0
		.amdhsa_uses_dynamic_stack 0
		.amdhsa_system_sgpr_private_segment_wavefront_offset 0
		.amdhsa_system_sgpr_workgroup_id_x 1
		.amdhsa_system_sgpr_workgroup_id_y 0
		.amdhsa_system_sgpr_workgroup_id_z 0
		.amdhsa_system_sgpr_workgroup_info 0
		.amdhsa_system_vgpr_workitem_id 0
		.amdhsa_next_free_vgpr 59
		.amdhsa_next_free_sgpr 98
		.amdhsa_reserve_vcc 1
		.amdhsa_reserve_flat_scratch 0
		.amdhsa_float_round_mode_32 0
		.amdhsa_float_round_mode_16_64 0
		.amdhsa_float_denorm_mode_32 3
		.amdhsa_float_denorm_mode_16_64 3
		.amdhsa_dx10_clamp 1
		.amdhsa_ieee_mode 1
		.amdhsa_fp16_overflow 0
		.amdhsa_exception_fp_ieee_invalid_op 0
		.amdhsa_exception_fp_denorm_src 0
		.amdhsa_exception_fp_ieee_div_zero 0
		.amdhsa_exception_fp_ieee_overflow 0
		.amdhsa_exception_fp_ieee_underflow 0
		.amdhsa_exception_fp_ieee_inexact 0
		.amdhsa_exception_int_div_zero 0
	.end_amdhsa_kernel
	.section	.text._ZN7rocprim17ROCPRIM_400000_NS6detail17trampoline_kernelINS0_14default_configENS1_25partition_config_selectorILNS1_17partition_subalgoE5ElNS0_10empty_typeEbEEZZNS1_14partition_implILS5_5ELb0ES3_mN6hipcub16HIPCUB_304000_NS21CountingInputIteratorIllEEPS6_NSA_22TransformInputIteratorIb7NonZeroIiEPilEENS0_5tupleIJPlS6_EEENSJ_IJSD_SD_EEES6_SK_JS6_EEE10hipError_tPvRmT3_T4_T5_T6_T7_T9_mT8_P12ihipStream_tbDpT10_ENKUlT_T0_E_clISt17integral_constantIbLb0EES15_IbLb1EEEEDaS11_S12_EUlS11_E_NS1_11comp_targetILNS1_3genE2ELNS1_11target_archE906ELNS1_3gpuE6ELNS1_3repE0EEENS1_30default_config_static_selectorELNS0_4arch9wavefront6targetE1EEEvT1_,"axG",@progbits,_ZN7rocprim17ROCPRIM_400000_NS6detail17trampoline_kernelINS0_14default_configENS1_25partition_config_selectorILNS1_17partition_subalgoE5ElNS0_10empty_typeEbEEZZNS1_14partition_implILS5_5ELb0ES3_mN6hipcub16HIPCUB_304000_NS21CountingInputIteratorIllEEPS6_NSA_22TransformInputIteratorIb7NonZeroIiEPilEENS0_5tupleIJPlS6_EEENSJ_IJSD_SD_EEES6_SK_JS6_EEE10hipError_tPvRmT3_T4_T5_T6_T7_T9_mT8_P12ihipStream_tbDpT10_ENKUlT_T0_E_clISt17integral_constantIbLb0EES15_IbLb1EEEEDaS11_S12_EUlS11_E_NS1_11comp_targetILNS1_3genE2ELNS1_11target_archE906ELNS1_3gpuE6ELNS1_3repE0EEENS1_30default_config_static_selectorELNS0_4arch9wavefront6targetE1EEEvT1_,comdat
.Lfunc_end213:
	.size	_ZN7rocprim17ROCPRIM_400000_NS6detail17trampoline_kernelINS0_14default_configENS1_25partition_config_selectorILNS1_17partition_subalgoE5ElNS0_10empty_typeEbEEZZNS1_14partition_implILS5_5ELb0ES3_mN6hipcub16HIPCUB_304000_NS21CountingInputIteratorIllEEPS6_NSA_22TransformInputIteratorIb7NonZeroIiEPilEENS0_5tupleIJPlS6_EEENSJ_IJSD_SD_EEES6_SK_JS6_EEE10hipError_tPvRmT3_T4_T5_T6_T7_T9_mT8_P12ihipStream_tbDpT10_ENKUlT_T0_E_clISt17integral_constantIbLb0EES15_IbLb1EEEEDaS11_S12_EUlS11_E_NS1_11comp_targetILNS1_3genE2ELNS1_11target_archE906ELNS1_3gpuE6ELNS1_3repE0EEENS1_30default_config_static_selectorELNS0_4arch9wavefront6targetE1EEEvT1_, .Lfunc_end213-_ZN7rocprim17ROCPRIM_400000_NS6detail17trampoline_kernelINS0_14default_configENS1_25partition_config_selectorILNS1_17partition_subalgoE5ElNS0_10empty_typeEbEEZZNS1_14partition_implILS5_5ELb0ES3_mN6hipcub16HIPCUB_304000_NS21CountingInputIteratorIllEEPS6_NSA_22TransformInputIteratorIb7NonZeroIiEPilEENS0_5tupleIJPlS6_EEENSJ_IJSD_SD_EEES6_SK_JS6_EEE10hipError_tPvRmT3_T4_T5_T6_T7_T9_mT8_P12ihipStream_tbDpT10_ENKUlT_T0_E_clISt17integral_constantIbLb0EES15_IbLb1EEEEDaS11_S12_EUlS11_E_NS1_11comp_targetILNS1_3genE2ELNS1_11target_archE906ELNS1_3gpuE6ELNS1_3repE0EEENS1_30default_config_static_selectorELNS0_4arch9wavefront6targetE1EEEvT1_
                                        ; -- End function
	.set _ZN7rocprim17ROCPRIM_400000_NS6detail17trampoline_kernelINS0_14default_configENS1_25partition_config_selectorILNS1_17partition_subalgoE5ElNS0_10empty_typeEbEEZZNS1_14partition_implILS5_5ELb0ES3_mN6hipcub16HIPCUB_304000_NS21CountingInputIteratorIllEEPS6_NSA_22TransformInputIteratorIb7NonZeroIiEPilEENS0_5tupleIJPlS6_EEENSJ_IJSD_SD_EEES6_SK_JS6_EEE10hipError_tPvRmT3_T4_T5_T6_T7_T9_mT8_P12ihipStream_tbDpT10_ENKUlT_T0_E_clISt17integral_constantIbLb0EES15_IbLb1EEEEDaS11_S12_EUlS11_E_NS1_11comp_targetILNS1_3genE2ELNS1_11target_archE906ELNS1_3gpuE6ELNS1_3repE0EEENS1_30default_config_static_selectorELNS0_4arch9wavefront6targetE1EEEvT1_.num_vgpr, 59
	.set _ZN7rocprim17ROCPRIM_400000_NS6detail17trampoline_kernelINS0_14default_configENS1_25partition_config_selectorILNS1_17partition_subalgoE5ElNS0_10empty_typeEbEEZZNS1_14partition_implILS5_5ELb0ES3_mN6hipcub16HIPCUB_304000_NS21CountingInputIteratorIllEEPS6_NSA_22TransformInputIteratorIb7NonZeroIiEPilEENS0_5tupleIJPlS6_EEENSJ_IJSD_SD_EEES6_SK_JS6_EEE10hipError_tPvRmT3_T4_T5_T6_T7_T9_mT8_P12ihipStream_tbDpT10_ENKUlT_T0_E_clISt17integral_constantIbLb0EES15_IbLb1EEEEDaS11_S12_EUlS11_E_NS1_11comp_targetILNS1_3genE2ELNS1_11target_archE906ELNS1_3gpuE6ELNS1_3repE0EEENS1_30default_config_static_selectorELNS0_4arch9wavefront6targetE1EEEvT1_.num_agpr, 0
	.set _ZN7rocprim17ROCPRIM_400000_NS6detail17trampoline_kernelINS0_14default_configENS1_25partition_config_selectorILNS1_17partition_subalgoE5ElNS0_10empty_typeEbEEZZNS1_14partition_implILS5_5ELb0ES3_mN6hipcub16HIPCUB_304000_NS21CountingInputIteratorIllEEPS6_NSA_22TransformInputIteratorIb7NonZeroIiEPilEENS0_5tupleIJPlS6_EEENSJ_IJSD_SD_EEES6_SK_JS6_EEE10hipError_tPvRmT3_T4_T5_T6_T7_T9_mT8_P12ihipStream_tbDpT10_ENKUlT_T0_E_clISt17integral_constantIbLb0EES15_IbLb1EEEEDaS11_S12_EUlS11_E_NS1_11comp_targetILNS1_3genE2ELNS1_11target_archE906ELNS1_3gpuE6ELNS1_3repE0EEENS1_30default_config_static_selectorELNS0_4arch9wavefront6targetE1EEEvT1_.numbered_sgpr, 28
	.set _ZN7rocprim17ROCPRIM_400000_NS6detail17trampoline_kernelINS0_14default_configENS1_25partition_config_selectorILNS1_17partition_subalgoE5ElNS0_10empty_typeEbEEZZNS1_14partition_implILS5_5ELb0ES3_mN6hipcub16HIPCUB_304000_NS21CountingInputIteratorIllEEPS6_NSA_22TransformInputIteratorIb7NonZeroIiEPilEENS0_5tupleIJPlS6_EEENSJ_IJSD_SD_EEES6_SK_JS6_EEE10hipError_tPvRmT3_T4_T5_T6_T7_T9_mT8_P12ihipStream_tbDpT10_ENKUlT_T0_E_clISt17integral_constantIbLb0EES15_IbLb1EEEEDaS11_S12_EUlS11_E_NS1_11comp_targetILNS1_3genE2ELNS1_11target_archE906ELNS1_3gpuE6ELNS1_3repE0EEENS1_30default_config_static_selectorELNS0_4arch9wavefront6targetE1EEEvT1_.num_named_barrier, 0
	.set _ZN7rocprim17ROCPRIM_400000_NS6detail17trampoline_kernelINS0_14default_configENS1_25partition_config_selectorILNS1_17partition_subalgoE5ElNS0_10empty_typeEbEEZZNS1_14partition_implILS5_5ELb0ES3_mN6hipcub16HIPCUB_304000_NS21CountingInputIteratorIllEEPS6_NSA_22TransformInputIteratorIb7NonZeroIiEPilEENS0_5tupleIJPlS6_EEENSJ_IJSD_SD_EEES6_SK_JS6_EEE10hipError_tPvRmT3_T4_T5_T6_T7_T9_mT8_P12ihipStream_tbDpT10_ENKUlT_T0_E_clISt17integral_constantIbLb0EES15_IbLb1EEEEDaS11_S12_EUlS11_E_NS1_11comp_targetILNS1_3genE2ELNS1_11target_archE906ELNS1_3gpuE6ELNS1_3repE0EEENS1_30default_config_static_selectorELNS0_4arch9wavefront6targetE1EEEvT1_.private_seg_size, 0
	.set _ZN7rocprim17ROCPRIM_400000_NS6detail17trampoline_kernelINS0_14default_configENS1_25partition_config_selectorILNS1_17partition_subalgoE5ElNS0_10empty_typeEbEEZZNS1_14partition_implILS5_5ELb0ES3_mN6hipcub16HIPCUB_304000_NS21CountingInputIteratorIllEEPS6_NSA_22TransformInputIteratorIb7NonZeroIiEPilEENS0_5tupleIJPlS6_EEENSJ_IJSD_SD_EEES6_SK_JS6_EEE10hipError_tPvRmT3_T4_T5_T6_T7_T9_mT8_P12ihipStream_tbDpT10_ENKUlT_T0_E_clISt17integral_constantIbLb0EES15_IbLb1EEEEDaS11_S12_EUlS11_E_NS1_11comp_targetILNS1_3genE2ELNS1_11target_archE906ELNS1_3gpuE6ELNS1_3repE0EEENS1_30default_config_static_selectorELNS0_4arch9wavefront6targetE1EEEvT1_.uses_vcc, 1
	.set _ZN7rocprim17ROCPRIM_400000_NS6detail17trampoline_kernelINS0_14default_configENS1_25partition_config_selectorILNS1_17partition_subalgoE5ElNS0_10empty_typeEbEEZZNS1_14partition_implILS5_5ELb0ES3_mN6hipcub16HIPCUB_304000_NS21CountingInputIteratorIllEEPS6_NSA_22TransformInputIteratorIb7NonZeroIiEPilEENS0_5tupleIJPlS6_EEENSJ_IJSD_SD_EEES6_SK_JS6_EEE10hipError_tPvRmT3_T4_T5_T6_T7_T9_mT8_P12ihipStream_tbDpT10_ENKUlT_T0_E_clISt17integral_constantIbLb0EES15_IbLb1EEEEDaS11_S12_EUlS11_E_NS1_11comp_targetILNS1_3genE2ELNS1_11target_archE906ELNS1_3gpuE6ELNS1_3repE0EEENS1_30default_config_static_selectorELNS0_4arch9wavefront6targetE1EEEvT1_.uses_flat_scratch, 0
	.set _ZN7rocprim17ROCPRIM_400000_NS6detail17trampoline_kernelINS0_14default_configENS1_25partition_config_selectorILNS1_17partition_subalgoE5ElNS0_10empty_typeEbEEZZNS1_14partition_implILS5_5ELb0ES3_mN6hipcub16HIPCUB_304000_NS21CountingInputIteratorIllEEPS6_NSA_22TransformInputIteratorIb7NonZeroIiEPilEENS0_5tupleIJPlS6_EEENSJ_IJSD_SD_EEES6_SK_JS6_EEE10hipError_tPvRmT3_T4_T5_T6_T7_T9_mT8_P12ihipStream_tbDpT10_ENKUlT_T0_E_clISt17integral_constantIbLb0EES15_IbLb1EEEEDaS11_S12_EUlS11_E_NS1_11comp_targetILNS1_3genE2ELNS1_11target_archE906ELNS1_3gpuE6ELNS1_3repE0EEENS1_30default_config_static_selectorELNS0_4arch9wavefront6targetE1EEEvT1_.has_dyn_sized_stack, 0
	.set _ZN7rocprim17ROCPRIM_400000_NS6detail17trampoline_kernelINS0_14default_configENS1_25partition_config_selectorILNS1_17partition_subalgoE5ElNS0_10empty_typeEbEEZZNS1_14partition_implILS5_5ELb0ES3_mN6hipcub16HIPCUB_304000_NS21CountingInputIteratorIllEEPS6_NSA_22TransformInputIteratorIb7NonZeroIiEPilEENS0_5tupleIJPlS6_EEENSJ_IJSD_SD_EEES6_SK_JS6_EEE10hipError_tPvRmT3_T4_T5_T6_T7_T9_mT8_P12ihipStream_tbDpT10_ENKUlT_T0_E_clISt17integral_constantIbLb0EES15_IbLb1EEEEDaS11_S12_EUlS11_E_NS1_11comp_targetILNS1_3genE2ELNS1_11target_archE906ELNS1_3gpuE6ELNS1_3repE0EEENS1_30default_config_static_selectorELNS0_4arch9wavefront6targetE1EEEvT1_.has_recursion, 0
	.set _ZN7rocprim17ROCPRIM_400000_NS6detail17trampoline_kernelINS0_14default_configENS1_25partition_config_selectorILNS1_17partition_subalgoE5ElNS0_10empty_typeEbEEZZNS1_14partition_implILS5_5ELb0ES3_mN6hipcub16HIPCUB_304000_NS21CountingInputIteratorIllEEPS6_NSA_22TransformInputIteratorIb7NonZeroIiEPilEENS0_5tupleIJPlS6_EEENSJ_IJSD_SD_EEES6_SK_JS6_EEE10hipError_tPvRmT3_T4_T5_T6_T7_T9_mT8_P12ihipStream_tbDpT10_ENKUlT_T0_E_clISt17integral_constantIbLb0EES15_IbLb1EEEEDaS11_S12_EUlS11_E_NS1_11comp_targetILNS1_3genE2ELNS1_11target_archE906ELNS1_3gpuE6ELNS1_3repE0EEENS1_30default_config_static_selectorELNS0_4arch9wavefront6targetE1EEEvT1_.has_indirect_call, 0
	.section	.AMDGPU.csdata,"",@progbits
; Kernel info:
; codeLenInByte = 6052
; TotalNumSgprs: 32
; NumVgprs: 59
; ScratchSize: 0
; MemoryBound: 0
; FloatMode: 240
; IeeeMode: 1
; LDSByteSize: 14352 bytes/workgroup (compile time only)
; SGPRBlocks: 12
; VGPRBlocks: 14
; NumSGPRsForWavesPerEU: 102
; NumVGPRsForWavesPerEU: 59
; Occupancy: 4
; WaveLimiterHint : 1
; COMPUTE_PGM_RSRC2:SCRATCH_EN: 0
; COMPUTE_PGM_RSRC2:USER_SGPR: 6
; COMPUTE_PGM_RSRC2:TRAP_HANDLER: 0
; COMPUTE_PGM_RSRC2:TGID_X_EN: 1
; COMPUTE_PGM_RSRC2:TGID_Y_EN: 0
; COMPUTE_PGM_RSRC2:TGID_Z_EN: 0
; COMPUTE_PGM_RSRC2:TIDIG_COMP_CNT: 0
	.section	.text._ZN7rocprim17ROCPRIM_400000_NS6detail17trampoline_kernelINS0_14default_configENS1_25partition_config_selectorILNS1_17partition_subalgoE5ElNS0_10empty_typeEbEEZZNS1_14partition_implILS5_5ELb0ES3_mN6hipcub16HIPCUB_304000_NS21CountingInputIteratorIllEEPS6_NSA_22TransformInputIteratorIb7NonZeroIiEPilEENS0_5tupleIJPlS6_EEENSJ_IJSD_SD_EEES6_SK_JS6_EEE10hipError_tPvRmT3_T4_T5_T6_T7_T9_mT8_P12ihipStream_tbDpT10_ENKUlT_T0_E_clISt17integral_constantIbLb0EES15_IbLb1EEEEDaS11_S12_EUlS11_E_NS1_11comp_targetILNS1_3genE10ELNS1_11target_archE1200ELNS1_3gpuE4ELNS1_3repE0EEENS1_30default_config_static_selectorELNS0_4arch9wavefront6targetE1EEEvT1_,"axG",@progbits,_ZN7rocprim17ROCPRIM_400000_NS6detail17trampoline_kernelINS0_14default_configENS1_25partition_config_selectorILNS1_17partition_subalgoE5ElNS0_10empty_typeEbEEZZNS1_14partition_implILS5_5ELb0ES3_mN6hipcub16HIPCUB_304000_NS21CountingInputIteratorIllEEPS6_NSA_22TransformInputIteratorIb7NonZeroIiEPilEENS0_5tupleIJPlS6_EEENSJ_IJSD_SD_EEES6_SK_JS6_EEE10hipError_tPvRmT3_T4_T5_T6_T7_T9_mT8_P12ihipStream_tbDpT10_ENKUlT_T0_E_clISt17integral_constantIbLb0EES15_IbLb1EEEEDaS11_S12_EUlS11_E_NS1_11comp_targetILNS1_3genE10ELNS1_11target_archE1200ELNS1_3gpuE4ELNS1_3repE0EEENS1_30default_config_static_selectorELNS0_4arch9wavefront6targetE1EEEvT1_,comdat
	.protected	_ZN7rocprim17ROCPRIM_400000_NS6detail17trampoline_kernelINS0_14default_configENS1_25partition_config_selectorILNS1_17partition_subalgoE5ElNS0_10empty_typeEbEEZZNS1_14partition_implILS5_5ELb0ES3_mN6hipcub16HIPCUB_304000_NS21CountingInputIteratorIllEEPS6_NSA_22TransformInputIteratorIb7NonZeroIiEPilEENS0_5tupleIJPlS6_EEENSJ_IJSD_SD_EEES6_SK_JS6_EEE10hipError_tPvRmT3_T4_T5_T6_T7_T9_mT8_P12ihipStream_tbDpT10_ENKUlT_T0_E_clISt17integral_constantIbLb0EES15_IbLb1EEEEDaS11_S12_EUlS11_E_NS1_11comp_targetILNS1_3genE10ELNS1_11target_archE1200ELNS1_3gpuE4ELNS1_3repE0EEENS1_30default_config_static_selectorELNS0_4arch9wavefront6targetE1EEEvT1_ ; -- Begin function _ZN7rocprim17ROCPRIM_400000_NS6detail17trampoline_kernelINS0_14default_configENS1_25partition_config_selectorILNS1_17partition_subalgoE5ElNS0_10empty_typeEbEEZZNS1_14partition_implILS5_5ELb0ES3_mN6hipcub16HIPCUB_304000_NS21CountingInputIteratorIllEEPS6_NSA_22TransformInputIteratorIb7NonZeroIiEPilEENS0_5tupleIJPlS6_EEENSJ_IJSD_SD_EEES6_SK_JS6_EEE10hipError_tPvRmT3_T4_T5_T6_T7_T9_mT8_P12ihipStream_tbDpT10_ENKUlT_T0_E_clISt17integral_constantIbLb0EES15_IbLb1EEEEDaS11_S12_EUlS11_E_NS1_11comp_targetILNS1_3genE10ELNS1_11target_archE1200ELNS1_3gpuE4ELNS1_3repE0EEENS1_30default_config_static_selectorELNS0_4arch9wavefront6targetE1EEEvT1_
	.globl	_ZN7rocprim17ROCPRIM_400000_NS6detail17trampoline_kernelINS0_14default_configENS1_25partition_config_selectorILNS1_17partition_subalgoE5ElNS0_10empty_typeEbEEZZNS1_14partition_implILS5_5ELb0ES3_mN6hipcub16HIPCUB_304000_NS21CountingInputIteratorIllEEPS6_NSA_22TransformInputIteratorIb7NonZeroIiEPilEENS0_5tupleIJPlS6_EEENSJ_IJSD_SD_EEES6_SK_JS6_EEE10hipError_tPvRmT3_T4_T5_T6_T7_T9_mT8_P12ihipStream_tbDpT10_ENKUlT_T0_E_clISt17integral_constantIbLb0EES15_IbLb1EEEEDaS11_S12_EUlS11_E_NS1_11comp_targetILNS1_3genE10ELNS1_11target_archE1200ELNS1_3gpuE4ELNS1_3repE0EEENS1_30default_config_static_selectorELNS0_4arch9wavefront6targetE1EEEvT1_
	.p2align	8
	.type	_ZN7rocprim17ROCPRIM_400000_NS6detail17trampoline_kernelINS0_14default_configENS1_25partition_config_selectorILNS1_17partition_subalgoE5ElNS0_10empty_typeEbEEZZNS1_14partition_implILS5_5ELb0ES3_mN6hipcub16HIPCUB_304000_NS21CountingInputIteratorIllEEPS6_NSA_22TransformInputIteratorIb7NonZeroIiEPilEENS0_5tupleIJPlS6_EEENSJ_IJSD_SD_EEES6_SK_JS6_EEE10hipError_tPvRmT3_T4_T5_T6_T7_T9_mT8_P12ihipStream_tbDpT10_ENKUlT_T0_E_clISt17integral_constantIbLb0EES15_IbLb1EEEEDaS11_S12_EUlS11_E_NS1_11comp_targetILNS1_3genE10ELNS1_11target_archE1200ELNS1_3gpuE4ELNS1_3repE0EEENS1_30default_config_static_selectorELNS0_4arch9wavefront6targetE1EEEvT1_,@function
_ZN7rocprim17ROCPRIM_400000_NS6detail17trampoline_kernelINS0_14default_configENS1_25partition_config_selectorILNS1_17partition_subalgoE5ElNS0_10empty_typeEbEEZZNS1_14partition_implILS5_5ELb0ES3_mN6hipcub16HIPCUB_304000_NS21CountingInputIteratorIllEEPS6_NSA_22TransformInputIteratorIb7NonZeroIiEPilEENS0_5tupleIJPlS6_EEENSJ_IJSD_SD_EEES6_SK_JS6_EEE10hipError_tPvRmT3_T4_T5_T6_T7_T9_mT8_P12ihipStream_tbDpT10_ENKUlT_T0_E_clISt17integral_constantIbLb0EES15_IbLb1EEEEDaS11_S12_EUlS11_E_NS1_11comp_targetILNS1_3genE10ELNS1_11target_archE1200ELNS1_3gpuE4ELNS1_3repE0EEENS1_30default_config_static_selectorELNS0_4arch9wavefront6targetE1EEEvT1_: ; @_ZN7rocprim17ROCPRIM_400000_NS6detail17trampoline_kernelINS0_14default_configENS1_25partition_config_selectorILNS1_17partition_subalgoE5ElNS0_10empty_typeEbEEZZNS1_14partition_implILS5_5ELb0ES3_mN6hipcub16HIPCUB_304000_NS21CountingInputIteratorIllEEPS6_NSA_22TransformInputIteratorIb7NonZeroIiEPilEENS0_5tupleIJPlS6_EEENSJ_IJSD_SD_EEES6_SK_JS6_EEE10hipError_tPvRmT3_T4_T5_T6_T7_T9_mT8_P12ihipStream_tbDpT10_ENKUlT_T0_E_clISt17integral_constantIbLb0EES15_IbLb1EEEEDaS11_S12_EUlS11_E_NS1_11comp_targetILNS1_3genE10ELNS1_11target_archE1200ELNS1_3gpuE4ELNS1_3repE0EEENS1_30default_config_static_selectorELNS0_4arch9wavefront6targetE1EEEvT1_
; %bb.0:
	.section	.rodata,"a",@progbits
	.p2align	6, 0x0
	.amdhsa_kernel _ZN7rocprim17ROCPRIM_400000_NS6detail17trampoline_kernelINS0_14default_configENS1_25partition_config_selectorILNS1_17partition_subalgoE5ElNS0_10empty_typeEbEEZZNS1_14partition_implILS5_5ELb0ES3_mN6hipcub16HIPCUB_304000_NS21CountingInputIteratorIllEEPS6_NSA_22TransformInputIteratorIb7NonZeroIiEPilEENS0_5tupleIJPlS6_EEENSJ_IJSD_SD_EEES6_SK_JS6_EEE10hipError_tPvRmT3_T4_T5_T6_T7_T9_mT8_P12ihipStream_tbDpT10_ENKUlT_T0_E_clISt17integral_constantIbLb0EES15_IbLb1EEEEDaS11_S12_EUlS11_E_NS1_11comp_targetILNS1_3genE10ELNS1_11target_archE1200ELNS1_3gpuE4ELNS1_3repE0EEENS1_30default_config_static_selectorELNS0_4arch9wavefront6targetE1EEEvT1_
		.amdhsa_group_segment_fixed_size 0
		.amdhsa_private_segment_fixed_size 0
		.amdhsa_kernarg_size 136
		.amdhsa_user_sgpr_count 6
		.amdhsa_user_sgpr_private_segment_buffer 1
		.amdhsa_user_sgpr_dispatch_ptr 0
		.amdhsa_user_sgpr_queue_ptr 0
		.amdhsa_user_sgpr_kernarg_segment_ptr 1
		.amdhsa_user_sgpr_dispatch_id 0
		.amdhsa_user_sgpr_flat_scratch_init 0
		.amdhsa_user_sgpr_private_segment_size 0
		.amdhsa_uses_dynamic_stack 0
		.amdhsa_system_sgpr_private_segment_wavefront_offset 0
		.amdhsa_system_sgpr_workgroup_id_x 1
		.amdhsa_system_sgpr_workgroup_id_y 0
		.amdhsa_system_sgpr_workgroup_id_z 0
		.amdhsa_system_sgpr_workgroup_info 0
		.amdhsa_system_vgpr_workitem_id 0
		.amdhsa_next_free_vgpr 1
		.amdhsa_next_free_sgpr 0
		.amdhsa_reserve_vcc 0
		.amdhsa_reserve_flat_scratch 0
		.amdhsa_float_round_mode_32 0
		.amdhsa_float_round_mode_16_64 0
		.amdhsa_float_denorm_mode_32 3
		.amdhsa_float_denorm_mode_16_64 3
		.amdhsa_dx10_clamp 1
		.amdhsa_ieee_mode 1
		.amdhsa_fp16_overflow 0
		.amdhsa_exception_fp_ieee_invalid_op 0
		.amdhsa_exception_fp_denorm_src 0
		.amdhsa_exception_fp_ieee_div_zero 0
		.amdhsa_exception_fp_ieee_overflow 0
		.amdhsa_exception_fp_ieee_underflow 0
		.amdhsa_exception_fp_ieee_inexact 0
		.amdhsa_exception_int_div_zero 0
	.end_amdhsa_kernel
	.section	.text._ZN7rocprim17ROCPRIM_400000_NS6detail17trampoline_kernelINS0_14default_configENS1_25partition_config_selectorILNS1_17partition_subalgoE5ElNS0_10empty_typeEbEEZZNS1_14partition_implILS5_5ELb0ES3_mN6hipcub16HIPCUB_304000_NS21CountingInputIteratorIllEEPS6_NSA_22TransformInputIteratorIb7NonZeroIiEPilEENS0_5tupleIJPlS6_EEENSJ_IJSD_SD_EEES6_SK_JS6_EEE10hipError_tPvRmT3_T4_T5_T6_T7_T9_mT8_P12ihipStream_tbDpT10_ENKUlT_T0_E_clISt17integral_constantIbLb0EES15_IbLb1EEEEDaS11_S12_EUlS11_E_NS1_11comp_targetILNS1_3genE10ELNS1_11target_archE1200ELNS1_3gpuE4ELNS1_3repE0EEENS1_30default_config_static_selectorELNS0_4arch9wavefront6targetE1EEEvT1_,"axG",@progbits,_ZN7rocprim17ROCPRIM_400000_NS6detail17trampoline_kernelINS0_14default_configENS1_25partition_config_selectorILNS1_17partition_subalgoE5ElNS0_10empty_typeEbEEZZNS1_14partition_implILS5_5ELb0ES3_mN6hipcub16HIPCUB_304000_NS21CountingInputIteratorIllEEPS6_NSA_22TransformInputIteratorIb7NonZeroIiEPilEENS0_5tupleIJPlS6_EEENSJ_IJSD_SD_EEES6_SK_JS6_EEE10hipError_tPvRmT3_T4_T5_T6_T7_T9_mT8_P12ihipStream_tbDpT10_ENKUlT_T0_E_clISt17integral_constantIbLb0EES15_IbLb1EEEEDaS11_S12_EUlS11_E_NS1_11comp_targetILNS1_3genE10ELNS1_11target_archE1200ELNS1_3gpuE4ELNS1_3repE0EEENS1_30default_config_static_selectorELNS0_4arch9wavefront6targetE1EEEvT1_,comdat
.Lfunc_end214:
	.size	_ZN7rocprim17ROCPRIM_400000_NS6detail17trampoline_kernelINS0_14default_configENS1_25partition_config_selectorILNS1_17partition_subalgoE5ElNS0_10empty_typeEbEEZZNS1_14partition_implILS5_5ELb0ES3_mN6hipcub16HIPCUB_304000_NS21CountingInputIteratorIllEEPS6_NSA_22TransformInputIteratorIb7NonZeroIiEPilEENS0_5tupleIJPlS6_EEENSJ_IJSD_SD_EEES6_SK_JS6_EEE10hipError_tPvRmT3_T4_T5_T6_T7_T9_mT8_P12ihipStream_tbDpT10_ENKUlT_T0_E_clISt17integral_constantIbLb0EES15_IbLb1EEEEDaS11_S12_EUlS11_E_NS1_11comp_targetILNS1_3genE10ELNS1_11target_archE1200ELNS1_3gpuE4ELNS1_3repE0EEENS1_30default_config_static_selectorELNS0_4arch9wavefront6targetE1EEEvT1_, .Lfunc_end214-_ZN7rocprim17ROCPRIM_400000_NS6detail17trampoline_kernelINS0_14default_configENS1_25partition_config_selectorILNS1_17partition_subalgoE5ElNS0_10empty_typeEbEEZZNS1_14partition_implILS5_5ELb0ES3_mN6hipcub16HIPCUB_304000_NS21CountingInputIteratorIllEEPS6_NSA_22TransformInputIteratorIb7NonZeroIiEPilEENS0_5tupleIJPlS6_EEENSJ_IJSD_SD_EEES6_SK_JS6_EEE10hipError_tPvRmT3_T4_T5_T6_T7_T9_mT8_P12ihipStream_tbDpT10_ENKUlT_T0_E_clISt17integral_constantIbLb0EES15_IbLb1EEEEDaS11_S12_EUlS11_E_NS1_11comp_targetILNS1_3genE10ELNS1_11target_archE1200ELNS1_3gpuE4ELNS1_3repE0EEENS1_30default_config_static_selectorELNS0_4arch9wavefront6targetE1EEEvT1_
                                        ; -- End function
	.set _ZN7rocprim17ROCPRIM_400000_NS6detail17trampoline_kernelINS0_14default_configENS1_25partition_config_selectorILNS1_17partition_subalgoE5ElNS0_10empty_typeEbEEZZNS1_14partition_implILS5_5ELb0ES3_mN6hipcub16HIPCUB_304000_NS21CountingInputIteratorIllEEPS6_NSA_22TransformInputIteratorIb7NonZeroIiEPilEENS0_5tupleIJPlS6_EEENSJ_IJSD_SD_EEES6_SK_JS6_EEE10hipError_tPvRmT3_T4_T5_T6_T7_T9_mT8_P12ihipStream_tbDpT10_ENKUlT_T0_E_clISt17integral_constantIbLb0EES15_IbLb1EEEEDaS11_S12_EUlS11_E_NS1_11comp_targetILNS1_3genE10ELNS1_11target_archE1200ELNS1_3gpuE4ELNS1_3repE0EEENS1_30default_config_static_selectorELNS0_4arch9wavefront6targetE1EEEvT1_.num_vgpr, 0
	.set _ZN7rocprim17ROCPRIM_400000_NS6detail17trampoline_kernelINS0_14default_configENS1_25partition_config_selectorILNS1_17partition_subalgoE5ElNS0_10empty_typeEbEEZZNS1_14partition_implILS5_5ELb0ES3_mN6hipcub16HIPCUB_304000_NS21CountingInputIteratorIllEEPS6_NSA_22TransformInputIteratorIb7NonZeroIiEPilEENS0_5tupleIJPlS6_EEENSJ_IJSD_SD_EEES6_SK_JS6_EEE10hipError_tPvRmT3_T4_T5_T6_T7_T9_mT8_P12ihipStream_tbDpT10_ENKUlT_T0_E_clISt17integral_constantIbLb0EES15_IbLb1EEEEDaS11_S12_EUlS11_E_NS1_11comp_targetILNS1_3genE10ELNS1_11target_archE1200ELNS1_3gpuE4ELNS1_3repE0EEENS1_30default_config_static_selectorELNS0_4arch9wavefront6targetE1EEEvT1_.num_agpr, 0
	.set _ZN7rocprim17ROCPRIM_400000_NS6detail17trampoline_kernelINS0_14default_configENS1_25partition_config_selectorILNS1_17partition_subalgoE5ElNS0_10empty_typeEbEEZZNS1_14partition_implILS5_5ELb0ES3_mN6hipcub16HIPCUB_304000_NS21CountingInputIteratorIllEEPS6_NSA_22TransformInputIteratorIb7NonZeroIiEPilEENS0_5tupleIJPlS6_EEENSJ_IJSD_SD_EEES6_SK_JS6_EEE10hipError_tPvRmT3_T4_T5_T6_T7_T9_mT8_P12ihipStream_tbDpT10_ENKUlT_T0_E_clISt17integral_constantIbLb0EES15_IbLb1EEEEDaS11_S12_EUlS11_E_NS1_11comp_targetILNS1_3genE10ELNS1_11target_archE1200ELNS1_3gpuE4ELNS1_3repE0EEENS1_30default_config_static_selectorELNS0_4arch9wavefront6targetE1EEEvT1_.numbered_sgpr, 0
	.set _ZN7rocprim17ROCPRIM_400000_NS6detail17trampoline_kernelINS0_14default_configENS1_25partition_config_selectorILNS1_17partition_subalgoE5ElNS0_10empty_typeEbEEZZNS1_14partition_implILS5_5ELb0ES3_mN6hipcub16HIPCUB_304000_NS21CountingInputIteratorIllEEPS6_NSA_22TransformInputIteratorIb7NonZeroIiEPilEENS0_5tupleIJPlS6_EEENSJ_IJSD_SD_EEES6_SK_JS6_EEE10hipError_tPvRmT3_T4_T5_T6_T7_T9_mT8_P12ihipStream_tbDpT10_ENKUlT_T0_E_clISt17integral_constantIbLb0EES15_IbLb1EEEEDaS11_S12_EUlS11_E_NS1_11comp_targetILNS1_3genE10ELNS1_11target_archE1200ELNS1_3gpuE4ELNS1_3repE0EEENS1_30default_config_static_selectorELNS0_4arch9wavefront6targetE1EEEvT1_.num_named_barrier, 0
	.set _ZN7rocprim17ROCPRIM_400000_NS6detail17trampoline_kernelINS0_14default_configENS1_25partition_config_selectorILNS1_17partition_subalgoE5ElNS0_10empty_typeEbEEZZNS1_14partition_implILS5_5ELb0ES3_mN6hipcub16HIPCUB_304000_NS21CountingInputIteratorIllEEPS6_NSA_22TransformInputIteratorIb7NonZeroIiEPilEENS0_5tupleIJPlS6_EEENSJ_IJSD_SD_EEES6_SK_JS6_EEE10hipError_tPvRmT3_T4_T5_T6_T7_T9_mT8_P12ihipStream_tbDpT10_ENKUlT_T0_E_clISt17integral_constantIbLb0EES15_IbLb1EEEEDaS11_S12_EUlS11_E_NS1_11comp_targetILNS1_3genE10ELNS1_11target_archE1200ELNS1_3gpuE4ELNS1_3repE0EEENS1_30default_config_static_selectorELNS0_4arch9wavefront6targetE1EEEvT1_.private_seg_size, 0
	.set _ZN7rocprim17ROCPRIM_400000_NS6detail17trampoline_kernelINS0_14default_configENS1_25partition_config_selectorILNS1_17partition_subalgoE5ElNS0_10empty_typeEbEEZZNS1_14partition_implILS5_5ELb0ES3_mN6hipcub16HIPCUB_304000_NS21CountingInputIteratorIllEEPS6_NSA_22TransformInputIteratorIb7NonZeroIiEPilEENS0_5tupleIJPlS6_EEENSJ_IJSD_SD_EEES6_SK_JS6_EEE10hipError_tPvRmT3_T4_T5_T6_T7_T9_mT8_P12ihipStream_tbDpT10_ENKUlT_T0_E_clISt17integral_constantIbLb0EES15_IbLb1EEEEDaS11_S12_EUlS11_E_NS1_11comp_targetILNS1_3genE10ELNS1_11target_archE1200ELNS1_3gpuE4ELNS1_3repE0EEENS1_30default_config_static_selectorELNS0_4arch9wavefront6targetE1EEEvT1_.uses_vcc, 0
	.set _ZN7rocprim17ROCPRIM_400000_NS6detail17trampoline_kernelINS0_14default_configENS1_25partition_config_selectorILNS1_17partition_subalgoE5ElNS0_10empty_typeEbEEZZNS1_14partition_implILS5_5ELb0ES3_mN6hipcub16HIPCUB_304000_NS21CountingInputIteratorIllEEPS6_NSA_22TransformInputIteratorIb7NonZeroIiEPilEENS0_5tupleIJPlS6_EEENSJ_IJSD_SD_EEES6_SK_JS6_EEE10hipError_tPvRmT3_T4_T5_T6_T7_T9_mT8_P12ihipStream_tbDpT10_ENKUlT_T0_E_clISt17integral_constantIbLb0EES15_IbLb1EEEEDaS11_S12_EUlS11_E_NS1_11comp_targetILNS1_3genE10ELNS1_11target_archE1200ELNS1_3gpuE4ELNS1_3repE0EEENS1_30default_config_static_selectorELNS0_4arch9wavefront6targetE1EEEvT1_.uses_flat_scratch, 0
	.set _ZN7rocprim17ROCPRIM_400000_NS6detail17trampoline_kernelINS0_14default_configENS1_25partition_config_selectorILNS1_17partition_subalgoE5ElNS0_10empty_typeEbEEZZNS1_14partition_implILS5_5ELb0ES3_mN6hipcub16HIPCUB_304000_NS21CountingInputIteratorIllEEPS6_NSA_22TransformInputIteratorIb7NonZeroIiEPilEENS0_5tupleIJPlS6_EEENSJ_IJSD_SD_EEES6_SK_JS6_EEE10hipError_tPvRmT3_T4_T5_T6_T7_T9_mT8_P12ihipStream_tbDpT10_ENKUlT_T0_E_clISt17integral_constantIbLb0EES15_IbLb1EEEEDaS11_S12_EUlS11_E_NS1_11comp_targetILNS1_3genE10ELNS1_11target_archE1200ELNS1_3gpuE4ELNS1_3repE0EEENS1_30default_config_static_selectorELNS0_4arch9wavefront6targetE1EEEvT1_.has_dyn_sized_stack, 0
	.set _ZN7rocprim17ROCPRIM_400000_NS6detail17trampoline_kernelINS0_14default_configENS1_25partition_config_selectorILNS1_17partition_subalgoE5ElNS0_10empty_typeEbEEZZNS1_14partition_implILS5_5ELb0ES3_mN6hipcub16HIPCUB_304000_NS21CountingInputIteratorIllEEPS6_NSA_22TransformInputIteratorIb7NonZeroIiEPilEENS0_5tupleIJPlS6_EEENSJ_IJSD_SD_EEES6_SK_JS6_EEE10hipError_tPvRmT3_T4_T5_T6_T7_T9_mT8_P12ihipStream_tbDpT10_ENKUlT_T0_E_clISt17integral_constantIbLb0EES15_IbLb1EEEEDaS11_S12_EUlS11_E_NS1_11comp_targetILNS1_3genE10ELNS1_11target_archE1200ELNS1_3gpuE4ELNS1_3repE0EEENS1_30default_config_static_selectorELNS0_4arch9wavefront6targetE1EEEvT1_.has_recursion, 0
	.set _ZN7rocprim17ROCPRIM_400000_NS6detail17trampoline_kernelINS0_14default_configENS1_25partition_config_selectorILNS1_17partition_subalgoE5ElNS0_10empty_typeEbEEZZNS1_14partition_implILS5_5ELb0ES3_mN6hipcub16HIPCUB_304000_NS21CountingInputIteratorIllEEPS6_NSA_22TransformInputIteratorIb7NonZeroIiEPilEENS0_5tupleIJPlS6_EEENSJ_IJSD_SD_EEES6_SK_JS6_EEE10hipError_tPvRmT3_T4_T5_T6_T7_T9_mT8_P12ihipStream_tbDpT10_ENKUlT_T0_E_clISt17integral_constantIbLb0EES15_IbLb1EEEEDaS11_S12_EUlS11_E_NS1_11comp_targetILNS1_3genE10ELNS1_11target_archE1200ELNS1_3gpuE4ELNS1_3repE0EEENS1_30default_config_static_selectorELNS0_4arch9wavefront6targetE1EEEvT1_.has_indirect_call, 0
	.section	.AMDGPU.csdata,"",@progbits
; Kernel info:
; codeLenInByte = 0
; TotalNumSgprs: 4
; NumVgprs: 0
; ScratchSize: 0
; MemoryBound: 0
; FloatMode: 240
; IeeeMode: 1
; LDSByteSize: 0 bytes/workgroup (compile time only)
; SGPRBlocks: 0
; VGPRBlocks: 0
; NumSGPRsForWavesPerEU: 4
; NumVGPRsForWavesPerEU: 1
; Occupancy: 10
; WaveLimiterHint : 0
; COMPUTE_PGM_RSRC2:SCRATCH_EN: 0
; COMPUTE_PGM_RSRC2:USER_SGPR: 6
; COMPUTE_PGM_RSRC2:TRAP_HANDLER: 0
; COMPUTE_PGM_RSRC2:TGID_X_EN: 1
; COMPUTE_PGM_RSRC2:TGID_Y_EN: 0
; COMPUTE_PGM_RSRC2:TGID_Z_EN: 0
; COMPUTE_PGM_RSRC2:TIDIG_COMP_CNT: 0
	.section	.text._ZN7rocprim17ROCPRIM_400000_NS6detail17trampoline_kernelINS0_14default_configENS1_25partition_config_selectorILNS1_17partition_subalgoE5ElNS0_10empty_typeEbEEZZNS1_14partition_implILS5_5ELb0ES3_mN6hipcub16HIPCUB_304000_NS21CountingInputIteratorIllEEPS6_NSA_22TransformInputIteratorIb7NonZeroIiEPilEENS0_5tupleIJPlS6_EEENSJ_IJSD_SD_EEES6_SK_JS6_EEE10hipError_tPvRmT3_T4_T5_T6_T7_T9_mT8_P12ihipStream_tbDpT10_ENKUlT_T0_E_clISt17integral_constantIbLb0EES15_IbLb1EEEEDaS11_S12_EUlS11_E_NS1_11comp_targetILNS1_3genE9ELNS1_11target_archE1100ELNS1_3gpuE3ELNS1_3repE0EEENS1_30default_config_static_selectorELNS0_4arch9wavefront6targetE1EEEvT1_,"axG",@progbits,_ZN7rocprim17ROCPRIM_400000_NS6detail17trampoline_kernelINS0_14default_configENS1_25partition_config_selectorILNS1_17partition_subalgoE5ElNS0_10empty_typeEbEEZZNS1_14partition_implILS5_5ELb0ES3_mN6hipcub16HIPCUB_304000_NS21CountingInputIteratorIllEEPS6_NSA_22TransformInputIteratorIb7NonZeroIiEPilEENS0_5tupleIJPlS6_EEENSJ_IJSD_SD_EEES6_SK_JS6_EEE10hipError_tPvRmT3_T4_T5_T6_T7_T9_mT8_P12ihipStream_tbDpT10_ENKUlT_T0_E_clISt17integral_constantIbLb0EES15_IbLb1EEEEDaS11_S12_EUlS11_E_NS1_11comp_targetILNS1_3genE9ELNS1_11target_archE1100ELNS1_3gpuE3ELNS1_3repE0EEENS1_30default_config_static_selectorELNS0_4arch9wavefront6targetE1EEEvT1_,comdat
	.protected	_ZN7rocprim17ROCPRIM_400000_NS6detail17trampoline_kernelINS0_14default_configENS1_25partition_config_selectorILNS1_17partition_subalgoE5ElNS0_10empty_typeEbEEZZNS1_14partition_implILS5_5ELb0ES3_mN6hipcub16HIPCUB_304000_NS21CountingInputIteratorIllEEPS6_NSA_22TransformInputIteratorIb7NonZeroIiEPilEENS0_5tupleIJPlS6_EEENSJ_IJSD_SD_EEES6_SK_JS6_EEE10hipError_tPvRmT3_T4_T5_T6_T7_T9_mT8_P12ihipStream_tbDpT10_ENKUlT_T0_E_clISt17integral_constantIbLb0EES15_IbLb1EEEEDaS11_S12_EUlS11_E_NS1_11comp_targetILNS1_3genE9ELNS1_11target_archE1100ELNS1_3gpuE3ELNS1_3repE0EEENS1_30default_config_static_selectorELNS0_4arch9wavefront6targetE1EEEvT1_ ; -- Begin function _ZN7rocprim17ROCPRIM_400000_NS6detail17trampoline_kernelINS0_14default_configENS1_25partition_config_selectorILNS1_17partition_subalgoE5ElNS0_10empty_typeEbEEZZNS1_14partition_implILS5_5ELb0ES3_mN6hipcub16HIPCUB_304000_NS21CountingInputIteratorIllEEPS6_NSA_22TransformInputIteratorIb7NonZeroIiEPilEENS0_5tupleIJPlS6_EEENSJ_IJSD_SD_EEES6_SK_JS6_EEE10hipError_tPvRmT3_T4_T5_T6_T7_T9_mT8_P12ihipStream_tbDpT10_ENKUlT_T0_E_clISt17integral_constantIbLb0EES15_IbLb1EEEEDaS11_S12_EUlS11_E_NS1_11comp_targetILNS1_3genE9ELNS1_11target_archE1100ELNS1_3gpuE3ELNS1_3repE0EEENS1_30default_config_static_selectorELNS0_4arch9wavefront6targetE1EEEvT1_
	.globl	_ZN7rocprim17ROCPRIM_400000_NS6detail17trampoline_kernelINS0_14default_configENS1_25partition_config_selectorILNS1_17partition_subalgoE5ElNS0_10empty_typeEbEEZZNS1_14partition_implILS5_5ELb0ES3_mN6hipcub16HIPCUB_304000_NS21CountingInputIteratorIllEEPS6_NSA_22TransformInputIteratorIb7NonZeroIiEPilEENS0_5tupleIJPlS6_EEENSJ_IJSD_SD_EEES6_SK_JS6_EEE10hipError_tPvRmT3_T4_T5_T6_T7_T9_mT8_P12ihipStream_tbDpT10_ENKUlT_T0_E_clISt17integral_constantIbLb0EES15_IbLb1EEEEDaS11_S12_EUlS11_E_NS1_11comp_targetILNS1_3genE9ELNS1_11target_archE1100ELNS1_3gpuE3ELNS1_3repE0EEENS1_30default_config_static_selectorELNS0_4arch9wavefront6targetE1EEEvT1_
	.p2align	8
	.type	_ZN7rocprim17ROCPRIM_400000_NS6detail17trampoline_kernelINS0_14default_configENS1_25partition_config_selectorILNS1_17partition_subalgoE5ElNS0_10empty_typeEbEEZZNS1_14partition_implILS5_5ELb0ES3_mN6hipcub16HIPCUB_304000_NS21CountingInputIteratorIllEEPS6_NSA_22TransformInputIteratorIb7NonZeroIiEPilEENS0_5tupleIJPlS6_EEENSJ_IJSD_SD_EEES6_SK_JS6_EEE10hipError_tPvRmT3_T4_T5_T6_T7_T9_mT8_P12ihipStream_tbDpT10_ENKUlT_T0_E_clISt17integral_constantIbLb0EES15_IbLb1EEEEDaS11_S12_EUlS11_E_NS1_11comp_targetILNS1_3genE9ELNS1_11target_archE1100ELNS1_3gpuE3ELNS1_3repE0EEENS1_30default_config_static_selectorELNS0_4arch9wavefront6targetE1EEEvT1_,@function
_ZN7rocprim17ROCPRIM_400000_NS6detail17trampoline_kernelINS0_14default_configENS1_25partition_config_selectorILNS1_17partition_subalgoE5ElNS0_10empty_typeEbEEZZNS1_14partition_implILS5_5ELb0ES3_mN6hipcub16HIPCUB_304000_NS21CountingInputIteratorIllEEPS6_NSA_22TransformInputIteratorIb7NonZeroIiEPilEENS0_5tupleIJPlS6_EEENSJ_IJSD_SD_EEES6_SK_JS6_EEE10hipError_tPvRmT3_T4_T5_T6_T7_T9_mT8_P12ihipStream_tbDpT10_ENKUlT_T0_E_clISt17integral_constantIbLb0EES15_IbLb1EEEEDaS11_S12_EUlS11_E_NS1_11comp_targetILNS1_3genE9ELNS1_11target_archE1100ELNS1_3gpuE3ELNS1_3repE0EEENS1_30default_config_static_selectorELNS0_4arch9wavefront6targetE1EEEvT1_: ; @_ZN7rocprim17ROCPRIM_400000_NS6detail17trampoline_kernelINS0_14default_configENS1_25partition_config_selectorILNS1_17partition_subalgoE5ElNS0_10empty_typeEbEEZZNS1_14partition_implILS5_5ELb0ES3_mN6hipcub16HIPCUB_304000_NS21CountingInputIteratorIllEEPS6_NSA_22TransformInputIteratorIb7NonZeroIiEPilEENS0_5tupleIJPlS6_EEENSJ_IJSD_SD_EEES6_SK_JS6_EEE10hipError_tPvRmT3_T4_T5_T6_T7_T9_mT8_P12ihipStream_tbDpT10_ENKUlT_T0_E_clISt17integral_constantIbLb0EES15_IbLb1EEEEDaS11_S12_EUlS11_E_NS1_11comp_targetILNS1_3genE9ELNS1_11target_archE1100ELNS1_3gpuE3ELNS1_3repE0EEENS1_30default_config_static_selectorELNS0_4arch9wavefront6targetE1EEEvT1_
; %bb.0:
	.section	.rodata,"a",@progbits
	.p2align	6, 0x0
	.amdhsa_kernel _ZN7rocprim17ROCPRIM_400000_NS6detail17trampoline_kernelINS0_14default_configENS1_25partition_config_selectorILNS1_17partition_subalgoE5ElNS0_10empty_typeEbEEZZNS1_14partition_implILS5_5ELb0ES3_mN6hipcub16HIPCUB_304000_NS21CountingInputIteratorIllEEPS6_NSA_22TransformInputIteratorIb7NonZeroIiEPilEENS0_5tupleIJPlS6_EEENSJ_IJSD_SD_EEES6_SK_JS6_EEE10hipError_tPvRmT3_T4_T5_T6_T7_T9_mT8_P12ihipStream_tbDpT10_ENKUlT_T0_E_clISt17integral_constantIbLb0EES15_IbLb1EEEEDaS11_S12_EUlS11_E_NS1_11comp_targetILNS1_3genE9ELNS1_11target_archE1100ELNS1_3gpuE3ELNS1_3repE0EEENS1_30default_config_static_selectorELNS0_4arch9wavefront6targetE1EEEvT1_
		.amdhsa_group_segment_fixed_size 0
		.amdhsa_private_segment_fixed_size 0
		.amdhsa_kernarg_size 136
		.amdhsa_user_sgpr_count 6
		.amdhsa_user_sgpr_private_segment_buffer 1
		.amdhsa_user_sgpr_dispatch_ptr 0
		.amdhsa_user_sgpr_queue_ptr 0
		.amdhsa_user_sgpr_kernarg_segment_ptr 1
		.amdhsa_user_sgpr_dispatch_id 0
		.amdhsa_user_sgpr_flat_scratch_init 0
		.amdhsa_user_sgpr_private_segment_size 0
		.amdhsa_uses_dynamic_stack 0
		.amdhsa_system_sgpr_private_segment_wavefront_offset 0
		.amdhsa_system_sgpr_workgroup_id_x 1
		.amdhsa_system_sgpr_workgroup_id_y 0
		.amdhsa_system_sgpr_workgroup_id_z 0
		.amdhsa_system_sgpr_workgroup_info 0
		.amdhsa_system_vgpr_workitem_id 0
		.amdhsa_next_free_vgpr 1
		.amdhsa_next_free_sgpr 0
		.amdhsa_reserve_vcc 0
		.amdhsa_reserve_flat_scratch 0
		.amdhsa_float_round_mode_32 0
		.amdhsa_float_round_mode_16_64 0
		.amdhsa_float_denorm_mode_32 3
		.amdhsa_float_denorm_mode_16_64 3
		.amdhsa_dx10_clamp 1
		.amdhsa_ieee_mode 1
		.amdhsa_fp16_overflow 0
		.amdhsa_exception_fp_ieee_invalid_op 0
		.amdhsa_exception_fp_denorm_src 0
		.amdhsa_exception_fp_ieee_div_zero 0
		.amdhsa_exception_fp_ieee_overflow 0
		.amdhsa_exception_fp_ieee_underflow 0
		.amdhsa_exception_fp_ieee_inexact 0
		.amdhsa_exception_int_div_zero 0
	.end_amdhsa_kernel
	.section	.text._ZN7rocprim17ROCPRIM_400000_NS6detail17trampoline_kernelINS0_14default_configENS1_25partition_config_selectorILNS1_17partition_subalgoE5ElNS0_10empty_typeEbEEZZNS1_14partition_implILS5_5ELb0ES3_mN6hipcub16HIPCUB_304000_NS21CountingInputIteratorIllEEPS6_NSA_22TransformInputIteratorIb7NonZeroIiEPilEENS0_5tupleIJPlS6_EEENSJ_IJSD_SD_EEES6_SK_JS6_EEE10hipError_tPvRmT3_T4_T5_T6_T7_T9_mT8_P12ihipStream_tbDpT10_ENKUlT_T0_E_clISt17integral_constantIbLb0EES15_IbLb1EEEEDaS11_S12_EUlS11_E_NS1_11comp_targetILNS1_3genE9ELNS1_11target_archE1100ELNS1_3gpuE3ELNS1_3repE0EEENS1_30default_config_static_selectorELNS0_4arch9wavefront6targetE1EEEvT1_,"axG",@progbits,_ZN7rocprim17ROCPRIM_400000_NS6detail17trampoline_kernelINS0_14default_configENS1_25partition_config_selectorILNS1_17partition_subalgoE5ElNS0_10empty_typeEbEEZZNS1_14partition_implILS5_5ELb0ES3_mN6hipcub16HIPCUB_304000_NS21CountingInputIteratorIllEEPS6_NSA_22TransformInputIteratorIb7NonZeroIiEPilEENS0_5tupleIJPlS6_EEENSJ_IJSD_SD_EEES6_SK_JS6_EEE10hipError_tPvRmT3_T4_T5_T6_T7_T9_mT8_P12ihipStream_tbDpT10_ENKUlT_T0_E_clISt17integral_constantIbLb0EES15_IbLb1EEEEDaS11_S12_EUlS11_E_NS1_11comp_targetILNS1_3genE9ELNS1_11target_archE1100ELNS1_3gpuE3ELNS1_3repE0EEENS1_30default_config_static_selectorELNS0_4arch9wavefront6targetE1EEEvT1_,comdat
.Lfunc_end215:
	.size	_ZN7rocprim17ROCPRIM_400000_NS6detail17trampoline_kernelINS0_14default_configENS1_25partition_config_selectorILNS1_17partition_subalgoE5ElNS0_10empty_typeEbEEZZNS1_14partition_implILS5_5ELb0ES3_mN6hipcub16HIPCUB_304000_NS21CountingInputIteratorIllEEPS6_NSA_22TransformInputIteratorIb7NonZeroIiEPilEENS0_5tupleIJPlS6_EEENSJ_IJSD_SD_EEES6_SK_JS6_EEE10hipError_tPvRmT3_T4_T5_T6_T7_T9_mT8_P12ihipStream_tbDpT10_ENKUlT_T0_E_clISt17integral_constantIbLb0EES15_IbLb1EEEEDaS11_S12_EUlS11_E_NS1_11comp_targetILNS1_3genE9ELNS1_11target_archE1100ELNS1_3gpuE3ELNS1_3repE0EEENS1_30default_config_static_selectorELNS0_4arch9wavefront6targetE1EEEvT1_, .Lfunc_end215-_ZN7rocprim17ROCPRIM_400000_NS6detail17trampoline_kernelINS0_14default_configENS1_25partition_config_selectorILNS1_17partition_subalgoE5ElNS0_10empty_typeEbEEZZNS1_14partition_implILS5_5ELb0ES3_mN6hipcub16HIPCUB_304000_NS21CountingInputIteratorIllEEPS6_NSA_22TransformInputIteratorIb7NonZeroIiEPilEENS0_5tupleIJPlS6_EEENSJ_IJSD_SD_EEES6_SK_JS6_EEE10hipError_tPvRmT3_T4_T5_T6_T7_T9_mT8_P12ihipStream_tbDpT10_ENKUlT_T0_E_clISt17integral_constantIbLb0EES15_IbLb1EEEEDaS11_S12_EUlS11_E_NS1_11comp_targetILNS1_3genE9ELNS1_11target_archE1100ELNS1_3gpuE3ELNS1_3repE0EEENS1_30default_config_static_selectorELNS0_4arch9wavefront6targetE1EEEvT1_
                                        ; -- End function
	.set _ZN7rocprim17ROCPRIM_400000_NS6detail17trampoline_kernelINS0_14default_configENS1_25partition_config_selectorILNS1_17partition_subalgoE5ElNS0_10empty_typeEbEEZZNS1_14partition_implILS5_5ELb0ES3_mN6hipcub16HIPCUB_304000_NS21CountingInputIteratorIllEEPS6_NSA_22TransformInputIteratorIb7NonZeroIiEPilEENS0_5tupleIJPlS6_EEENSJ_IJSD_SD_EEES6_SK_JS6_EEE10hipError_tPvRmT3_T4_T5_T6_T7_T9_mT8_P12ihipStream_tbDpT10_ENKUlT_T0_E_clISt17integral_constantIbLb0EES15_IbLb1EEEEDaS11_S12_EUlS11_E_NS1_11comp_targetILNS1_3genE9ELNS1_11target_archE1100ELNS1_3gpuE3ELNS1_3repE0EEENS1_30default_config_static_selectorELNS0_4arch9wavefront6targetE1EEEvT1_.num_vgpr, 0
	.set _ZN7rocprim17ROCPRIM_400000_NS6detail17trampoline_kernelINS0_14default_configENS1_25partition_config_selectorILNS1_17partition_subalgoE5ElNS0_10empty_typeEbEEZZNS1_14partition_implILS5_5ELb0ES3_mN6hipcub16HIPCUB_304000_NS21CountingInputIteratorIllEEPS6_NSA_22TransformInputIteratorIb7NonZeroIiEPilEENS0_5tupleIJPlS6_EEENSJ_IJSD_SD_EEES6_SK_JS6_EEE10hipError_tPvRmT3_T4_T5_T6_T7_T9_mT8_P12ihipStream_tbDpT10_ENKUlT_T0_E_clISt17integral_constantIbLb0EES15_IbLb1EEEEDaS11_S12_EUlS11_E_NS1_11comp_targetILNS1_3genE9ELNS1_11target_archE1100ELNS1_3gpuE3ELNS1_3repE0EEENS1_30default_config_static_selectorELNS0_4arch9wavefront6targetE1EEEvT1_.num_agpr, 0
	.set _ZN7rocprim17ROCPRIM_400000_NS6detail17trampoline_kernelINS0_14default_configENS1_25partition_config_selectorILNS1_17partition_subalgoE5ElNS0_10empty_typeEbEEZZNS1_14partition_implILS5_5ELb0ES3_mN6hipcub16HIPCUB_304000_NS21CountingInputIteratorIllEEPS6_NSA_22TransformInputIteratorIb7NonZeroIiEPilEENS0_5tupleIJPlS6_EEENSJ_IJSD_SD_EEES6_SK_JS6_EEE10hipError_tPvRmT3_T4_T5_T6_T7_T9_mT8_P12ihipStream_tbDpT10_ENKUlT_T0_E_clISt17integral_constantIbLb0EES15_IbLb1EEEEDaS11_S12_EUlS11_E_NS1_11comp_targetILNS1_3genE9ELNS1_11target_archE1100ELNS1_3gpuE3ELNS1_3repE0EEENS1_30default_config_static_selectorELNS0_4arch9wavefront6targetE1EEEvT1_.numbered_sgpr, 0
	.set _ZN7rocprim17ROCPRIM_400000_NS6detail17trampoline_kernelINS0_14default_configENS1_25partition_config_selectorILNS1_17partition_subalgoE5ElNS0_10empty_typeEbEEZZNS1_14partition_implILS5_5ELb0ES3_mN6hipcub16HIPCUB_304000_NS21CountingInputIteratorIllEEPS6_NSA_22TransformInputIteratorIb7NonZeroIiEPilEENS0_5tupleIJPlS6_EEENSJ_IJSD_SD_EEES6_SK_JS6_EEE10hipError_tPvRmT3_T4_T5_T6_T7_T9_mT8_P12ihipStream_tbDpT10_ENKUlT_T0_E_clISt17integral_constantIbLb0EES15_IbLb1EEEEDaS11_S12_EUlS11_E_NS1_11comp_targetILNS1_3genE9ELNS1_11target_archE1100ELNS1_3gpuE3ELNS1_3repE0EEENS1_30default_config_static_selectorELNS0_4arch9wavefront6targetE1EEEvT1_.num_named_barrier, 0
	.set _ZN7rocprim17ROCPRIM_400000_NS6detail17trampoline_kernelINS0_14default_configENS1_25partition_config_selectorILNS1_17partition_subalgoE5ElNS0_10empty_typeEbEEZZNS1_14partition_implILS5_5ELb0ES3_mN6hipcub16HIPCUB_304000_NS21CountingInputIteratorIllEEPS6_NSA_22TransformInputIteratorIb7NonZeroIiEPilEENS0_5tupleIJPlS6_EEENSJ_IJSD_SD_EEES6_SK_JS6_EEE10hipError_tPvRmT3_T4_T5_T6_T7_T9_mT8_P12ihipStream_tbDpT10_ENKUlT_T0_E_clISt17integral_constantIbLb0EES15_IbLb1EEEEDaS11_S12_EUlS11_E_NS1_11comp_targetILNS1_3genE9ELNS1_11target_archE1100ELNS1_3gpuE3ELNS1_3repE0EEENS1_30default_config_static_selectorELNS0_4arch9wavefront6targetE1EEEvT1_.private_seg_size, 0
	.set _ZN7rocprim17ROCPRIM_400000_NS6detail17trampoline_kernelINS0_14default_configENS1_25partition_config_selectorILNS1_17partition_subalgoE5ElNS0_10empty_typeEbEEZZNS1_14partition_implILS5_5ELb0ES3_mN6hipcub16HIPCUB_304000_NS21CountingInputIteratorIllEEPS6_NSA_22TransformInputIteratorIb7NonZeroIiEPilEENS0_5tupleIJPlS6_EEENSJ_IJSD_SD_EEES6_SK_JS6_EEE10hipError_tPvRmT3_T4_T5_T6_T7_T9_mT8_P12ihipStream_tbDpT10_ENKUlT_T0_E_clISt17integral_constantIbLb0EES15_IbLb1EEEEDaS11_S12_EUlS11_E_NS1_11comp_targetILNS1_3genE9ELNS1_11target_archE1100ELNS1_3gpuE3ELNS1_3repE0EEENS1_30default_config_static_selectorELNS0_4arch9wavefront6targetE1EEEvT1_.uses_vcc, 0
	.set _ZN7rocprim17ROCPRIM_400000_NS6detail17trampoline_kernelINS0_14default_configENS1_25partition_config_selectorILNS1_17partition_subalgoE5ElNS0_10empty_typeEbEEZZNS1_14partition_implILS5_5ELb0ES3_mN6hipcub16HIPCUB_304000_NS21CountingInputIteratorIllEEPS6_NSA_22TransformInputIteratorIb7NonZeroIiEPilEENS0_5tupleIJPlS6_EEENSJ_IJSD_SD_EEES6_SK_JS6_EEE10hipError_tPvRmT3_T4_T5_T6_T7_T9_mT8_P12ihipStream_tbDpT10_ENKUlT_T0_E_clISt17integral_constantIbLb0EES15_IbLb1EEEEDaS11_S12_EUlS11_E_NS1_11comp_targetILNS1_3genE9ELNS1_11target_archE1100ELNS1_3gpuE3ELNS1_3repE0EEENS1_30default_config_static_selectorELNS0_4arch9wavefront6targetE1EEEvT1_.uses_flat_scratch, 0
	.set _ZN7rocprim17ROCPRIM_400000_NS6detail17trampoline_kernelINS0_14default_configENS1_25partition_config_selectorILNS1_17partition_subalgoE5ElNS0_10empty_typeEbEEZZNS1_14partition_implILS5_5ELb0ES3_mN6hipcub16HIPCUB_304000_NS21CountingInputIteratorIllEEPS6_NSA_22TransformInputIteratorIb7NonZeroIiEPilEENS0_5tupleIJPlS6_EEENSJ_IJSD_SD_EEES6_SK_JS6_EEE10hipError_tPvRmT3_T4_T5_T6_T7_T9_mT8_P12ihipStream_tbDpT10_ENKUlT_T0_E_clISt17integral_constantIbLb0EES15_IbLb1EEEEDaS11_S12_EUlS11_E_NS1_11comp_targetILNS1_3genE9ELNS1_11target_archE1100ELNS1_3gpuE3ELNS1_3repE0EEENS1_30default_config_static_selectorELNS0_4arch9wavefront6targetE1EEEvT1_.has_dyn_sized_stack, 0
	.set _ZN7rocprim17ROCPRIM_400000_NS6detail17trampoline_kernelINS0_14default_configENS1_25partition_config_selectorILNS1_17partition_subalgoE5ElNS0_10empty_typeEbEEZZNS1_14partition_implILS5_5ELb0ES3_mN6hipcub16HIPCUB_304000_NS21CountingInputIteratorIllEEPS6_NSA_22TransformInputIteratorIb7NonZeroIiEPilEENS0_5tupleIJPlS6_EEENSJ_IJSD_SD_EEES6_SK_JS6_EEE10hipError_tPvRmT3_T4_T5_T6_T7_T9_mT8_P12ihipStream_tbDpT10_ENKUlT_T0_E_clISt17integral_constantIbLb0EES15_IbLb1EEEEDaS11_S12_EUlS11_E_NS1_11comp_targetILNS1_3genE9ELNS1_11target_archE1100ELNS1_3gpuE3ELNS1_3repE0EEENS1_30default_config_static_selectorELNS0_4arch9wavefront6targetE1EEEvT1_.has_recursion, 0
	.set _ZN7rocprim17ROCPRIM_400000_NS6detail17trampoline_kernelINS0_14default_configENS1_25partition_config_selectorILNS1_17partition_subalgoE5ElNS0_10empty_typeEbEEZZNS1_14partition_implILS5_5ELb0ES3_mN6hipcub16HIPCUB_304000_NS21CountingInputIteratorIllEEPS6_NSA_22TransformInputIteratorIb7NonZeroIiEPilEENS0_5tupleIJPlS6_EEENSJ_IJSD_SD_EEES6_SK_JS6_EEE10hipError_tPvRmT3_T4_T5_T6_T7_T9_mT8_P12ihipStream_tbDpT10_ENKUlT_T0_E_clISt17integral_constantIbLb0EES15_IbLb1EEEEDaS11_S12_EUlS11_E_NS1_11comp_targetILNS1_3genE9ELNS1_11target_archE1100ELNS1_3gpuE3ELNS1_3repE0EEENS1_30default_config_static_selectorELNS0_4arch9wavefront6targetE1EEEvT1_.has_indirect_call, 0
	.section	.AMDGPU.csdata,"",@progbits
; Kernel info:
; codeLenInByte = 0
; TotalNumSgprs: 4
; NumVgprs: 0
; ScratchSize: 0
; MemoryBound: 0
; FloatMode: 240
; IeeeMode: 1
; LDSByteSize: 0 bytes/workgroup (compile time only)
; SGPRBlocks: 0
; VGPRBlocks: 0
; NumSGPRsForWavesPerEU: 4
; NumVGPRsForWavesPerEU: 1
; Occupancy: 10
; WaveLimiterHint : 0
; COMPUTE_PGM_RSRC2:SCRATCH_EN: 0
; COMPUTE_PGM_RSRC2:USER_SGPR: 6
; COMPUTE_PGM_RSRC2:TRAP_HANDLER: 0
; COMPUTE_PGM_RSRC2:TGID_X_EN: 1
; COMPUTE_PGM_RSRC2:TGID_Y_EN: 0
; COMPUTE_PGM_RSRC2:TGID_Z_EN: 0
; COMPUTE_PGM_RSRC2:TIDIG_COMP_CNT: 0
	.section	.text._ZN7rocprim17ROCPRIM_400000_NS6detail17trampoline_kernelINS0_14default_configENS1_25partition_config_selectorILNS1_17partition_subalgoE5ElNS0_10empty_typeEbEEZZNS1_14partition_implILS5_5ELb0ES3_mN6hipcub16HIPCUB_304000_NS21CountingInputIteratorIllEEPS6_NSA_22TransformInputIteratorIb7NonZeroIiEPilEENS0_5tupleIJPlS6_EEENSJ_IJSD_SD_EEES6_SK_JS6_EEE10hipError_tPvRmT3_T4_T5_T6_T7_T9_mT8_P12ihipStream_tbDpT10_ENKUlT_T0_E_clISt17integral_constantIbLb0EES15_IbLb1EEEEDaS11_S12_EUlS11_E_NS1_11comp_targetILNS1_3genE8ELNS1_11target_archE1030ELNS1_3gpuE2ELNS1_3repE0EEENS1_30default_config_static_selectorELNS0_4arch9wavefront6targetE1EEEvT1_,"axG",@progbits,_ZN7rocprim17ROCPRIM_400000_NS6detail17trampoline_kernelINS0_14default_configENS1_25partition_config_selectorILNS1_17partition_subalgoE5ElNS0_10empty_typeEbEEZZNS1_14partition_implILS5_5ELb0ES3_mN6hipcub16HIPCUB_304000_NS21CountingInputIteratorIllEEPS6_NSA_22TransformInputIteratorIb7NonZeroIiEPilEENS0_5tupleIJPlS6_EEENSJ_IJSD_SD_EEES6_SK_JS6_EEE10hipError_tPvRmT3_T4_T5_T6_T7_T9_mT8_P12ihipStream_tbDpT10_ENKUlT_T0_E_clISt17integral_constantIbLb0EES15_IbLb1EEEEDaS11_S12_EUlS11_E_NS1_11comp_targetILNS1_3genE8ELNS1_11target_archE1030ELNS1_3gpuE2ELNS1_3repE0EEENS1_30default_config_static_selectorELNS0_4arch9wavefront6targetE1EEEvT1_,comdat
	.protected	_ZN7rocprim17ROCPRIM_400000_NS6detail17trampoline_kernelINS0_14default_configENS1_25partition_config_selectorILNS1_17partition_subalgoE5ElNS0_10empty_typeEbEEZZNS1_14partition_implILS5_5ELb0ES3_mN6hipcub16HIPCUB_304000_NS21CountingInputIteratorIllEEPS6_NSA_22TransformInputIteratorIb7NonZeroIiEPilEENS0_5tupleIJPlS6_EEENSJ_IJSD_SD_EEES6_SK_JS6_EEE10hipError_tPvRmT3_T4_T5_T6_T7_T9_mT8_P12ihipStream_tbDpT10_ENKUlT_T0_E_clISt17integral_constantIbLb0EES15_IbLb1EEEEDaS11_S12_EUlS11_E_NS1_11comp_targetILNS1_3genE8ELNS1_11target_archE1030ELNS1_3gpuE2ELNS1_3repE0EEENS1_30default_config_static_selectorELNS0_4arch9wavefront6targetE1EEEvT1_ ; -- Begin function _ZN7rocprim17ROCPRIM_400000_NS6detail17trampoline_kernelINS0_14default_configENS1_25partition_config_selectorILNS1_17partition_subalgoE5ElNS0_10empty_typeEbEEZZNS1_14partition_implILS5_5ELb0ES3_mN6hipcub16HIPCUB_304000_NS21CountingInputIteratorIllEEPS6_NSA_22TransformInputIteratorIb7NonZeroIiEPilEENS0_5tupleIJPlS6_EEENSJ_IJSD_SD_EEES6_SK_JS6_EEE10hipError_tPvRmT3_T4_T5_T6_T7_T9_mT8_P12ihipStream_tbDpT10_ENKUlT_T0_E_clISt17integral_constantIbLb0EES15_IbLb1EEEEDaS11_S12_EUlS11_E_NS1_11comp_targetILNS1_3genE8ELNS1_11target_archE1030ELNS1_3gpuE2ELNS1_3repE0EEENS1_30default_config_static_selectorELNS0_4arch9wavefront6targetE1EEEvT1_
	.globl	_ZN7rocprim17ROCPRIM_400000_NS6detail17trampoline_kernelINS0_14default_configENS1_25partition_config_selectorILNS1_17partition_subalgoE5ElNS0_10empty_typeEbEEZZNS1_14partition_implILS5_5ELb0ES3_mN6hipcub16HIPCUB_304000_NS21CountingInputIteratorIllEEPS6_NSA_22TransformInputIteratorIb7NonZeroIiEPilEENS0_5tupleIJPlS6_EEENSJ_IJSD_SD_EEES6_SK_JS6_EEE10hipError_tPvRmT3_T4_T5_T6_T7_T9_mT8_P12ihipStream_tbDpT10_ENKUlT_T0_E_clISt17integral_constantIbLb0EES15_IbLb1EEEEDaS11_S12_EUlS11_E_NS1_11comp_targetILNS1_3genE8ELNS1_11target_archE1030ELNS1_3gpuE2ELNS1_3repE0EEENS1_30default_config_static_selectorELNS0_4arch9wavefront6targetE1EEEvT1_
	.p2align	8
	.type	_ZN7rocprim17ROCPRIM_400000_NS6detail17trampoline_kernelINS0_14default_configENS1_25partition_config_selectorILNS1_17partition_subalgoE5ElNS0_10empty_typeEbEEZZNS1_14partition_implILS5_5ELb0ES3_mN6hipcub16HIPCUB_304000_NS21CountingInputIteratorIllEEPS6_NSA_22TransformInputIteratorIb7NonZeroIiEPilEENS0_5tupleIJPlS6_EEENSJ_IJSD_SD_EEES6_SK_JS6_EEE10hipError_tPvRmT3_T4_T5_T6_T7_T9_mT8_P12ihipStream_tbDpT10_ENKUlT_T0_E_clISt17integral_constantIbLb0EES15_IbLb1EEEEDaS11_S12_EUlS11_E_NS1_11comp_targetILNS1_3genE8ELNS1_11target_archE1030ELNS1_3gpuE2ELNS1_3repE0EEENS1_30default_config_static_selectorELNS0_4arch9wavefront6targetE1EEEvT1_,@function
_ZN7rocprim17ROCPRIM_400000_NS6detail17trampoline_kernelINS0_14default_configENS1_25partition_config_selectorILNS1_17partition_subalgoE5ElNS0_10empty_typeEbEEZZNS1_14partition_implILS5_5ELb0ES3_mN6hipcub16HIPCUB_304000_NS21CountingInputIteratorIllEEPS6_NSA_22TransformInputIteratorIb7NonZeroIiEPilEENS0_5tupleIJPlS6_EEENSJ_IJSD_SD_EEES6_SK_JS6_EEE10hipError_tPvRmT3_T4_T5_T6_T7_T9_mT8_P12ihipStream_tbDpT10_ENKUlT_T0_E_clISt17integral_constantIbLb0EES15_IbLb1EEEEDaS11_S12_EUlS11_E_NS1_11comp_targetILNS1_3genE8ELNS1_11target_archE1030ELNS1_3gpuE2ELNS1_3repE0EEENS1_30default_config_static_selectorELNS0_4arch9wavefront6targetE1EEEvT1_: ; @_ZN7rocprim17ROCPRIM_400000_NS6detail17trampoline_kernelINS0_14default_configENS1_25partition_config_selectorILNS1_17partition_subalgoE5ElNS0_10empty_typeEbEEZZNS1_14partition_implILS5_5ELb0ES3_mN6hipcub16HIPCUB_304000_NS21CountingInputIteratorIllEEPS6_NSA_22TransformInputIteratorIb7NonZeroIiEPilEENS0_5tupleIJPlS6_EEENSJ_IJSD_SD_EEES6_SK_JS6_EEE10hipError_tPvRmT3_T4_T5_T6_T7_T9_mT8_P12ihipStream_tbDpT10_ENKUlT_T0_E_clISt17integral_constantIbLb0EES15_IbLb1EEEEDaS11_S12_EUlS11_E_NS1_11comp_targetILNS1_3genE8ELNS1_11target_archE1030ELNS1_3gpuE2ELNS1_3repE0EEENS1_30default_config_static_selectorELNS0_4arch9wavefront6targetE1EEEvT1_
; %bb.0:
	.section	.rodata,"a",@progbits
	.p2align	6, 0x0
	.amdhsa_kernel _ZN7rocprim17ROCPRIM_400000_NS6detail17trampoline_kernelINS0_14default_configENS1_25partition_config_selectorILNS1_17partition_subalgoE5ElNS0_10empty_typeEbEEZZNS1_14partition_implILS5_5ELb0ES3_mN6hipcub16HIPCUB_304000_NS21CountingInputIteratorIllEEPS6_NSA_22TransformInputIteratorIb7NonZeroIiEPilEENS0_5tupleIJPlS6_EEENSJ_IJSD_SD_EEES6_SK_JS6_EEE10hipError_tPvRmT3_T4_T5_T6_T7_T9_mT8_P12ihipStream_tbDpT10_ENKUlT_T0_E_clISt17integral_constantIbLb0EES15_IbLb1EEEEDaS11_S12_EUlS11_E_NS1_11comp_targetILNS1_3genE8ELNS1_11target_archE1030ELNS1_3gpuE2ELNS1_3repE0EEENS1_30default_config_static_selectorELNS0_4arch9wavefront6targetE1EEEvT1_
		.amdhsa_group_segment_fixed_size 0
		.amdhsa_private_segment_fixed_size 0
		.amdhsa_kernarg_size 136
		.amdhsa_user_sgpr_count 6
		.amdhsa_user_sgpr_private_segment_buffer 1
		.amdhsa_user_sgpr_dispatch_ptr 0
		.amdhsa_user_sgpr_queue_ptr 0
		.amdhsa_user_sgpr_kernarg_segment_ptr 1
		.amdhsa_user_sgpr_dispatch_id 0
		.amdhsa_user_sgpr_flat_scratch_init 0
		.amdhsa_user_sgpr_private_segment_size 0
		.amdhsa_uses_dynamic_stack 0
		.amdhsa_system_sgpr_private_segment_wavefront_offset 0
		.amdhsa_system_sgpr_workgroup_id_x 1
		.amdhsa_system_sgpr_workgroup_id_y 0
		.amdhsa_system_sgpr_workgroup_id_z 0
		.amdhsa_system_sgpr_workgroup_info 0
		.amdhsa_system_vgpr_workitem_id 0
		.amdhsa_next_free_vgpr 1
		.amdhsa_next_free_sgpr 0
		.amdhsa_reserve_vcc 0
		.amdhsa_reserve_flat_scratch 0
		.amdhsa_float_round_mode_32 0
		.amdhsa_float_round_mode_16_64 0
		.amdhsa_float_denorm_mode_32 3
		.amdhsa_float_denorm_mode_16_64 3
		.amdhsa_dx10_clamp 1
		.amdhsa_ieee_mode 1
		.amdhsa_fp16_overflow 0
		.amdhsa_exception_fp_ieee_invalid_op 0
		.amdhsa_exception_fp_denorm_src 0
		.amdhsa_exception_fp_ieee_div_zero 0
		.amdhsa_exception_fp_ieee_overflow 0
		.amdhsa_exception_fp_ieee_underflow 0
		.amdhsa_exception_fp_ieee_inexact 0
		.amdhsa_exception_int_div_zero 0
	.end_amdhsa_kernel
	.section	.text._ZN7rocprim17ROCPRIM_400000_NS6detail17trampoline_kernelINS0_14default_configENS1_25partition_config_selectorILNS1_17partition_subalgoE5ElNS0_10empty_typeEbEEZZNS1_14partition_implILS5_5ELb0ES3_mN6hipcub16HIPCUB_304000_NS21CountingInputIteratorIllEEPS6_NSA_22TransformInputIteratorIb7NonZeroIiEPilEENS0_5tupleIJPlS6_EEENSJ_IJSD_SD_EEES6_SK_JS6_EEE10hipError_tPvRmT3_T4_T5_T6_T7_T9_mT8_P12ihipStream_tbDpT10_ENKUlT_T0_E_clISt17integral_constantIbLb0EES15_IbLb1EEEEDaS11_S12_EUlS11_E_NS1_11comp_targetILNS1_3genE8ELNS1_11target_archE1030ELNS1_3gpuE2ELNS1_3repE0EEENS1_30default_config_static_selectorELNS0_4arch9wavefront6targetE1EEEvT1_,"axG",@progbits,_ZN7rocprim17ROCPRIM_400000_NS6detail17trampoline_kernelINS0_14default_configENS1_25partition_config_selectorILNS1_17partition_subalgoE5ElNS0_10empty_typeEbEEZZNS1_14partition_implILS5_5ELb0ES3_mN6hipcub16HIPCUB_304000_NS21CountingInputIteratorIllEEPS6_NSA_22TransformInputIteratorIb7NonZeroIiEPilEENS0_5tupleIJPlS6_EEENSJ_IJSD_SD_EEES6_SK_JS6_EEE10hipError_tPvRmT3_T4_T5_T6_T7_T9_mT8_P12ihipStream_tbDpT10_ENKUlT_T0_E_clISt17integral_constantIbLb0EES15_IbLb1EEEEDaS11_S12_EUlS11_E_NS1_11comp_targetILNS1_3genE8ELNS1_11target_archE1030ELNS1_3gpuE2ELNS1_3repE0EEENS1_30default_config_static_selectorELNS0_4arch9wavefront6targetE1EEEvT1_,comdat
.Lfunc_end216:
	.size	_ZN7rocprim17ROCPRIM_400000_NS6detail17trampoline_kernelINS0_14default_configENS1_25partition_config_selectorILNS1_17partition_subalgoE5ElNS0_10empty_typeEbEEZZNS1_14partition_implILS5_5ELb0ES3_mN6hipcub16HIPCUB_304000_NS21CountingInputIteratorIllEEPS6_NSA_22TransformInputIteratorIb7NonZeroIiEPilEENS0_5tupleIJPlS6_EEENSJ_IJSD_SD_EEES6_SK_JS6_EEE10hipError_tPvRmT3_T4_T5_T6_T7_T9_mT8_P12ihipStream_tbDpT10_ENKUlT_T0_E_clISt17integral_constantIbLb0EES15_IbLb1EEEEDaS11_S12_EUlS11_E_NS1_11comp_targetILNS1_3genE8ELNS1_11target_archE1030ELNS1_3gpuE2ELNS1_3repE0EEENS1_30default_config_static_selectorELNS0_4arch9wavefront6targetE1EEEvT1_, .Lfunc_end216-_ZN7rocprim17ROCPRIM_400000_NS6detail17trampoline_kernelINS0_14default_configENS1_25partition_config_selectorILNS1_17partition_subalgoE5ElNS0_10empty_typeEbEEZZNS1_14partition_implILS5_5ELb0ES3_mN6hipcub16HIPCUB_304000_NS21CountingInputIteratorIllEEPS6_NSA_22TransformInputIteratorIb7NonZeroIiEPilEENS0_5tupleIJPlS6_EEENSJ_IJSD_SD_EEES6_SK_JS6_EEE10hipError_tPvRmT3_T4_T5_T6_T7_T9_mT8_P12ihipStream_tbDpT10_ENKUlT_T0_E_clISt17integral_constantIbLb0EES15_IbLb1EEEEDaS11_S12_EUlS11_E_NS1_11comp_targetILNS1_3genE8ELNS1_11target_archE1030ELNS1_3gpuE2ELNS1_3repE0EEENS1_30default_config_static_selectorELNS0_4arch9wavefront6targetE1EEEvT1_
                                        ; -- End function
	.set _ZN7rocprim17ROCPRIM_400000_NS6detail17trampoline_kernelINS0_14default_configENS1_25partition_config_selectorILNS1_17partition_subalgoE5ElNS0_10empty_typeEbEEZZNS1_14partition_implILS5_5ELb0ES3_mN6hipcub16HIPCUB_304000_NS21CountingInputIteratorIllEEPS6_NSA_22TransformInputIteratorIb7NonZeroIiEPilEENS0_5tupleIJPlS6_EEENSJ_IJSD_SD_EEES6_SK_JS6_EEE10hipError_tPvRmT3_T4_T5_T6_T7_T9_mT8_P12ihipStream_tbDpT10_ENKUlT_T0_E_clISt17integral_constantIbLb0EES15_IbLb1EEEEDaS11_S12_EUlS11_E_NS1_11comp_targetILNS1_3genE8ELNS1_11target_archE1030ELNS1_3gpuE2ELNS1_3repE0EEENS1_30default_config_static_selectorELNS0_4arch9wavefront6targetE1EEEvT1_.num_vgpr, 0
	.set _ZN7rocprim17ROCPRIM_400000_NS6detail17trampoline_kernelINS0_14default_configENS1_25partition_config_selectorILNS1_17partition_subalgoE5ElNS0_10empty_typeEbEEZZNS1_14partition_implILS5_5ELb0ES3_mN6hipcub16HIPCUB_304000_NS21CountingInputIteratorIllEEPS6_NSA_22TransformInputIteratorIb7NonZeroIiEPilEENS0_5tupleIJPlS6_EEENSJ_IJSD_SD_EEES6_SK_JS6_EEE10hipError_tPvRmT3_T4_T5_T6_T7_T9_mT8_P12ihipStream_tbDpT10_ENKUlT_T0_E_clISt17integral_constantIbLb0EES15_IbLb1EEEEDaS11_S12_EUlS11_E_NS1_11comp_targetILNS1_3genE8ELNS1_11target_archE1030ELNS1_3gpuE2ELNS1_3repE0EEENS1_30default_config_static_selectorELNS0_4arch9wavefront6targetE1EEEvT1_.num_agpr, 0
	.set _ZN7rocprim17ROCPRIM_400000_NS6detail17trampoline_kernelINS0_14default_configENS1_25partition_config_selectorILNS1_17partition_subalgoE5ElNS0_10empty_typeEbEEZZNS1_14partition_implILS5_5ELb0ES3_mN6hipcub16HIPCUB_304000_NS21CountingInputIteratorIllEEPS6_NSA_22TransformInputIteratorIb7NonZeroIiEPilEENS0_5tupleIJPlS6_EEENSJ_IJSD_SD_EEES6_SK_JS6_EEE10hipError_tPvRmT3_T4_T5_T6_T7_T9_mT8_P12ihipStream_tbDpT10_ENKUlT_T0_E_clISt17integral_constantIbLb0EES15_IbLb1EEEEDaS11_S12_EUlS11_E_NS1_11comp_targetILNS1_3genE8ELNS1_11target_archE1030ELNS1_3gpuE2ELNS1_3repE0EEENS1_30default_config_static_selectorELNS0_4arch9wavefront6targetE1EEEvT1_.numbered_sgpr, 0
	.set _ZN7rocprim17ROCPRIM_400000_NS6detail17trampoline_kernelINS0_14default_configENS1_25partition_config_selectorILNS1_17partition_subalgoE5ElNS0_10empty_typeEbEEZZNS1_14partition_implILS5_5ELb0ES3_mN6hipcub16HIPCUB_304000_NS21CountingInputIteratorIllEEPS6_NSA_22TransformInputIteratorIb7NonZeroIiEPilEENS0_5tupleIJPlS6_EEENSJ_IJSD_SD_EEES6_SK_JS6_EEE10hipError_tPvRmT3_T4_T5_T6_T7_T9_mT8_P12ihipStream_tbDpT10_ENKUlT_T0_E_clISt17integral_constantIbLb0EES15_IbLb1EEEEDaS11_S12_EUlS11_E_NS1_11comp_targetILNS1_3genE8ELNS1_11target_archE1030ELNS1_3gpuE2ELNS1_3repE0EEENS1_30default_config_static_selectorELNS0_4arch9wavefront6targetE1EEEvT1_.num_named_barrier, 0
	.set _ZN7rocprim17ROCPRIM_400000_NS6detail17trampoline_kernelINS0_14default_configENS1_25partition_config_selectorILNS1_17partition_subalgoE5ElNS0_10empty_typeEbEEZZNS1_14partition_implILS5_5ELb0ES3_mN6hipcub16HIPCUB_304000_NS21CountingInputIteratorIllEEPS6_NSA_22TransformInputIteratorIb7NonZeroIiEPilEENS0_5tupleIJPlS6_EEENSJ_IJSD_SD_EEES6_SK_JS6_EEE10hipError_tPvRmT3_T4_T5_T6_T7_T9_mT8_P12ihipStream_tbDpT10_ENKUlT_T0_E_clISt17integral_constantIbLb0EES15_IbLb1EEEEDaS11_S12_EUlS11_E_NS1_11comp_targetILNS1_3genE8ELNS1_11target_archE1030ELNS1_3gpuE2ELNS1_3repE0EEENS1_30default_config_static_selectorELNS0_4arch9wavefront6targetE1EEEvT1_.private_seg_size, 0
	.set _ZN7rocprim17ROCPRIM_400000_NS6detail17trampoline_kernelINS0_14default_configENS1_25partition_config_selectorILNS1_17partition_subalgoE5ElNS0_10empty_typeEbEEZZNS1_14partition_implILS5_5ELb0ES3_mN6hipcub16HIPCUB_304000_NS21CountingInputIteratorIllEEPS6_NSA_22TransformInputIteratorIb7NonZeroIiEPilEENS0_5tupleIJPlS6_EEENSJ_IJSD_SD_EEES6_SK_JS6_EEE10hipError_tPvRmT3_T4_T5_T6_T7_T9_mT8_P12ihipStream_tbDpT10_ENKUlT_T0_E_clISt17integral_constantIbLb0EES15_IbLb1EEEEDaS11_S12_EUlS11_E_NS1_11comp_targetILNS1_3genE8ELNS1_11target_archE1030ELNS1_3gpuE2ELNS1_3repE0EEENS1_30default_config_static_selectorELNS0_4arch9wavefront6targetE1EEEvT1_.uses_vcc, 0
	.set _ZN7rocprim17ROCPRIM_400000_NS6detail17trampoline_kernelINS0_14default_configENS1_25partition_config_selectorILNS1_17partition_subalgoE5ElNS0_10empty_typeEbEEZZNS1_14partition_implILS5_5ELb0ES3_mN6hipcub16HIPCUB_304000_NS21CountingInputIteratorIllEEPS6_NSA_22TransformInputIteratorIb7NonZeroIiEPilEENS0_5tupleIJPlS6_EEENSJ_IJSD_SD_EEES6_SK_JS6_EEE10hipError_tPvRmT3_T4_T5_T6_T7_T9_mT8_P12ihipStream_tbDpT10_ENKUlT_T0_E_clISt17integral_constantIbLb0EES15_IbLb1EEEEDaS11_S12_EUlS11_E_NS1_11comp_targetILNS1_3genE8ELNS1_11target_archE1030ELNS1_3gpuE2ELNS1_3repE0EEENS1_30default_config_static_selectorELNS0_4arch9wavefront6targetE1EEEvT1_.uses_flat_scratch, 0
	.set _ZN7rocprim17ROCPRIM_400000_NS6detail17trampoline_kernelINS0_14default_configENS1_25partition_config_selectorILNS1_17partition_subalgoE5ElNS0_10empty_typeEbEEZZNS1_14partition_implILS5_5ELb0ES3_mN6hipcub16HIPCUB_304000_NS21CountingInputIteratorIllEEPS6_NSA_22TransformInputIteratorIb7NonZeroIiEPilEENS0_5tupleIJPlS6_EEENSJ_IJSD_SD_EEES6_SK_JS6_EEE10hipError_tPvRmT3_T4_T5_T6_T7_T9_mT8_P12ihipStream_tbDpT10_ENKUlT_T0_E_clISt17integral_constantIbLb0EES15_IbLb1EEEEDaS11_S12_EUlS11_E_NS1_11comp_targetILNS1_3genE8ELNS1_11target_archE1030ELNS1_3gpuE2ELNS1_3repE0EEENS1_30default_config_static_selectorELNS0_4arch9wavefront6targetE1EEEvT1_.has_dyn_sized_stack, 0
	.set _ZN7rocprim17ROCPRIM_400000_NS6detail17trampoline_kernelINS0_14default_configENS1_25partition_config_selectorILNS1_17partition_subalgoE5ElNS0_10empty_typeEbEEZZNS1_14partition_implILS5_5ELb0ES3_mN6hipcub16HIPCUB_304000_NS21CountingInputIteratorIllEEPS6_NSA_22TransformInputIteratorIb7NonZeroIiEPilEENS0_5tupleIJPlS6_EEENSJ_IJSD_SD_EEES6_SK_JS6_EEE10hipError_tPvRmT3_T4_T5_T6_T7_T9_mT8_P12ihipStream_tbDpT10_ENKUlT_T0_E_clISt17integral_constantIbLb0EES15_IbLb1EEEEDaS11_S12_EUlS11_E_NS1_11comp_targetILNS1_3genE8ELNS1_11target_archE1030ELNS1_3gpuE2ELNS1_3repE0EEENS1_30default_config_static_selectorELNS0_4arch9wavefront6targetE1EEEvT1_.has_recursion, 0
	.set _ZN7rocprim17ROCPRIM_400000_NS6detail17trampoline_kernelINS0_14default_configENS1_25partition_config_selectorILNS1_17partition_subalgoE5ElNS0_10empty_typeEbEEZZNS1_14partition_implILS5_5ELb0ES3_mN6hipcub16HIPCUB_304000_NS21CountingInputIteratorIllEEPS6_NSA_22TransformInputIteratorIb7NonZeroIiEPilEENS0_5tupleIJPlS6_EEENSJ_IJSD_SD_EEES6_SK_JS6_EEE10hipError_tPvRmT3_T4_T5_T6_T7_T9_mT8_P12ihipStream_tbDpT10_ENKUlT_T0_E_clISt17integral_constantIbLb0EES15_IbLb1EEEEDaS11_S12_EUlS11_E_NS1_11comp_targetILNS1_3genE8ELNS1_11target_archE1030ELNS1_3gpuE2ELNS1_3repE0EEENS1_30default_config_static_selectorELNS0_4arch9wavefront6targetE1EEEvT1_.has_indirect_call, 0
	.section	.AMDGPU.csdata,"",@progbits
; Kernel info:
; codeLenInByte = 0
; TotalNumSgprs: 4
; NumVgprs: 0
; ScratchSize: 0
; MemoryBound: 0
; FloatMode: 240
; IeeeMode: 1
; LDSByteSize: 0 bytes/workgroup (compile time only)
; SGPRBlocks: 0
; VGPRBlocks: 0
; NumSGPRsForWavesPerEU: 4
; NumVGPRsForWavesPerEU: 1
; Occupancy: 10
; WaveLimiterHint : 0
; COMPUTE_PGM_RSRC2:SCRATCH_EN: 0
; COMPUTE_PGM_RSRC2:USER_SGPR: 6
; COMPUTE_PGM_RSRC2:TRAP_HANDLER: 0
; COMPUTE_PGM_RSRC2:TGID_X_EN: 1
; COMPUTE_PGM_RSRC2:TGID_Y_EN: 0
; COMPUTE_PGM_RSRC2:TGID_Z_EN: 0
; COMPUTE_PGM_RSRC2:TIDIG_COMP_CNT: 0
	.section	.text._ZN7rocprim17ROCPRIM_400000_NS6detail17trampoline_kernelINS0_14default_configENS1_22reduce_config_selectorIlEEZNS1_11reduce_implILb1ES3_PlS7_lN6hipcub16HIPCUB_304000_NS6detail34convert_binary_result_type_wrapperINS9_3SumENS9_22TransformInputIteratorIb7NonZeroIfEPflEElEEEE10hipError_tPvRmT1_T2_T3_mT4_P12ihipStream_tbEUlT_E0_NS1_11comp_targetILNS1_3genE0ELNS1_11target_archE4294967295ELNS1_3gpuE0ELNS1_3repE0EEENS1_30default_config_static_selectorELNS0_4arch9wavefront6targetE1EEEvSM_,"axG",@progbits,_ZN7rocprim17ROCPRIM_400000_NS6detail17trampoline_kernelINS0_14default_configENS1_22reduce_config_selectorIlEEZNS1_11reduce_implILb1ES3_PlS7_lN6hipcub16HIPCUB_304000_NS6detail34convert_binary_result_type_wrapperINS9_3SumENS9_22TransformInputIteratorIb7NonZeroIfEPflEElEEEE10hipError_tPvRmT1_T2_T3_mT4_P12ihipStream_tbEUlT_E0_NS1_11comp_targetILNS1_3genE0ELNS1_11target_archE4294967295ELNS1_3gpuE0ELNS1_3repE0EEENS1_30default_config_static_selectorELNS0_4arch9wavefront6targetE1EEEvSM_,comdat
	.protected	_ZN7rocprim17ROCPRIM_400000_NS6detail17trampoline_kernelINS0_14default_configENS1_22reduce_config_selectorIlEEZNS1_11reduce_implILb1ES3_PlS7_lN6hipcub16HIPCUB_304000_NS6detail34convert_binary_result_type_wrapperINS9_3SumENS9_22TransformInputIteratorIb7NonZeroIfEPflEElEEEE10hipError_tPvRmT1_T2_T3_mT4_P12ihipStream_tbEUlT_E0_NS1_11comp_targetILNS1_3genE0ELNS1_11target_archE4294967295ELNS1_3gpuE0ELNS1_3repE0EEENS1_30default_config_static_selectorELNS0_4arch9wavefront6targetE1EEEvSM_ ; -- Begin function _ZN7rocprim17ROCPRIM_400000_NS6detail17trampoline_kernelINS0_14default_configENS1_22reduce_config_selectorIlEEZNS1_11reduce_implILb1ES3_PlS7_lN6hipcub16HIPCUB_304000_NS6detail34convert_binary_result_type_wrapperINS9_3SumENS9_22TransformInputIteratorIb7NonZeroIfEPflEElEEEE10hipError_tPvRmT1_T2_T3_mT4_P12ihipStream_tbEUlT_E0_NS1_11comp_targetILNS1_3genE0ELNS1_11target_archE4294967295ELNS1_3gpuE0ELNS1_3repE0EEENS1_30default_config_static_selectorELNS0_4arch9wavefront6targetE1EEEvSM_
	.globl	_ZN7rocprim17ROCPRIM_400000_NS6detail17trampoline_kernelINS0_14default_configENS1_22reduce_config_selectorIlEEZNS1_11reduce_implILb1ES3_PlS7_lN6hipcub16HIPCUB_304000_NS6detail34convert_binary_result_type_wrapperINS9_3SumENS9_22TransformInputIteratorIb7NonZeroIfEPflEElEEEE10hipError_tPvRmT1_T2_T3_mT4_P12ihipStream_tbEUlT_E0_NS1_11comp_targetILNS1_3genE0ELNS1_11target_archE4294967295ELNS1_3gpuE0ELNS1_3repE0EEENS1_30default_config_static_selectorELNS0_4arch9wavefront6targetE1EEEvSM_
	.p2align	8
	.type	_ZN7rocprim17ROCPRIM_400000_NS6detail17trampoline_kernelINS0_14default_configENS1_22reduce_config_selectorIlEEZNS1_11reduce_implILb1ES3_PlS7_lN6hipcub16HIPCUB_304000_NS6detail34convert_binary_result_type_wrapperINS9_3SumENS9_22TransformInputIteratorIb7NonZeroIfEPflEElEEEE10hipError_tPvRmT1_T2_T3_mT4_P12ihipStream_tbEUlT_E0_NS1_11comp_targetILNS1_3genE0ELNS1_11target_archE4294967295ELNS1_3gpuE0ELNS1_3repE0EEENS1_30default_config_static_selectorELNS0_4arch9wavefront6targetE1EEEvSM_,@function
_ZN7rocprim17ROCPRIM_400000_NS6detail17trampoline_kernelINS0_14default_configENS1_22reduce_config_selectorIlEEZNS1_11reduce_implILb1ES3_PlS7_lN6hipcub16HIPCUB_304000_NS6detail34convert_binary_result_type_wrapperINS9_3SumENS9_22TransformInputIteratorIb7NonZeroIfEPflEElEEEE10hipError_tPvRmT1_T2_T3_mT4_P12ihipStream_tbEUlT_E0_NS1_11comp_targetILNS1_3genE0ELNS1_11target_archE4294967295ELNS1_3gpuE0ELNS1_3repE0EEENS1_30default_config_static_selectorELNS0_4arch9wavefront6targetE1EEEvSM_: ; @_ZN7rocprim17ROCPRIM_400000_NS6detail17trampoline_kernelINS0_14default_configENS1_22reduce_config_selectorIlEEZNS1_11reduce_implILb1ES3_PlS7_lN6hipcub16HIPCUB_304000_NS6detail34convert_binary_result_type_wrapperINS9_3SumENS9_22TransformInputIteratorIb7NonZeroIfEPflEElEEEE10hipError_tPvRmT1_T2_T3_mT4_P12ihipStream_tbEUlT_E0_NS1_11comp_targetILNS1_3genE0ELNS1_11target_archE4294967295ELNS1_3gpuE0ELNS1_3repE0EEENS1_30default_config_static_selectorELNS0_4arch9wavefront6targetE1EEEvSM_
; %bb.0:
	.section	.rodata,"a",@progbits
	.p2align	6, 0x0
	.amdhsa_kernel _ZN7rocprim17ROCPRIM_400000_NS6detail17trampoline_kernelINS0_14default_configENS1_22reduce_config_selectorIlEEZNS1_11reduce_implILb1ES3_PlS7_lN6hipcub16HIPCUB_304000_NS6detail34convert_binary_result_type_wrapperINS9_3SumENS9_22TransformInputIteratorIb7NonZeroIfEPflEElEEEE10hipError_tPvRmT1_T2_T3_mT4_P12ihipStream_tbEUlT_E0_NS1_11comp_targetILNS1_3genE0ELNS1_11target_archE4294967295ELNS1_3gpuE0ELNS1_3repE0EEENS1_30default_config_static_selectorELNS0_4arch9wavefront6targetE1EEEvSM_
		.amdhsa_group_segment_fixed_size 0
		.amdhsa_private_segment_fixed_size 0
		.amdhsa_kernarg_size 64
		.amdhsa_user_sgpr_count 6
		.amdhsa_user_sgpr_private_segment_buffer 1
		.amdhsa_user_sgpr_dispatch_ptr 0
		.amdhsa_user_sgpr_queue_ptr 0
		.amdhsa_user_sgpr_kernarg_segment_ptr 1
		.amdhsa_user_sgpr_dispatch_id 0
		.amdhsa_user_sgpr_flat_scratch_init 0
		.amdhsa_user_sgpr_private_segment_size 0
		.amdhsa_uses_dynamic_stack 0
		.amdhsa_system_sgpr_private_segment_wavefront_offset 0
		.amdhsa_system_sgpr_workgroup_id_x 1
		.amdhsa_system_sgpr_workgroup_id_y 0
		.amdhsa_system_sgpr_workgroup_id_z 0
		.amdhsa_system_sgpr_workgroup_info 0
		.amdhsa_system_vgpr_workitem_id 0
		.amdhsa_next_free_vgpr 1
		.amdhsa_next_free_sgpr 0
		.amdhsa_reserve_vcc 0
		.amdhsa_reserve_flat_scratch 0
		.amdhsa_float_round_mode_32 0
		.amdhsa_float_round_mode_16_64 0
		.amdhsa_float_denorm_mode_32 3
		.amdhsa_float_denorm_mode_16_64 3
		.amdhsa_dx10_clamp 1
		.amdhsa_ieee_mode 1
		.amdhsa_fp16_overflow 0
		.amdhsa_exception_fp_ieee_invalid_op 0
		.amdhsa_exception_fp_denorm_src 0
		.amdhsa_exception_fp_ieee_div_zero 0
		.amdhsa_exception_fp_ieee_overflow 0
		.amdhsa_exception_fp_ieee_underflow 0
		.amdhsa_exception_fp_ieee_inexact 0
		.amdhsa_exception_int_div_zero 0
	.end_amdhsa_kernel
	.section	.text._ZN7rocprim17ROCPRIM_400000_NS6detail17trampoline_kernelINS0_14default_configENS1_22reduce_config_selectorIlEEZNS1_11reduce_implILb1ES3_PlS7_lN6hipcub16HIPCUB_304000_NS6detail34convert_binary_result_type_wrapperINS9_3SumENS9_22TransformInputIteratorIb7NonZeroIfEPflEElEEEE10hipError_tPvRmT1_T2_T3_mT4_P12ihipStream_tbEUlT_E0_NS1_11comp_targetILNS1_3genE0ELNS1_11target_archE4294967295ELNS1_3gpuE0ELNS1_3repE0EEENS1_30default_config_static_selectorELNS0_4arch9wavefront6targetE1EEEvSM_,"axG",@progbits,_ZN7rocprim17ROCPRIM_400000_NS6detail17trampoline_kernelINS0_14default_configENS1_22reduce_config_selectorIlEEZNS1_11reduce_implILb1ES3_PlS7_lN6hipcub16HIPCUB_304000_NS6detail34convert_binary_result_type_wrapperINS9_3SumENS9_22TransformInputIteratorIb7NonZeroIfEPflEElEEEE10hipError_tPvRmT1_T2_T3_mT4_P12ihipStream_tbEUlT_E0_NS1_11comp_targetILNS1_3genE0ELNS1_11target_archE4294967295ELNS1_3gpuE0ELNS1_3repE0EEENS1_30default_config_static_selectorELNS0_4arch9wavefront6targetE1EEEvSM_,comdat
.Lfunc_end217:
	.size	_ZN7rocprim17ROCPRIM_400000_NS6detail17trampoline_kernelINS0_14default_configENS1_22reduce_config_selectorIlEEZNS1_11reduce_implILb1ES3_PlS7_lN6hipcub16HIPCUB_304000_NS6detail34convert_binary_result_type_wrapperINS9_3SumENS9_22TransformInputIteratorIb7NonZeroIfEPflEElEEEE10hipError_tPvRmT1_T2_T3_mT4_P12ihipStream_tbEUlT_E0_NS1_11comp_targetILNS1_3genE0ELNS1_11target_archE4294967295ELNS1_3gpuE0ELNS1_3repE0EEENS1_30default_config_static_selectorELNS0_4arch9wavefront6targetE1EEEvSM_, .Lfunc_end217-_ZN7rocprim17ROCPRIM_400000_NS6detail17trampoline_kernelINS0_14default_configENS1_22reduce_config_selectorIlEEZNS1_11reduce_implILb1ES3_PlS7_lN6hipcub16HIPCUB_304000_NS6detail34convert_binary_result_type_wrapperINS9_3SumENS9_22TransformInputIteratorIb7NonZeroIfEPflEElEEEE10hipError_tPvRmT1_T2_T3_mT4_P12ihipStream_tbEUlT_E0_NS1_11comp_targetILNS1_3genE0ELNS1_11target_archE4294967295ELNS1_3gpuE0ELNS1_3repE0EEENS1_30default_config_static_selectorELNS0_4arch9wavefront6targetE1EEEvSM_
                                        ; -- End function
	.set _ZN7rocprim17ROCPRIM_400000_NS6detail17trampoline_kernelINS0_14default_configENS1_22reduce_config_selectorIlEEZNS1_11reduce_implILb1ES3_PlS7_lN6hipcub16HIPCUB_304000_NS6detail34convert_binary_result_type_wrapperINS9_3SumENS9_22TransformInputIteratorIb7NonZeroIfEPflEElEEEE10hipError_tPvRmT1_T2_T3_mT4_P12ihipStream_tbEUlT_E0_NS1_11comp_targetILNS1_3genE0ELNS1_11target_archE4294967295ELNS1_3gpuE0ELNS1_3repE0EEENS1_30default_config_static_selectorELNS0_4arch9wavefront6targetE1EEEvSM_.num_vgpr, 0
	.set _ZN7rocprim17ROCPRIM_400000_NS6detail17trampoline_kernelINS0_14default_configENS1_22reduce_config_selectorIlEEZNS1_11reduce_implILb1ES3_PlS7_lN6hipcub16HIPCUB_304000_NS6detail34convert_binary_result_type_wrapperINS9_3SumENS9_22TransformInputIteratorIb7NonZeroIfEPflEElEEEE10hipError_tPvRmT1_T2_T3_mT4_P12ihipStream_tbEUlT_E0_NS1_11comp_targetILNS1_3genE0ELNS1_11target_archE4294967295ELNS1_3gpuE0ELNS1_3repE0EEENS1_30default_config_static_selectorELNS0_4arch9wavefront6targetE1EEEvSM_.num_agpr, 0
	.set _ZN7rocprim17ROCPRIM_400000_NS6detail17trampoline_kernelINS0_14default_configENS1_22reduce_config_selectorIlEEZNS1_11reduce_implILb1ES3_PlS7_lN6hipcub16HIPCUB_304000_NS6detail34convert_binary_result_type_wrapperINS9_3SumENS9_22TransformInputIteratorIb7NonZeroIfEPflEElEEEE10hipError_tPvRmT1_T2_T3_mT4_P12ihipStream_tbEUlT_E0_NS1_11comp_targetILNS1_3genE0ELNS1_11target_archE4294967295ELNS1_3gpuE0ELNS1_3repE0EEENS1_30default_config_static_selectorELNS0_4arch9wavefront6targetE1EEEvSM_.numbered_sgpr, 0
	.set _ZN7rocprim17ROCPRIM_400000_NS6detail17trampoline_kernelINS0_14default_configENS1_22reduce_config_selectorIlEEZNS1_11reduce_implILb1ES3_PlS7_lN6hipcub16HIPCUB_304000_NS6detail34convert_binary_result_type_wrapperINS9_3SumENS9_22TransformInputIteratorIb7NonZeroIfEPflEElEEEE10hipError_tPvRmT1_T2_T3_mT4_P12ihipStream_tbEUlT_E0_NS1_11comp_targetILNS1_3genE0ELNS1_11target_archE4294967295ELNS1_3gpuE0ELNS1_3repE0EEENS1_30default_config_static_selectorELNS0_4arch9wavefront6targetE1EEEvSM_.num_named_barrier, 0
	.set _ZN7rocprim17ROCPRIM_400000_NS6detail17trampoline_kernelINS0_14default_configENS1_22reduce_config_selectorIlEEZNS1_11reduce_implILb1ES3_PlS7_lN6hipcub16HIPCUB_304000_NS6detail34convert_binary_result_type_wrapperINS9_3SumENS9_22TransformInputIteratorIb7NonZeroIfEPflEElEEEE10hipError_tPvRmT1_T2_T3_mT4_P12ihipStream_tbEUlT_E0_NS1_11comp_targetILNS1_3genE0ELNS1_11target_archE4294967295ELNS1_3gpuE0ELNS1_3repE0EEENS1_30default_config_static_selectorELNS0_4arch9wavefront6targetE1EEEvSM_.private_seg_size, 0
	.set _ZN7rocprim17ROCPRIM_400000_NS6detail17trampoline_kernelINS0_14default_configENS1_22reduce_config_selectorIlEEZNS1_11reduce_implILb1ES3_PlS7_lN6hipcub16HIPCUB_304000_NS6detail34convert_binary_result_type_wrapperINS9_3SumENS9_22TransformInputIteratorIb7NonZeroIfEPflEElEEEE10hipError_tPvRmT1_T2_T3_mT4_P12ihipStream_tbEUlT_E0_NS1_11comp_targetILNS1_3genE0ELNS1_11target_archE4294967295ELNS1_3gpuE0ELNS1_3repE0EEENS1_30default_config_static_selectorELNS0_4arch9wavefront6targetE1EEEvSM_.uses_vcc, 0
	.set _ZN7rocprim17ROCPRIM_400000_NS6detail17trampoline_kernelINS0_14default_configENS1_22reduce_config_selectorIlEEZNS1_11reduce_implILb1ES3_PlS7_lN6hipcub16HIPCUB_304000_NS6detail34convert_binary_result_type_wrapperINS9_3SumENS9_22TransformInputIteratorIb7NonZeroIfEPflEElEEEE10hipError_tPvRmT1_T2_T3_mT4_P12ihipStream_tbEUlT_E0_NS1_11comp_targetILNS1_3genE0ELNS1_11target_archE4294967295ELNS1_3gpuE0ELNS1_3repE0EEENS1_30default_config_static_selectorELNS0_4arch9wavefront6targetE1EEEvSM_.uses_flat_scratch, 0
	.set _ZN7rocprim17ROCPRIM_400000_NS6detail17trampoline_kernelINS0_14default_configENS1_22reduce_config_selectorIlEEZNS1_11reduce_implILb1ES3_PlS7_lN6hipcub16HIPCUB_304000_NS6detail34convert_binary_result_type_wrapperINS9_3SumENS9_22TransformInputIteratorIb7NonZeroIfEPflEElEEEE10hipError_tPvRmT1_T2_T3_mT4_P12ihipStream_tbEUlT_E0_NS1_11comp_targetILNS1_3genE0ELNS1_11target_archE4294967295ELNS1_3gpuE0ELNS1_3repE0EEENS1_30default_config_static_selectorELNS0_4arch9wavefront6targetE1EEEvSM_.has_dyn_sized_stack, 0
	.set _ZN7rocprim17ROCPRIM_400000_NS6detail17trampoline_kernelINS0_14default_configENS1_22reduce_config_selectorIlEEZNS1_11reduce_implILb1ES3_PlS7_lN6hipcub16HIPCUB_304000_NS6detail34convert_binary_result_type_wrapperINS9_3SumENS9_22TransformInputIteratorIb7NonZeroIfEPflEElEEEE10hipError_tPvRmT1_T2_T3_mT4_P12ihipStream_tbEUlT_E0_NS1_11comp_targetILNS1_3genE0ELNS1_11target_archE4294967295ELNS1_3gpuE0ELNS1_3repE0EEENS1_30default_config_static_selectorELNS0_4arch9wavefront6targetE1EEEvSM_.has_recursion, 0
	.set _ZN7rocprim17ROCPRIM_400000_NS6detail17trampoline_kernelINS0_14default_configENS1_22reduce_config_selectorIlEEZNS1_11reduce_implILb1ES3_PlS7_lN6hipcub16HIPCUB_304000_NS6detail34convert_binary_result_type_wrapperINS9_3SumENS9_22TransformInputIteratorIb7NonZeroIfEPflEElEEEE10hipError_tPvRmT1_T2_T3_mT4_P12ihipStream_tbEUlT_E0_NS1_11comp_targetILNS1_3genE0ELNS1_11target_archE4294967295ELNS1_3gpuE0ELNS1_3repE0EEENS1_30default_config_static_selectorELNS0_4arch9wavefront6targetE1EEEvSM_.has_indirect_call, 0
	.section	.AMDGPU.csdata,"",@progbits
; Kernel info:
; codeLenInByte = 0
; TotalNumSgprs: 4
; NumVgprs: 0
; ScratchSize: 0
; MemoryBound: 0
; FloatMode: 240
; IeeeMode: 1
; LDSByteSize: 0 bytes/workgroup (compile time only)
; SGPRBlocks: 0
; VGPRBlocks: 0
; NumSGPRsForWavesPerEU: 4
; NumVGPRsForWavesPerEU: 1
; Occupancy: 10
; WaveLimiterHint : 0
; COMPUTE_PGM_RSRC2:SCRATCH_EN: 0
; COMPUTE_PGM_RSRC2:USER_SGPR: 6
; COMPUTE_PGM_RSRC2:TRAP_HANDLER: 0
; COMPUTE_PGM_RSRC2:TGID_X_EN: 1
; COMPUTE_PGM_RSRC2:TGID_Y_EN: 0
; COMPUTE_PGM_RSRC2:TGID_Z_EN: 0
; COMPUTE_PGM_RSRC2:TIDIG_COMP_CNT: 0
	.section	.text._ZN7rocprim17ROCPRIM_400000_NS6detail17trampoline_kernelINS0_14default_configENS1_22reduce_config_selectorIlEEZNS1_11reduce_implILb1ES3_PlS7_lN6hipcub16HIPCUB_304000_NS6detail34convert_binary_result_type_wrapperINS9_3SumENS9_22TransformInputIteratorIb7NonZeroIfEPflEElEEEE10hipError_tPvRmT1_T2_T3_mT4_P12ihipStream_tbEUlT_E0_NS1_11comp_targetILNS1_3genE5ELNS1_11target_archE942ELNS1_3gpuE9ELNS1_3repE0EEENS1_30default_config_static_selectorELNS0_4arch9wavefront6targetE1EEEvSM_,"axG",@progbits,_ZN7rocprim17ROCPRIM_400000_NS6detail17trampoline_kernelINS0_14default_configENS1_22reduce_config_selectorIlEEZNS1_11reduce_implILb1ES3_PlS7_lN6hipcub16HIPCUB_304000_NS6detail34convert_binary_result_type_wrapperINS9_3SumENS9_22TransformInputIteratorIb7NonZeroIfEPflEElEEEE10hipError_tPvRmT1_T2_T3_mT4_P12ihipStream_tbEUlT_E0_NS1_11comp_targetILNS1_3genE5ELNS1_11target_archE942ELNS1_3gpuE9ELNS1_3repE0EEENS1_30default_config_static_selectorELNS0_4arch9wavefront6targetE1EEEvSM_,comdat
	.protected	_ZN7rocprim17ROCPRIM_400000_NS6detail17trampoline_kernelINS0_14default_configENS1_22reduce_config_selectorIlEEZNS1_11reduce_implILb1ES3_PlS7_lN6hipcub16HIPCUB_304000_NS6detail34convert_binary_result_type_wrapperINS9_3SumENS9_22TransformInputIteratorIb7NonZeroIfEPflEElEEEE10hipError_tPvRmT1_T2_T3_mT4_P12ihipStream_tbEUlT_E0_NS1_11comp_targetILNS1_3genE5ELNS1_11target_archE942ELNS1_3gpuE9ELNS1_3repE0EEENS1_30default_config_static_selectorELNS0_4arch9wavefront6targetE1EEEvSM_ ; -- Begin function _ZN7rocprim17ROCPRIM_400000_NS6detail17trampoline_kernelINS0_14default_configENS1_22reduce_config_selectorIlEEZNS1_11reduce_implILb1ES3_PlS7_lN6hipcub16HIPCUB_304000_NS6detail34convert_binary_result_type_wrapperINS9_3SumENS9_22TransformInputIteratorIb7NonZeroIfEPflEElEEEE10hipError_tPvRmT1_T2_T3_mT4_P12ihipStream_tbEUlT_E0_NS1_11comp_targetILNS1_3genE5ELNS1_11target_archE942ELNS1_3gpuE9ELNS1_3repE0EEENS1_30default_config_static_selectorELNS0_4arch9wavefront6targetE1EEEvSM_
	.globl	_ZN7rocprim17ROCPRIM_400000_NS6detail17trampoline_kernelINS0_14default_configENS1_22reduce_config_selectorIlEEZNS1_11reduce_implILb1ES3_PlS7_lN6hipcub16HIPCUB_304000_NS6detail34convert_binary_result_type_wrapperINS9_3SumENS9_22TransformInputIteratorIb7NonZeroIfEPflEElEEEE10hipError_tPvRmT1_T2_T3_mT4_P12ihipStream_tbEUlT_E0_NS1_11comp_targetILNS1_3genE5ELNS1_11target_archE942ELNS1_3gpuE9ELNS1_3repE0EEENS1_30default_config_static_selectorELNS0_4arch9wavefront6targetE1EEEvSM_
	.p2align	8
	.type	_ZN7rocprim17ROCPRIM_400000_NS6detail17trampoline_kernelINS0_14default_configENS1_22reduce_config_selectorIlEEZNS1_11reduce_implILb1ES3_PlS7_lN6hipcub16HIPCUB_304000_NS6detail34convert_binary_result_type_wrapperINS9_3SumENS9_22TransformInputIteratorIb7NonZeroIfEPflEElEEEE10hipError_tPvRmT1_T2_T3_mT4_P12ihipStream_tbEUlT_E0_NS1_11comp_targetILNS1_3genE5ELNS1_11target_archE942ELNS1_3gpuE9ELNS1_3repE0EEENS1_30default_config_static_selectorELNS0_4arch9wavefront6targetE1EEEvSM_,@function
_ZN7rocprim17ROCPRIM_400000_NS6detail17trampoline_kernelINS0_14default_configENS1_22reduce_config_selectorIlEEZNS1_11reduce_implILb1ES3_PlS7_lN6hipcub16HIPCUB_304000_NS6detail34convert_binary_result_type_wrapperINS9_3SumENS9_22TransformInputIteratorIb7NonZeroIfEPflEElEEEE10hipError_tPvRmT1_T2_T3_mT4_P12ihipStream_tbEUlT_E0_NS1_11comp_targetILNS1_3genE5ELNS1_11target_archE942ELNS1_3gpuE9ELNS1_3repE0EEENS1_30default_config_static_selectorELNS0_4arch9wavefront6targetE1EEEvSM_: ; @_ZN7rocprim17ROCPRIM_400000_NS6detail17trampoline_kernelINS0_14default_configENS1_22reduce_config_selectorIlEEZNS1_11reduce_implILb1ES3_PlS7_lN6hipcub16HIPCUB_304000_NS6detail34convert_binary_result_type_wrapperINS9_3SumENS9_22TransformInputIteratorIb7NonZeroIfEPflEElEEEE10hipError_tPvRmT1_T2_T3_mT4_P12ihipStream_tbEUlT_E0_NS1_11comp_targetILNS1_3genE5ELNS1_11target_archE942ELNS1_3gpuE9ELNS1_3repE0EEENS1_30default_config_static_selectorELNS0_4arch9wavefront6targetE1EEEvSM_
; %bb.0:
	.section	.rodata,"a",@progbits
	.p2align	6, 0x0
	.amdhsa_kernel _ZN7rocprim17ROCPRIM_400000_NS6detail17trampoline_kernelINS0_14default_configENS1_22reduce_config_selectorIlEEZNS1_11reduce_implILb1ES3_PlS7_lN6hipcub16HIPCUB_304000_NS6detail34convert_binary_result_type_wrapperINS9_3SumENS9_22TransformInputIteratorIb7NonZeroIfEPflEElEEEE10hipError_tPvRmT1_T2_T3_mT4_P12ihipStream_tbEUlT_E0_NS1_11comp_targetILNS1_3genE5ELNS1_11target_archE942ELNS1_3gpuE9ELNS1_3repE0EEENS1_30default_config_static_selectorELNS0_4arch9wavefront6targetE1EEEvSM_
		.amdhsa_group_segment_fixed_size 0
		.amdhsa_private_segment_fixed_size 0
		.amdhsa_kernarg_size 64
		.amdhsa_user_sgpr_count 6
		.amdhsa_user_sgpr_private_segment_buffer 1
		.amdhsa_user_sgpr_dispatch_ptr 0
		.amdhsa_user_sgpr_queue_ptr 0
		.amdhsa_user_sgpr_kernarg_segment_ptr 1
		.amdhsa_user_sgpr_dispatch_id 0
		.amdhsa_user_sgpr_flat_scratch_init 0
		.amdhsa_user_sgpr_private_segment_size 0
		.amdhsa_uses_dynamic_stack 0
		.amdhsa_system_sgpr_private_segment_wavefront_offset 0
		.amdhsa_system_sgpr_workgroup_id_x 1
		.amdhsa_system_sgpr_workgroup_id_y 0
		.amdhsa_system_sgpr_workgroup_id_z 0
		.amdhsa_system_sgpr_workgroup_info 0
		.amdhsa_system_vgpr_workitem_id 0
		.amdhsa_next_free_vgpr 1
		.amdhsa_next_free_sgpr 0
		.amdhsa_reserve_vcc 0
		.amdhsa_reserve_flat_scratch 0
		.amdhsa_float_round_mode_32 0
		.amdhsa_float_round_mode_16_64 0
		.amdhsa_float_denorm_mode_32 3
		.amdhsa_float_denorm_mode_16_64 3
		.amdhsa_dx10_clamp 1
		.amdhsa_ieee_mode 1
		.amdhsa_fp16_overflow 0
		.amdhsa_exception_fp_ieee_invalid_op 0
		.amdhsa_exception_fp_denorm_src 0
		.amdhsa_exception_fp_ieee_div_zero 0
		.amdhsa_exception_fp_ieee_overflow 0
		.amdhsa_exception_fp_ieee_underflow 0
		.amdhsa_exception_fp_ieee_inexact 0
		.amdhsa_exception_int_div_zero 0
	.end_amdhsa_kernel
	.section	.text._ZN7rocprim17ROCPRIM_400000_NS6detail17trampoline_kernelINS0_14default_configENS1_22reduce_config_selectorIlEEZNS1_11reduce_implILb1ES3_PlS7_lN6hipcub16HIPCUB_304000_NS6detail34convert_binary_result_type_wrapperINS9_3SumENS9_22TransformInputIteratorIb7NonZeroIfEPflEElEEEE10hipError_tPvRmT1_T2_T3_mT4_P12ihipStream_tbEUlT_E0_NS1_11comp_targetILNS1_3genE5ELNS1_11target_archE942ELNS1_3gpuE9ELNS1_3repE0EEENS1_30default_config_static_selectorELNS0_4arch9wavefront6targetE1EEEvSM_,"axG",@progbits,_ZN7rocprim17ROCPRIM_400000_NS6detail17trampoline_kernelINS0_14default_configENS1_22reduce_config_selectorIlEEZNS1_11reduce_implILb1ES3_PlS7_lN6hipcub16HIPCUB_304000_NS6detail34convert_binary_result_type_wrapperINS9_3SumENS9_22TransformInputIteratorIb7NonZeroIfEPflEElEEEE10hipError_tPvRmT1_T2_T3_mT4_P12ihipStream_tbEUlT_E0_NS1_11comp_targetILNS1_3genE5ELNS1_11target_archE942ELNS1_3gpuE9ELNS1_3repE0EEENS1_30default_config_static_selectorELNS0_4arch9wavefront6targetE1EEEvSM_,comdat
.Lfunc_end218:
	.size	_ZN7rocprim17ROCPRIM_400000_NS6detail17trampoline_kernelINS0_14default_configENS1_22reduce_config_selectorIlEEZNS1_11reduce_implILb1ES3_PlS7_lN6hipcub16HIPCUB_304000_NS6detail34convert_binary_result_type_wrapperINS9_3SumENS9_22TransformInputIteratorIb7NonZeroIfEPflEElEEEE10hipError_tPvRmT1_T2_T3_mT4_P12ihipStream_tbEUlT_E0_NS1_11comp_targetILNS1_3genE5ELNS1_11target_archE942ELNS1_3gpuE9ELNS1_3repE0EEENS1_30default_config_static_selectorELNS0_4arch9wavefront6targetE1EEEvSM_, .Lfunc_end218-_ZN7rocprim17ROCPRIM_400000_NS6detail17trampoline_kernelINS0_14default_configENS1_22reduce_config_selectorIlEEZNS1_11reduce_implILb1ES3_PlS7_lN6hipcub16HIPCUB_304000_NS6detail34convert_binary_result_type_wrapperINS9_3SumENS9_22TransformInputIteratorIb7NonZeroIfEPflEElEEEE10hipError_tPvRmT1_T2_T3_mT4_P12ihipStream_tbEUlT_E0_NS1_11comp_targetILNS1_3genE5ELNS1_11target_archE942ELNS1_3gpuE9ELNS1_3repE0EEENS1_30default_config_static_selectorELNS0_4arch9wavefront6targetE1EEEvSM_
                                        ; -- End function
	.set _ZN7rocprim17ROCPRIM_400000_NS6detail17trampoline_kernelINS0_14default_configENS1_22reduce_config_selectorIlEEZNS1_11reduce_implILb1ES3_PlS7_lN6hipcub16HIPCUB_304000_NS6detail34convert_binary_result_type_wrapperINS9_3SumENS9_22TransformInputIteratorIb7NonZeroIfEPflEElEEEE10hipError_tPvRmT1_T2_T3_mT4_P12ihipStream_tbEUlT_E0_NS1_11comp_targetILNS1_3genE5ELNS1_11target_archE942ELNS1_3gpuE9ELNS1_3repE0EEENS1_30default_config_static_selectorELNS0_4arch9wavefront6targetE1EEEvSM_.num_vgpr, 0
	.set _ZN7rocprim17ROCPRIM_400000_NS6detail17trampoline_kernelINS0_14default_configENS1_22reduce_config_selectorIlEEZNS1_11reduce_implILb1ES3_PlS7_lN6hipcub16HIPCUB_304000_NS6detail34convert_binary_result_type_wrapperINS9_3SumENS9_22TransformInputIteratorIb7NonZeroIfEPflEElEEEE10hipError_tPvRmT1_T2_T3_mT4_P12ihipStream_tbEUlT_E0_NS1_11comp_targetILNS1_3genE5ELNS1_11target_archE942ELNS1_3gpuE9ELNS1_3repE0EEENS1_30default_config_static_selectorELNS0_4arch9wavefront6targetE1EEEvSM_.num_agpr, 0
	.set _ZN7rocprim17ROCPRIM_400000_NS6detail17trampoline_kernelINS0_14default_configENS1_22reduce_config_selectorIlEEZNS1_11reduce_implILb1ES3_PlS7_lN6hipcub16HIPCUB_304000_NS6detail34convert_binary_result_type_wrapperINS9_3SumENS9_22TransformInputIteratorIb7NonZeroIfEPflEElEEEE10hipError_tPvRmT1_T2_T3_mT4_P12ihipStream_tbEUlT_E0_NS1_11comp_targetILNS1_3genE5ELNS1_11target_archE942ELNS1_3gpuE9ELNS1_3repE0EEENS1_30default_config_static_selectorELNS0_4arch9wavefront6targetE1EEEvSM_.numbered_sgpr, 0
	.set _ZN7rocprim17ROCPRIM_400000_NS6detail17trampoline_kernelINS0_14default_configENS1_22reduce_config_selectorIlEEZNS1_11reduce_implILb1ES3_PlS7_lN6hipcub16HIPCUB_304000_NS6detail34convert_binary_result_type_wrapperINS9_3SumENS9_22TransformInputIteratorIb7NonZeroIfEPflEElEEEE10hipError_tPvRmT1_T2_T3_mT4_P12ihipStream_tbEUlT_E0_NS1_11comp_targetILNS1_3genE5ELNS1_11target_archE942ELNS1_3gpuE9ELNS1_3repE0EEENS1_30default_config_static_selectorELNS0_4arch9wavefront6targetE1EEEvSM_.num_named_barrier, 0
	.set _ZN7rocprim17ROCPRIM_400000_NS6detail17trampoline_kernelINS0_14default_configENS1_22reduce_config_selectorIlEEZNS1_11reduce_implILb1ES3_PlS7_lN6hipcub16HIPCUB_304000_NS6detail34convert_binary_result_type_wrapperINS9_3SumENS9_22TransformInputIteratorIb7NonZeroIfEPflEElEEEE10hipError_tPvRmT1_T2_T3_mT4_P12ihipStream_tbEUlT_E0_NS1_11comp_targetILNS1_3genE5ELNS1_11target_archE942ELNS1_3gpuE9ELNS1_3repE0EEENS1_30default_config_static_selectorELNS0_4arch9wavefront6targetE1EEEvSM_.private_seg_size, 0
	.set _ZN7rocprim17ROCPRIM_400000_NS6detail17trampoline_kernelINS0_14default_configENS1_22reduce_config_selectorIlEEZNS1_11reduce_implILb1ES3_PlS7_lN6hipcub16HIPCUB_304000_NS6detail34convert_binary_result_type_wrapperINS9_3SumENS9_22TransformInputIteratorIb7NonZeroIfEPflEElEEEE10hipError_tPvRmT1_T2_T3_mT4_P12ihipStream_tbEUlT_E0_NS1_11comp_targetILNS1_3genE5ELNS1_11target_archE942ELNS1_3gpuE9ELNS1_3repE0EEENS1_30default_config_static_selectorELNS0_4arch9wavefront6targetE1EEEvSM_.uses_vcc, 0
	.set _ZN7rocprim17ROCPRIM_400000_NS6detail17trampoline_kernelINS0_14default_configENS1_22reduce_config_selectorIlEEZNS1_11reduce_implILb1ES3_PlS7_lN6hipcub16HIPCUB_304000_NS6detail34convert_binary_result_type_wrapperINS9_3SumENS9_22TransformInputIteratorIb7NonZeroIfEPflEElEEEE10hipError_tPvRmT1_T2_T3_mT4_P12ihipStream_tbEUlT_E0_NS1_11comp_targetILNS1_3genE5ELNS1_11target_archE942ELNS1_3gpuE9ELNS1_3repE0EEENS1_30default_config_static_selectorELNS0_4arch9wavefront6targetE1EEEvSM_.uses_flat_scratch, 0
	.set _ZN7rocprim17ROCPRIM_400000_NS6detail17trampoline_kernelINS0_14default_configENS1_22reduce_config_selectorIlEEZNS1_11reduce_implILb1ES3_PlS7_lN6hipcub16HIPCUB_304000_NS6detail34convert_binary_result_type_wrapperINS9_3SumENS9_22TransformInputIteratorIb7NonZeroIfEPflEElEEEE10hipError_tPvRmT1_T2_T3_mT4_P12ihipStream_tbEUlT_E0_NS1_11comp_targetILNS1_3genE5ELNS1_11target_archE942ELNS1_3gpuE9ELNS1_3repE0EEENS1_30default_config_static_selectorELNS0_4arch9wavefront6targetE1EEEvSM_.has_dyn_sized_stack, 0
	.set _ZN7rocprim17ROCPRIM_400000_NS6detail17trampoline_kernelINS0_14default_configENS1_22reduce_config_selectorIlEEZNS1_11reduce_implILb1ES3_PlS7_lN6hipcub16HIPCUB_304000_NS6detail34convert_binary_result_type_wrapperINS9_3SumENS9_22TransformInputIteratorIb7NonZeroIfEPflEElEEEE10hipError_tPvRmT1_T2_T3_mT4_P12ihipStream_tbEUlT_E0_NS1_11comp_targetILNS1_3genE5ELNS1_11target_archE942ELNS1_3gpuE9ELNS1_3repE0EEENS1_30default_config_static_selectorELNS0_4arch9wavefront6targetE1EEEvSM_.has_recursion, 0
	.set _ZN7rocprim17ROCPRIM_400000_NS6detail17trampoline_kernelINS0_14default_configENS1_22reduce_config_selectorIlEEZNS1_11reduce_implILb1ES3_PlS7_lN6hipcub16HIPCUB_304000_NS6detail34convert_binary_result_type_wrapperINS9_3SumENS9_22TransformInputIteratorIb7NonZeroIfEPflEElEEEE10hipError_tPvRmT1_T2_T3_mT4_P12ihipStream_tbEUlT_E0_NS1_11comp_targetILNS1_3genE5ELNS1_11target_archE942ELNS1_3gpuE9ELNS1_3repE0EEENS1_30default_config_static_selectorELNS0_4arch9wavefront6targetE1EEEvSM_.has_indirect_call, 0
	.section	.AMDGPU.csdata,"",@progbits
; Kernel info:
; codeLenInByte = 0
; TotalNumSgprs: 4
; NumVgprs: 0
; ScratchSize: 0
; MemoryBound: 0
; FloatMode: 240
; IeeeMode: 1
; LDSByteSize: 0 bytes/workgroup (compile time only)
; SGPRBlocks: 0
; VGPRBlocks: 0
; NumSGPRsForWavesPerEU: 4
; NumVGPRsForWavesPerEU: 1
; Occupancy: 10
; WaveLimiterHint : 0
; COMPUTE_PGM_RSRC2:SCRATCH_EN: 0
; COMPUTE_PGM_RSRC2:USER_SGPR: 6
; COMPUTE_PGM_RSRC2:TRAP_HANDLER: 0
; COMPUTE_PGM_RSRC2:TGID_X_EN: 1
; COMPUTE_PGM_RSRC2:TGID_Y_EN: 0
; COMPUTE_PGM_RSRC2:TGID_Z_EN: 0
; COMPUTE_PGM_RSRC2:TIDIG_COMP_CNT: 0
	.section	.text._ZN7rocprim17ROCPRIM_400000_NS6detail17trampoline_kernelINS0_14default_configENS1_22reduce_config_selectorIlEEZNS1_11reduce_implILb1ES3_PlS7_lN6hipcub16HIPCUB_304000_NS6detail34convert_binary_result_type_wrapperINS9_3SumENS9_22TransformInputIteratorIb7NonZeroIfEPflEElEEEE10hipError_tPvRmT1_T2_T3_mT4_P12ihipStream_tbEUlT_E0_NS1_11comp_targetILNS1_3genE4ELNS1_11target_archE910ELNS1_3gpuE8ELNS1_3repE0EEENS1_30default_config_static_selectorELNS0_4arch9wavefront6targetE1EEEvSM_,"axG",@progbits,_ZN7rocprim17ROCPRIM_400000_NS6detail17trampoline_kernelINS0_14default_configENS1_22reduce_config_selectorIlEEZNS1_11reduce_implILb1ES3_PlS7_lN6hipcub16HIPCUB_304000_NS6detail34convert_binary_result_type_wrapperINS9_3SumENS9_22TransformInputIteratorIb7NonZeroIfEPflEElEEEE10hipError_tPvRmT1_T2_T3_mT4_P12ihipStream_tbEUlT_E0_NS1_11comp_targetILNS1_3genE4ELNS1_11target_archE910ELNS1_3gpuE8ELNS1_3repE0EEENS1_30default_config_static_selectorELNS0_4arch9wavefront6targetE1EEEvSM_,comdat
	.protected	_ZN7rocprim17ROCPRIM_400000_NS6detail17trampoline_kernelINS0_14default_configENS1_22reduce_config_selectorIlEEZNS1_11reduce_implILb1ES3_PlS7_lN6hipcub16HIPCUB_304000_NS6detail34convert_binary_result_type_wrapperINS9_3SumENS9_22TransformInputIteratorIb7NonZeroIfEPflEElEEEE10hipError_tPvRmT1_T2_T3_mT4_P12ihipStream_tbEUlT_E0_NS1_11comp_targetILNS1_3genE4ELNS1_11target_archE910ELNS1_3gpuE8ELNS1_3repE0EEENS1_30default_config_static_selectorELNS0_4arch9wavefront6targetE1EEEvSM_ ; -- Begin function _ZN7rocprim17ROCPRIM_400000_NS6detail17trampoline_kernelINS0_14default_configENS1_22reduce_config_selectorIlEEZNS1_11reduce_implILb1ES3_PlS7_lN6hipcub16HIPCUB_304000_NS6detail34convert_binary_result_type_wrapperINS9_3SumENS9_22TransformInputIteratorIb7NonZeroIfEPflEElEEEE10hipError_tPvRmT1_T2_T3_mT4_P12ihipStream_tbEUlT_E0_NS1_11comp_targetILNS1_3genE4ELNS1_11target_archE910ELNS1_3gpuE8ELNS1_3repE0EEENS1_30default_config_static_selectorELNS0_4arch9wavefront6targetE1EEEvSM_
	.globl	_ZN7rocprim17ROCPRIM_400000_NS6detail17trampoline_kernelINS0_14default_configENS1_22reduce_config_selectorIlEEZNS1_11reduce_implILb1ES3_PlS7_lN6hipcub16HIPCUB_304000_NS6detail34convert_binary_result_type_wrapperINS9_3SumENS9_22TransformInputIteratorIb7NonZeroIfEPflEElEEEE10hipError_tPvRmT1_T2_T3_mT4_P12ihipStream_tbEUlT_E0_NS1_11comp_targetILNS1_3genE4ELNS1_11target_archE910ELNS1_3gpuE8ELNS1_3repE0EEENS1_30default_config_static_selectorELNS0_4arch9wavefront6targetE1EEEvSM_
	.p2align	8
	.type	_ZN7rocprim17ROCPRIM_400000_NS6detail17trampoline_kernelINS0_14default_configENS1_22reduce_config_selectorIlEEZNS1_11reduce_implILb1ES3_PlS7_lN6hipcub16HIPCUB_304000_NS6detail34convert_binary_result_type_wrapperINS9_3SumENS9_22TransformInputIteratorIb7NonZeroIfEPflEElEEEE10hipError_tPvRmT1_T2_T3_mT4_P12ihipStream_tbEUlT_E0_NS1_11comp_targetILNS1_3genE4ELNS1_11target_archE910ELNS1_3gpuE8ELNS1_3repE0EEENS1_30default_config_static_selectorELNS0_4arch9wavefront6targetE1EEEvSM_,@function
_ZN7rocprim17ROCPRIM_400000_NS6detail17trampoline_kernelINS0_14default_configENS1_22reduce_config_selectorIlEEZNS1_11reduce_implILb1ES3_PlS7_lN6hipcub16HIPCUB_304000_NS6detail34convert_binary_result_type_wrapperINS9_3SumENS9_22TransformInputIteratorIb7NonZeroIfEPflEElEEEE10hipError_tPvRmT1_T2_T3_mT4_P12ihipStream_tbEUlT_E0_NS1_11comp_targetILNS1_3genE4ELNS1_11target_archE910ELNS1_3gpuE8ELNS1_3repE0EEENS1_30default_config_static_selectorELNS0_4arch9wavefront6targetE1EEEvSM_: ; @_ZN7rocprim17ROCPRIM_400000_NS6detail17trampoline_kernelINS0_14default_configENS1_22reduce_config_selectorIlEEZNS1_11reduce_implILb1ES3_PlS7_lN6hipcub16HIPCUB_304000_NS6detail34convert_binary_result_type_wrapperINS9_3SumENS9_22TransformInputIteratorIb7NonZeroIfEPflEElEEEE10hipError_tPvRmT1_T2_T3_mT4_P12ihipStream_tbEUlT_E0_NS1_11comp_targetILNS1_3genE4ELNS1_11target_archE910ELNS1_3gpuE8ELNS1_3repE0EEENS1_30default_config_static_selectorELNS0_4arch9wavefront6targetE1EEEvSM_
; %bb.0:
	.section	.rodata,"a",@progbits
	.p2align	6, 0x0
	.amdhsa_kernel _ZN7rocprim17ROCPRIM_400000_NS6detail17trampoline_kernelINS0_14default_configENS1_22reduce_config_selectorIlEEZNS1_11reduce_implILb1ES3_PlS7_lN6hipcub16HIPCUB_304000_NS6detail34convert_binary_result_type_wrapperINS9_3SumENS9_22TransformInputIteratorIb7NonZeroIfEPflEElEEEE10hipError_tPvRmT1_T2_T3_mT4_P12ihipStream_tbEUlT_E0_NS1_11comp_targetILNS1_3genE4ELNS1_11target_archE910ELNS1_3gpuE8ELNS1_3repE0EEENS1_30default_config_static_selectorELNS0_4arch9wavefront6targetE1EEEvSM_
		.amdhsa_group_segment_fixed_size 0
		.amdhsa_private_segment_fixed_size 0
		.amdhsa_kernarg_size 64
		.amdhsa_user_sgpr_count 6
		.amdhsa_user_sgpr_private_segment_buffer 1
		.amdhsa_user_sgpr_dispatch_ptr 0
		.amdhsa_user_sgpr_queue_ptr 0
		.amdhsa_user_sgpr_kernarg_segment_ptr 1
		.amdhsa_user_sgpr_dispatch_id 0
		.amdhsa_user_sgpr_flat_scratch_init 0
		.amdhsa_user_sgpr_private_segment_size 0
		.amdhsa_uses_dynamic_stack 0
		.amdhsa_system_sgpr_private_segment_wavefront_offset 0
		.amdhsa_system_sgpr_workgroup_id_x 1
		.amdhsa_system_sgpr_workgroup_id_y 0
		.amdhsa_system_sgpr_workgroup_id_z 0
		.amdhsa_system_sgpr_workgroup_info 0
		.amdhsa_system_vgpr_workitem_id 0
		.amdhsa_next_free_vgpr 1
		.amdhsa_next_free_sgpr 0
		.amdhsa_reserve_vcc 0
		.amdhsa_reserve_flat_scratch 0
		.amdhsa_float_round_mode_32 0
		.amdhsa_float_round_mode_16_64 0
		.amdhsa_float_denorm_mode_32 3
		.amdhsa_float_denorm_mode_16_64 3
		.amdhsa_dx10_clamp 1
		.amdhsa_ieee_mode 1
		.amdhsa_fp16_overflow 0
		.amdhsa_exception_fp_ieee_invalid_op 0
		.amdhsa_exception_fp_denorm_src 0
		.amdhsa_exception_fp_ieee_div_zero 0
		.amdhsa_exception_fp_ieee_overflow 0
		.amdhsa_exception_fp_ieee_underflow 0
		.amdhsa_exception_fp_ieee_inexact 0
		.amdhsa_exception_int_div_zero 0
	.end_amdhsa_kernel
	.section	.text._ZN7rocprim17ROCPRIM_400000_NS6detail17trampoline_kernelINS0_14default_configENS1_22reduce_config_selectorIlEEZNS1_11reduce_implILb1ES3_PlS7_lN6hipcub16HIPCUB_304000_NS6detail34convert_binary_result_type_wrapperINS9_3SumENS9_22TransformInputIteratorIb7NonZeroIfEPflEElEEEE10hipError_tPvRmT1_T2_T3_mT4_P12ihipStream_tbEUlT_E0_NS1_11comp_targetILNS1_3genE4ELNS1_11target_archE910ELNS1_3gpuE8ELNS1_3repE0EEENS1_30default_config_static_selectorELNS0_4arch9wavefront6targetE1EEEvSM_,"axG",@progbits,_ZN7rocprim17ROCPRIM_400000_NS6detail17trampoline_kernelINS0_14default_configENS1_22reduce_config_selectorIlEEZNS1_11reduce_implILb1ES3_PlS7_lN6hipcub16HIPCUB_304000_NS6detail34convert_binary_result_type_wrapperINS9_3SumENS9_22TransformInputIteratorIb7NonZeroIfEPflEElEEEE10hipError_tPvRmT1_T2_T3_mT4_P12ihipStream_tbEUlT_E0_NS1_11comp_targetILNS1_3genE4ELNS1_11target_archE910ELNS1_3gpuE8ELNS1_3repE0EEENS1_30default_config_static_selectorELNS0_4arch9wavefront6targetE1EEEvSM_,comdat
.Lfunc_end219:
	.size	_ZN7rocprim17ROCPRIM_400000_NS6detail17trampoline_kernelINS0_14default_configENS1_22reduce_config_selectorIlEEZNS1_11reduce_implILb1ES3_PlS7_lN6hipcub16HIPCUB_304000_NS6detail34convert_binary_result_type_wrapperINS9_3SumENS9_22TransformInputIteratorIb7NonZeroIfEPflEElEEEE10hipError_tPvRmT1_T2_T3_mT4_P12ihipStream_tbEUlT_E0_NS1_11comp_targetILNS1_3genE4ELNS1_11target_archE910ELNS1_3gpuE8ELNS1_3repE0EEENS1_30default_config_static_selectorELNS0_4arch9wavefront6targetE1EEEvSM_, .Lfunc_end219-_ZN7rocprim17ROCPRIM_400000_NS6detail17trampoline_kernelINS0_14default_configENS1_22reduce_config_selectorIlEEZNS1_11reduce_implILb1ES3_PlS7_lN6hipcub16HIPCUB_304000_NS6detail34convert_binary_result_type_wrapperINS9_3SumENS9_22TransformInputIteratorIb7NonZeroIfEPflEElEEEE10hipError_tPvRmT1_T2_T3_mT4_P12ihipStream_tbEUlT_E0_NS1_11comp_targetILNS1_3genE4ELNS1_11target_archE910ELNS1_3gpuE8ELNS1_3repE0EEENS1_30default_config_static_selectorELNS0_4arch9wavefront6targetE1EEEvSM_
                                        ; -- End function
	.set _ZN7rocprim17ROCPRIM_400000_NS6detail17trampoline_kernelINS0_14default_configENS1_22reduce_config_selectorIlEEZNS1_11reduce_implILb1ES3_PlS7_lN6hipcub16HIPCUB_304000_NS6detail34convert_binary_result_type_wrapperINS9_3SumENS9_22TransformInputIteratorIb7NonZeroIfEPflEElEEEE10hipError_tPvRmT1_T2_T3_mT4_P12ihipStream_tbEUlT_E0_NS1_11comp_targetILNS1_3genE4ELNS1_11target_archE910ELNS1_3gpuE8ELNS1_3repE0EEENS1_30default_config_static_selectorELNS0_4arch9wavefront6targetE1EEEvSM_.num_vgpr, 0
	.set _ZN7rocprim17ROCPRIM_400000_NS6detail17trampoline_kernelINS0_14default_configENS1_22reduce_config_selectorIlEEZNS1_11reduce_implILb1ES3_PlS7_lN6hipcub16HIPCUB_304000_NS6detail34convert_binary_result_type_wrapperINS9_3SumENS9_22TransformInputIteratorIb7NonZeroIfEPflEElEEEE10hipError_tPvRmT1_T2_T3_mT4_P12ihipStream_tbEUlT_E0_NS1_11comp_targetILNS1_3genE4ELNS1_11target_archE910ELNS1_3gpuE8ELNS1_3repE0EEENS1_30default_config_static_selectorELNS0_4arch9wavefront6targetE1EEEvSM_.num_agpr, 0
	.set _ZN7rocprim17ROCPRIM_400000_NS6detail17trampoline_kernelINS0_14default_configENS1_22reduce_config_selectorIlEEZNS1_11reduce_implILb1ES3_PlS7_lN6hipcub16HIPCUB_304000_NS6detail34convert_binary_result_type_wrapperINS9_3SumENS9_22TransformInputIteratorIb7NonZeroIfEPflEElEEEE10hipError_tPvRmT1_T2_T3_mT4_P12ihipStream_tbEUlT_E0_NS1_11comp_targetILNS1_3genE4ELNS1_11target_archE910ELNS1_3gpuE8ELNS1_3repE0EEENS1_30default_config_static_selectorELNS0_4arch9wavefront6targetE1EEEvSM_.numbered_sgpr, 0
	.set _ZN7rocprim17ROCPRIM_400000_NS6detail17trampoline_kernelINS0_14default_configENS1_22reduce_config_selectorIlEEZNS1_11reduce_implILb1ES3_PlS7_lN6hipcub16HIPCUB_304000_NS6detail34convert_binary_result_type_wrapperINS9_3SumENS9_22TransformInputIteratorIb7NonZeroIfEPflEElEEEE10hipError_tPvRmT1_T2_T3_mT4_P12ihipStream_tbEUlT_E0_NS1_11comp_targetILNS1_3genE4ELNS1_11target_archE910ELNS1_3gpuE8ELNS1_3repE0EEENS1_30default_config_static_selectorELNS0_4arch9wavefront6targetE1EEEvSM_.num_named_barrier, 0
	.set _ZN7rocprim17ROCPRIM_400000_NS6detail17trampoline_kernelINS0_14default_configENS1_22reduce_config_selectorIlEEZNS1_11reduce_implILb1ES3_PlS7_lN6hipcub16HIPCUB_304000_NS6detail34convert_binary_result_type_wrapperINS9_3SumENS9_22TransformInputIteratorIb7NonZeroIfEPflEElEEEE10hipError_tPvRmT1_T2_T3_mT4_P12ihipStream_tbEUlT_E0_NS1_11comp_targetILNS1_3genE4ELNS1_11target_archE910ELNS1_3gpuE8ELNS1_3repE0EEENS1_30default_config_static_selectorELNS0_4arch9wavefront6targetE1EEEvSM_.private_seg_size, 0
	.set _ZN7rocprim17ROCPRIM_400000_NS6detail17trampoline_kernelINS0_14default_configENS1_22reduce_config_selectorIlEEZNS1_11reduce_implILb1ES3_PlS7_lN6hipcub16HIPCUB_304000_NS6detail34convert_binary_result_type_wrapperINS9_3SumENS9_22TransformInputIteratorIb7NonZeroIfEPflEElEEEE10hipError_tPvRmT1_T2_T3_mT4_P12ihipStream_tbEUlT_E0_NS1_11comp_targetILNS1_3genE4ELNS1_11target_archE910ELNS1_3gpuE8ELNS1_3repE0EEENS1_30default_config_static_selectorELNS0_4arch9wavefront6targetE1EEEvSM_.uses_vcc, 0
	.set _ZN7rocprim17ROCPRIM_400000_NS6detail17trampoline_kernelINS0_14default_configENS1_22reduce_config_selectorIlEEZNS1_11reduce_implILb1ES3_PlS7_lN6hipcub16HIPCUB_304000_NS6detail34convert_binary_result_type_wrapperINS9_3SumENS9_22TransformInputIteratorIb7NonZeroIfEPflEElEEEE10hipError_tPvRmT1_T2_T3_mT4_P12ihipStream_tbEUlT_E0_NS1_11comp_targetILNS1_3genE4ELNS1_11target_archE910ELNS1_3gpuE8ELNS1_3repE0EEENS1_30default_config_static_selectorELNS0_4arch9wavefront6targetE1EEEvSM_.uses_flat_scratch, 0
	.set _ZN7rocprim17ROCPRIM_400000_NS6detail17trampoline_kernelINS0_14default_configENS1_22reduce_config_selectorIlEEZNS1_11reduce_implILb1ES3_PlS7_lN6hipcub16HIPCUB_304000_NS6detail34convert_binary_result_type_wrapperINS9_3SumENS9_22TransformInputIteratorIb7NonZeroIfEPflEElEEEE10hipError_tPvRmT1_T2_T3_mT4_P12ihipStream_tbEUlT_E0_NS1_11comp_targetILNS1_3genE4ELNS1_11target_archE910ELNS1_3gpuE8ELNS1_3repE0EEENS1_30default_config_static_selectorELNS0_4arch9wavefront6targetE1EEEvSM_.has_dyn_sized_stack, 0
	.set _ZN7rocprim17ROCPRIM_400000_NS6detail17trampoline_kernelINS0_14default_configENS1_22reduce_config_selectorIlEEZNS1_11reduce_implILb1ES3_PlS7_lN6hipcub16HIPCUB_304000_NS6detail34convert_binary_result_type_wrapperINS9_3SumENS9_22TransformInputIteratorIb7NonZeroIfEPflEElEEEE10hipError_tPvRmT1_T2_T3_mT4_P12ihipStream_tbEUlT_E0_NS1_11comp_targetILNS1_3genE4ELNS1_11target_archE910ELNS1_3gpuE8ELNS1_3repE0EEENS1_30default_config_static_selectorELNS0_4arch9wavefront6targetE1EEEvSM_.has_recursion, 0
	.set _ZN7rocprim17ROCPRIM_400000_NS6detail17trampoline_kernelINS0_14default_configENS1_22reduce_config_selectorIlEEZNS1_11reduce_implILb1ES3_PlS7_lN6hipcub16HIPCUB_304000_NS6detail34convert_binary_result_type_wrapperINS9_3SumENS9_22TransformInputIteratorIb7NonZeroIfEPflEElEEEE10hipError_tPvRmT1_T2_T3_mT4_P12ihipStream_tbEUlT_E0_NS1_11comp_targetILNS1_3genE4ELNS1_11target_archE910ELNS1_3gpuE8ELNS1_3repE0EEENS1_30default_config_static_selectorELNS0_4arch9wavefront6targetE1EEEvSM_.has_indirect_call, 0
	.section	.AMDGPU.csdata,"",@progbits
; Kernel info:
; codeLenInByte = 0
; TotalNumSgprs: 4
; NumVgprs: 0
; ScratchSize: 0
; MemoryBound: 0
; FloatMode: 240
; IeeeMode: 1
; LDSByteSize: 0 bytes/workgroup (compile time only)
; SGPRBlocks: 0
; VGPRBlocks: 0
; NumSGPRsForWavesPerEU: 4
; NumVGPRsForWavesPerEU: 1
; Occupancy: 10
; WaveLimiterHint : 0
; COMPUTE_PGM_RSRC2:SCRATCH_EN: 0
; COMPUTE_PGM_RSRC2:USER_SGPR: 6
; COMPUTE_PGM_RSRC2:TRAP_HANDLER: 0
; COMPUTE_PGM_RSRC2:TGID_X_EN: 1
; COMPUTE_PGM_RSRC2:TGID_Y_EN: 0
; COMPUTE_PGM_RSRC2:TGID_Z_EN: 0
; COMPUTE_PGM_RSRC2:TIDIG_COMP_CNT: 0
	.section	.text._ZN7rocprim17ROCPRIM_400000_NS6detail17trampoline_kernelINS0_14default_configENS1_22reduce_config_selectorIlEEZNS1_11reduce_implILb1ES3_PlS7_lN6hipcub16HIPCUB_304000_NS6detail34convert_binary_result_type_wrapperINS9_3SumENS9_22TransformInputIteratorIb7NonZeroIfEPflEElEEEE10hipError_tPvRmT1_T2_T3_mT4_P12ihipStream_tbEUlT_E0_NS1_11comp_targetILNS1_3genE3ELNS1_11target_archE908ELNS1_3gpuE7ELNS1_3repE0EEENS1_30default_config_static_selectorELNS0_4arch9wavefront6targetE1EEEvSM_,"axG",@progbits,_ZN7rocprim17ROCPRIM_400000_NS6detail17trampoline_kernelINS0_14default_configENS1_22reduce_config_selectorIlEEZNS1_11reduce_implILb1ES3_PlS7_lN6hipcub16HIPCUB_304000_NS6detail34convert_binary_result_type_wrapperINS9_3SumENS9_22TransformInputIteratorIb7NonZeroIfEPflEElEEEE10hipError_tPvRmT1_T2_T3_mT4_P12ihipStream_tbEUlT_E0_NS1_11comp_targetILNS1_3genE3ELNS1_11target_archE908ELNS1_3gpuE7ELNS1_3repE0EEENS1_30default_config_static_selectorELNS0_4arch9wavefront6targetE1EEEvSM_,comdat
	.protected	_ZN7rocprim17ROCPRIM_400000_NS6detail17trampoline_kernelINS0_14default_configENS1_22reduce_config_selectorIlEEZNS1_11reduce_implILb1ES3_PlS7_lN6hipcub16HIPCUB_304000_NS6detail34convert_binary_result_type_wrapperINS9_3SumENS9_22TransformInputIteratorIb7NonZeroIfEPflEElEEEE10hipError_tPvRmT1_T2_T3_mT4_P12ihipStream_tbEUlT_E0_NS1_11comp_targetILNS1_3genE3ELNS1_11target_archE908ELNS1_3gpuE7ELNS1_3repE0EEENS1_30default_config_static_selectorELNS0_4arch9wavefront6targetE1EEEvSM_ ; -- Begin function _ZN7rocprim17ROCPRIM_400000_NS6detail17trampoline_kernelINS0_14default_configENS1_22reduce_config_selectorIlEEZNS1_11reduce_implILb1ES3_PlS7_lN6hipcub16HIPCUB_304000_NS6detail34convert_binary_result_type_wrapperINS9_3SumENS9_22TransformInputIteratorIb7NonZeroIfEPflEElEEEE10hipError_tPvRmT1_T2_T3_mT4_P12ihipStream_tbEUlT_E0_NS1_11comp_targetILNS1_3genE3ELNS1_11target_archE908ELNS1_3gpuE7ELNS1_3repE0EEENS1_30default_config_static_selectorELNS0_4arch9wavefront6targetE1EEEvSM_
	.globl	_ZN7rocprim17ROCPRIM_400000_NS6detail17trampoline_kernelINS0_14default_configENS1_22reduce_config_selectorIlEEZNS1_11reduce_implILb1ES3_PlS7_lN6hipcub16HIPCUB_304000_NS6detail34convert_binary_result_type_wrapperINS9_3SumENS9_22TransformInputIteratorIb7NonZeroIfEPflEElEEEE10hipError_tPvRmT1_T2_T3_mT4_P12ihipStream_tbEUlT_E0_NS1_11comp_targetILNS1_3genE3ELNS1_11target_archE908ELNS1_3gpuE7ELNS1_3repE0EEENS1_30default_config_static_selectorELNS0_4arch9wavefront6targetE1EEEvSM_
	.p2align	8
	.type	_ZN7rocprim17ROCPRIM_400000_NS6detail17trampoline_kernelINS0_14default_configENS1_22reduce_config_selectorIlEEZNS1_11reduce_implILb1ES3_PlS7_lN6hipcub16HIPCUB_304000_NS6detail34convert_binary_result_type_wrapperINS9_3SumENS9_22TransformInputIteratorIb7NonZeroIfEPflEElEEEE10hipError_tPvRmT1_T2_T3_mT4_P12ihipStream_tbEUlT_E0_NS1_11comp_targetILNS1_3genE3ELNS1_11target_archE908ELNS1_3gpuE7ELNS1_3repE0EEENS1_30default_config_static_selectorELNS0_4arch9wavefront6targetE1EEEvSM_,@function
_ZN7rocprim17ROCPRIM_400000_NS6detail17trampoline_kernelINS0_14default_configENS1_22reduce_config_selectorIlEEZNS1_11reduce_implILb1ES3_PlS7_lN6hipcub16HIPCUB_304000_NS6detail34convert_binary_result_type_wrapperINS9_3SumENS9_22TransformInputIteratorIb7NonZeroIfEPflEElEEEE10hipError_tPvRmT1_T2_T3_mT4_P12ihipStream_tbEUlT_E0_NS1_11comp_targetILNS1_3genE3ELNS1_11target_archE908ELNS1_3gpuE7ELNS1_3repE0EEENS1_30default_config_static_selectorELNS0_4arch9wavefront6targetE1EEEvSM_: ; @_ZN7rocprim17ROCPRIM_400000_NS6detail17trampoline_kernelINS0_14default_configENS1_22reduce_config_selectorIlEEZNS1_11reduce_implILb1ES3_PlS7_lN6hipcub16HIPCUB_304000_NS6detail34convert_binary_result_type_wrapperINS9_3SumENS9_22TransformInputIteratorIb7NonZeroIfEPflEElEEEE10hipError_tPvRmT1_T2_T3_mT4_P12ihipStream_tbEUlT_E0_NS1_11comp_targetILNS1_3genE3ELNS1_11target_archE908ELNS1_3gpuE7ELNS1_3repE0EEENS1_30default_config_static_selectorELNS0_4arch9wavefront6targetE1EEEvSM_
; %bb.0:
	.section	.rodata,"a",@progbits
	.p2align	6, 0x0
	.amdhsa_kernel _ZN7rocprim17ROCPRIM_400000_NS6detail17trampoline_kernelINS0_14default_configENS1_22reduce_config_selectorIlEEZNS1_11reduce_implILb1ES3_PlS7_lN6hipcub16HIPCUB_304000_NS6detail34convert_binary_result_type_wrapperINS9_3SumENS9_22TransformInputIteratorIb7NonZeroIfEPflEElEEEE10hipError_tPvRmT1_T2_T3_mT4_P12ihipStream_tbEUlT_E0_NS1_11comp_targetILNS1_3genE3ELNS1_11target_archE908ELNS1_3gpuE7ELNS1_3repE0EEENS1_30default_config_static_selectorELNS0_4arch9wavefront6targetE1EEEvSM_
		.amdhsa_group_segment_fixed_size 0
		.amdhsa_private_segment_fixed_size 0
		.amdhsa_kernarg_size 64
		.amdhsa_user_sgpr_count 6
		.amdhsa_user_sgpr_private_segment_buffer 1
		.amdhsa_user_sgpr_dispatch_ptr 0
		.amdhsa_user_sgpr_queue_ptr 0
		.amdhsa_user_sgpr_kernarg_segment_ptr 1
		.amdhsa_user_sgpr_dispatch_id 0
		.amdhsa_user_sgpr_flat_scratch_init 0
		.amdhsa_user_sgpr_private_segment_size 0
		.amdhsa_uses_dynamic_stack 0
		.amdhsa_system_sgpr_private_segment_wavefront_offset 0
		.amdhsa_system_sgpr_workgroup_id_x 1
		.amdhsa_system_sgpr_workgroup_id_y 0
		.amdhsa_system_sgpr_workgroup_id_z 0
		.amdhsa_system_sgpr_workgroup_info 0
		.amdhsa_system_vgpr_workitem_id 0
		.amdhsa_next_free_vgpr 1
		.amdhsa_next_free_sgpr 0
		.amdhsa_reserve_vcc 0
		.amdhsa_reserve_flat_scratch 0
		.amdhsa_float_round_mode_32 0
		.amdhsa_float_round_mode_16_64 0
		.amdhsa_float_denorm_mode_32 3
		.amdhsa_float_denorm_mode_16_64 3
		.amdhsa_dx10_clamp 1
		.amdhsa_ieee_mode 1
		.amdhsa_fp16_overflow 0
		.amdhsa_exception_fp_ieee_invalid_op 0
		.amdhsa_exception_fp_denorm_src 0
		.amdhsa_exception_fp_ieee_div_zero 0
		.amdhsa_exception_fp_ieee_overflow 0
		.amdhsa_exception_fp_ieee_underflow 0
		.amdhsa_exception_fp_ieee_inexact 0
		.amdhsa_exception_int_div_zero 0
	.end_amdhsa_kernel
	.section	.text._ZN7rocprim17ROCPRIM_400000_NS6detail17trampoline_kernelINS0_14default_configENS1_22reduce_config_selectorIlEEZNS1_11reduce_implILb1ES3_PlS7_lN6hipcub16HIPCUB_304000_NS6detail34convert_binary_result_type_wrapperINS9_3SumENS9_22TransformInputIteratorIb7NonZeroIfEPflEElEEEE10hipError_tPvRmT1_T2_T3_mT4_P12ihipStream_tbEUlT_E0_NS1_11comp_targetILNS1_3genE3ELNS1_11target_archE908ELNS1_3gpuE7ELNS1_3repE0EEENS1_30default_config_static_selectorELNS0_4arch9wavefront6targetE1EEEvSM_,"axG",@progbits,_ZN7rocprim17ROCPRIM_400000_NS6detail17trampoline_kernelINS0_14default_configENS1_22reduce_config_selectorIlEEZNS1_11reduce_implILb1ES3_PlS7_lN6hipcub16HIPCUB_304000_NS6detail34convert_binary_result_type_wrapperINS9_3SumENS9_22TransformInputIteratorIb7NonZeroIfEPflEElEEEE10hipError_tPvRmT1_T2_T3_mT4_P12ihipStream_tbEUlT_E0_NS1_11comp_targetILNS1_3genE3ELNS1_11target_archE908ELNS1_3gpuE7ELNS1_3repE0EEENS1_30default_config_static_selectorELNS0_4arch9wavefront6targetE1EEEvSM_,comdat
.Lfunc_end220:
	.size	_ZN7rocprim17ROCPRIM_400000_NS6detail17trampoline_kernelINS0_14default_configENS1_22reduce_config_selectorIlEEZNS1_11reduce_implILb1ES3_PlS7_lN6hipcub16HIPCUB_304000_NS6detail34convert_binary_result_type_wrapperINS9_3SumENS9_22TransformInputIteratorIb7NonZeroIfEPflEElEEEE10hipError_tPvRmT1_T2_T3_mT4_P12ihipStream_tbEUlT_E0_NS1_11comp_targetILNS1_3genE3ELNS1_11target_archE908ELNS1_3gpuE7ELNS1_3repE0EEENS1_30default_config_static_selectorELNS0_4arch9wavefront6targetE1EEEvSM_, .Lfunc_end220-_ZN7rocprim17ROCPRIM_400000_NS6detail17trampoline_kernelINS0_14default_configENS1_22reduce_config_selectorIlEEZNS1_11reduce_implILb1ES3_PlS7_lN6hipcub16HIPCUB_304000_NS6detail34convert_binary_result_type_wrapperINS9_3SumENS9_22TransformInputIteratorIb7NonZeroIfEPflEElEEEE10hipError_tPvRmT1_T2_T3_mT4_P12ihipStream_tbEUlT_E0_NS1_11comp_targetILNS1_3genE3ELNS1_11target_archE908ELNS1_3gpuE7ELNS1_3repE0EEENS1_30default_config_static_selectorELNS0_4arch9wavefront6targetE1EEEvSM_
                                        ; -- End function
	.set _ZN7rocprim17ROCPRIM_400000_NS6detail17trampoline_kernelINS0_14default_configENS1_22reduce_config_selectorIlEEZNS1_11reduce_implILb1ES3_PlS7_lN6hipcub16HIPCUB_304000_NS6detail34convert_binary_result_type_wrapperINS9_3SumENS9_22TransformInputIteratorIb7NonZeroIfEPflEElEEEE10hipError_tPvRmT1_T2_T3_mT4_P12ihipStream_tbEUlT_E0_NS1_11comp_targetILNS1_3genE3ELNS1_11target_archE908ELNS1_3gpuE7ELNS1_3repE0EEENS1_30default_config_static_selectorELNS0_4arch9wavefront6targetE1EEEvSM_.num_vgpr, 0
	.set _ZN7rocprim17ROCPRIM_400000_NS6detail17trampoline_kernelINS0_14default_configENS1_22reduce_config_selectorIlEEZNS1_11reduce_implILb1ES3_PlS7_lN6hipcub16HIPCUB_304000_NS6detail34convert_binary_result_type_wrapperINS9_3SumENS9_22TransformInputIteratorIb7NonZeroIfEPflEElEEEE10hipError_tPvRmT1_T2_T3_mT4_P12ihipStream_tbEUlT_E0_NS1_11comp_targetILNS1_3genE3ELNS1_11target_archE908ELNS1_3gpuE7ELNS1_3repE0EEENS1_30default_config_static_selectorELNS0_4arch9wavefront6targetE1EEEvSM_.num_agpr, 0
	.set _ZN7rocprim17ROCPRIM_400000_NS6detail17trampoline_kernelINS0_14default_configENS1_22reduce_config_selectorIlEEZNS1_11reduce_implILb1ES3_PlS7_lN6hipcub16HIPCUB_304000_NS6detail34convert_binary_result_type_wrapperINS9_3SumENS9_22TransformInputIteratorIb7NonZeroIfEPflEElEEEE10hipError_tPvRmT1_T2_T3_mT4_P12ihipStream_tbEUlT_E0_NS1_11comp_targetILNS1_3genE3ELNS1_11target_archE908ELNS1_3gpuE7ELNS1_3repE0EEENS1_30default_config_static_selectorELNS0_4arch9wavefront6targetE1EEEvSM_.numbered_sgpr, 0
	.set _ZN7rocprim17ROCPRIM_400000_NS6detail17trampoline_kernelINS0_14default_configENS1_22reduce_config_selectorIlEEZNS1_11reduce_implILb1ES3_PlS7_lN6hipcub16HIPCUB_304000_NS6detail34convert_binary_result_type_wrapperINS9_3SumENS9_22TransformInputIteratorIb7NonZeroIfEPflEElEEEE10hipError_tPvRmT1_T2_T3_mT4_P12ihipStream_tbEUlT_E0_NS1_11comp_targetILNS1_3genE3ELNS1_11target_archE908ELNS1_3gpuE7ELNS1_3repE0EEENS1_30default_config_static_selectorELNS0_4arch9wavefront6targetE1EEEvSM_.num_named_barrier, 0
	.set _ZN7rocprim17ROCPRIM_400000_NS6detail17trampoline_kernelINS0_14default_configENS1_22reduce_config_selectorIlEEZNS1_11reduce_implILb1ES3_PlS7_lN6hipcub16HIPCUB_304000_NS6detail34convert_binary_result_type_wrapperINS9_3SumENS9_22TransformInputIteratorIb7NonZeroIfEPflEElEEEE10hipError_tPvRmT1_T2_T3_mT4_P12ihipStream_tbEUlT_E0_NS1_11comp_targetILNS1_3genE3ELNS1_11target_archE908ELNS1_3gpuE7ELNS1_3repE0EEENS1_30default_config_static_selectorELNS0_4arch9wavefront6targetE1EEEvSM_.private_seg_size, 0
	.set _ZN7rocprim17ROCPRIM_400000_NS6detail17trampoline_kernelINS0_14default_configENS1_22reduce_config_selectorIlEEZNS1_11reduce_implILb1ES3_PlS7_lN6hipcub16HIPCUB_304000_NS6detail34convert_binary_result_type_wrapperINS9_3SumENS9_22TransformInputIteratorIb7NonZeroIfEPflEElEEEE10hipError_tPvRmT1_T2_T3_mT4_P12ihipStream_tbEUlT_E0_NS1_11comp_targetILNS1_3genE3ELNS1_11target_archE908ELNS1_3gpuE7ELNS1_3repE0EEENS1_30default_config_static_selectorELNS0_4arch9wavefront6targetE1EEEvSM_.uses_vcc, 0
	.set _ZN7rocprim17ROCPRIM_400000_NS6detail17trampoline_kernelINS0_14default_configENS1_22reduce_config_selectorIlEEZNS1_11reduce_implILb1ES3_PlS7_lN6hipcub16HIPCUB_304000_NS6detail34convert_binary_result_type_wrapperINS9_3SumENS9_22TransformInputIteratorIb7NonZeroIfEPflEElEEEE10hipError_tPvRmT1_T2_T3_mT4_P12ihipStream_tbEUlT_E0_NS1_11comp_targetILNS1_3genE3ELNS1_11target_archE908ELNS1_3gpuE7ELNS1_3repE0EEENS1_30default_config_static_selectorELNS0_4arch9wavefront6targetE1EEEvSM_.uses_flat_scratch, 0
	.set _ZN7rocprim17ROCPRIM_400000_NS6detail17trampoline_kernelINS0_14default_configENS1_22reduce_config_selectorIlEEZNS1_11reduce_implILb1ES3_PlS7_lN6hipcub16HIPCUB_304000_NS6detail34convert_binary_result_type_wrapperINS9_3SumENS9_22TransformInputIteratorIb7NonZeroIfEPflEElEEEE10hipError_tPvRmT1_T2_T3_mT4_P12ihipStream_tbEUlT_E0_NS1_11comp_targetILNS1_3genE3ELNS1_11target_archE908ELNS1_3gpuE7ELNS1_3repE0EEENS1_30default_config_static_selectorELNS0_4arch9wavefront6targetE1EEEvSM_.has_dyn_sized_stack, 0
	.set _ZN7rocprim17ROCPRIM_400000_NS6detail17trampoline_kernelINS0_14default_configENS1_22reduce_config_selectorIlEEZNS1_11reduce_implILb1ES3_PlS7_lN6hipcub16HIPCUB_304000_NS6detail34convert_binary_result_type_wrapperINS9_3SumENS9_22TransformInputIteratorIb7NonZeroIfEPflEElEEEE10hipError_tPvRmT1_T2_T3_mT4_P12ihipStream_tbEUlT_E0_NS1_11comp_targetILNS1_3genE3ELNS1_11target_archE908ELNS1_3gpuE7ELNS1_3repE0EEENS1_30default_config_static_selectorELNS0_4arch9wavefront6targetE1EEEvSM_.has_recursion, 0
	.set _ZN7rocprim17ROCPRIM_400000_NS6detail17trampoline_kernelINS0_14default_configENS1_22reduce_config_selectorIlEEZNS1_11reduce_implILb1ES3_PlS7_lN6hipcub16HIPCUB_304000_NS6detail34convert_binary_result_type_wrapperINS9_3SumENS9_22TransformInputIteratorIb7NonZeroIfEPflEElEEEE10hipError_tPvRmT1_T2_T3_mT4_P12ihipStream_tbEUlT_E0_NS1_11comp_targetILNS1_3genE3ELNS1_11target_archE908ELNS1_3gpuE7ELNS1_3repE0EEENS1_30default_config_static_selectorELNS0_4arch9wavefront6targetE1EEEvSM_.has_indirect_call, 0
	.section	.AMDGPU.csdata,"",@progbits
; Kernel info:
; codeLenInByte = 0
; TotalNumSgprs: 4
; NumVgprs: 0
; ScratchSize: 0
; MemoryBound: 0
; FloatMode: 240
; IeeeMode: 1
; LDSByteSize: 0 bytes/workgroup (compile time only)
; SGPRBlocks: 0
; VGPRBlocks: 0
; NumSGPRsForWavesPerEU: 4
; NumVGPRsForWavesPerEU: 1
; Occupancy: 10
; WaveLimiterHint : 0
; COMPUTE_PGM_RSRC2:SCRATCH_EN: 0
; COMPUTE_PGM_RSRC2:USER_SGPR: 6
; COMPUTE_PGM_RSRC2:TRAP_HANDLER: 0
; COMPUTE_PGM_RSRC2:TGID_X_EN: 1
; COMPUTE_PGM_RSRC2:TGID_Y_EN: 0
; COMPUTE_PGM_RSRC2:TGID_Z_EN: 0
; COMPUTE_PGM_RSRC2:TIDIG_COMP_CNT: 0
	.section	.text._ZN7rocprim17ROCPRIM_400000_NS6detail17trampoline_kernelINS0_14default_configENS1_22reduce_config_selectorIlEEZNS1_11reduce_implILb1ES3_PlS7_lN6hipcub16HIPCUB_304000_NS6detail34convert_binary_result_type_wrapperINS9_3SumENS9_22TransformInputIteratorIb7NonZeroIfEPflEElEEEE10hipError_tPvRmT1_T2_T3_mT4_P12ihipStream_tbEUlT_E0_NS1_11comp_targetILNS1_3genE2ELNS1_11target_archE906ELNS1_3gpuE6ELNS1_3repE0EEENS1_30default_config_static_selectorELNS0_4arch9wavefront6targetE1EEEvSM_,"axG",@progbits,_ZN7rocprim17ROCPRIM_400000_NS6detail17trampoline_kernelINS0_14default_configENS1_22reduce_config_selectorIlEEZNS1_11reduce_implILb1ES3_PlS7_lN6hipcub16HIPCUB_304000_NS6detail34convert_binary_result_type_wrapperINS9_3SumENS9_22TransformInputIteratorIb7NonZeroIfEPflEElEEEE10hipError_tPvRmT1_T2_T3_mT4_P12ihipStream_tbEUlT_E0_NS1_11comp_targetILNS1_3genE2ELNS1_11target_archE906ELNS1_3gpuE6ELNS1_3repE0EEENS1_30default_config_static_selectorELNS0_4arch9wavefront6targetE1EEEvSM_,comdat
	.protected	_ZN7rocprim17ROCPRIM_400000_NS6detail17trampoline_kernelINS0_14default_configENS1_22reduce_config_selectorIlEEZNS1_11reduce_implILb1ES3_PlS7_lN6hipcub16HIPCUB_304000_NS6detail34convert_binary_result_type_wrapperINS9_3SumENS9_22TransformInputIteratorIb7NonZeroIfEPflEElEEEE10hipError_tPvRmT1_T2_T3_mT4_P12ihipStream_tbEUlT_E0_NS1_11comp_targetILNS1_3genE2ELNS1_11target_archE906ELNS1_3gpuE6ELNS1_3repE0EEENS1_30default_config_static_selectorELNS0_4arch9wavefront6targetE1EEEvSM_ ; -- Begin function _ZN7rocprim17ROCPRIM_400000_NS6detail17trampoline_kernelINS0_14default_configENS1_22reduce_config_selectorIlEEZNS1_11reduce_implILb1ES3_PlS7_lN6hipcub16HIPCUB_304000_NS6detail34convert_binary_result_type_wrapperINS9_3SumENS9_22TransformInputIteratorIb7NonZeroIfEPflEElEEEE10hipError_tPvRmT1_T2_T3_mT4_P12ihipStream_tbEUlT_E0_NS1_11comp_targetILNS1_3genE2ELNS1_11target_archE906ELNS1_3gpuE6ELNS1_3repE0EEENS1_30default_config_static_selectorELNS0_4arch9wavefront6targetE1EEEvSM_
	.globl	_ZN7rocprim17ROCPRIM_400000_NS6detail17trampoline_kernelINS0_14default_configENS1_22reduce_config_selectorIlEEZNS1_11reduce_implILb1ES3_PlS7_lN6hipcub16HIPCUB_304000_NS6detail34convert_binary_result_type_wrapperINS9_3SumENS9_22TransformInputIteratorIb7NonZeroIfEPflEElEEEE10hipError_tPvRmT1_T2_T3_mT4_P12ihipStream_tbEUlT_E0_NS1_11comp_targetILNS1_3genE2ELNS1_11target_archE906ELNS1_3gpuE6ELNS1_3repE0EEENS1_30default_config_static_selectorELNS0_4arch9wavefront6targetE1EEEvSM_
	.p2align	8
	.type	_ZN7rocprim17ROCPRIM_400000_NS6detail17trampoline_kernelINS0_14default_configENS1_22reduce_config_selectorIlEEZNS1_11reduce_implILb1ES3_PlS7_lN6hipcub16HIPCUB_304000_NS6detail34convert_binary_result_type_wrapperINS9_3SumENS9_22TransformInputIteratorIb7NonZeroIfEPflEElEEEE10hipError_tPvRmT1_T2_T3_mT4_P12ihipStream_tbEUlT_E0_NS1_11comp_targetILNS1_3genE2ELNS1_11target_archE906ELNS1_3gpuE6ELNS1_3repE0EEENS1_30default_config_static_selectorELNS0_4arch9wavefront6targetE1EEEvSM_,@function
_ZN7rocprim17ROCPRIM_400000_NS6detail17trampoline_kernelINS0_14default_configENS1_22reduce_config_selectorIlEEZNS1_11reduce_implILb1ES3_PlS7_lN6hipcub16HIPCUB_304000_NS6detail34convert_binary_result_type_wrapperINS9_3SumENS9_22TransformInputIteratorIb7NonZeroIfEPflEElEEEE10hipError_tPvRmT1_T2_T3_mT4_P12ihipStream_tbEUlT_E0_NS1_11comp_targetILNS1_3genE2ELNS1_11target_archE906ELNS1_3gpuE6ELNS1_3repE0EEENS1_30default_config_static_selectorELNS0_4arch9wavefront6targetE1EEEvSM_: ; @_ZN7rocprim17ROCPRIM_400000_NS6detail17trampoline_kernelINS0_14default_configENS1_22reduce_config_selectorIlEEZNS1_11reduce_implILb1ES3_PlS7_lN6hipcub16HIPCUB_304000_NS6detail34convert_binary_result_type_wrapperINS9_3SumENS9_22TransformInputIteratorIb7NonZeroIfEPflEElEEEE10hipError_tPvRmT1_T2_T3_mT4_P12ihipStream_tbEUlT_E0_NS1_11comp_targetILNS1_3genE2ELNS1_11target_archE906ELNS1_3gpuE6ELNS1_3repE0EEENS1_30default_config_static_selectorELNS0_4arch9wavefront6targetE1EEEvSM_
; %bb.0:
	s_load_dwordx8 s[8:15], s[4:5], 0x0
	s_load_dwordx4 s[0:3], s[4:5], 0x20
	s_load_dwordx2 s[16:17], s[4:5], 0x30
	v_lshlrev_b32_e32 v6, 3, v0
	v_mbcnt_lo_u32_b32 v5, -1, 0
	s_waitcnt lgkmcnt(0)
	s_lshl_b64 s[4:5], s[10:11], 3
	s_add_u32 s18, s8, s4
	s_addc_u32 s19, s9, s5
	s_lshl_b32 s8, s6, 9
	s_mov_b32 s9, 0
	s_lshr_b64 s[10:11], s[12:13], 9
	s_lshl_b64 s[4:5], s[8:9], 3
	s_add_u32 s4, s18, s4
	s_mov_b32 s7, s9
	s_addc_u32 s5, s19, s5
	s_cmp_lg_u64 s[10:11], s[6:7]
	s_cbranch_scc0 .LBB221_6
; %bb.1:
	global_load_dwordx2 v[1:2], v6, s[4:5]
	global_load_dwordx2 v[7:8], v6, s[4:5] offset:2048
	v_mbcnt_hi_u32_b32 v3, -1, v5
	v_lshlrev_b32_e32 v4, 2, v3
	v_or_b32_e32 v9, 0xfc, v4
	s_waitcnt vmcnt(0)
	v_add_co_u32_e32 v1, vcc, v7, v1
	v_addc_co_u32_e32 v2, vcc, v8, v2, vcc
	s_nop 0
	v_mov_b32_dpp v7, v1 quad_perm:[1,0,3,2] row_mask:0xf bank_mask:0xf bound_ctrl:1
	v_add_co_u32_e32 v1, vcc, v1, v7
	v_mov_b32_dpp v8, v2 quad_perm:[1,0,3,2] row_mask:0xf bank_mask:0xf bound_ctrl:1
	v_addc_co_u32_e32 v2, vcc, 0, v2, vcc
	v_add_co_u32_e32 v7, vcc, 0, v1
	v_addc_co_u32_e32 v2, vcc, v8, v2, vcc
	v_mov_b32_dpp v1, v1 quad_perm:[2,3,0,1] row_mask:0xf bank_mask:0xf bound_ctrl:1
	v_add_co_u32_e32 v1, vcc, v7, v1
	v_mov_b32_dpp v8, v2 quad_perm:[2,3,0,1] row_mask:0xf bank_mask:0xf bound_ctrl:1
	v_addc_co_u32_e32 v2, vcc, 0, v2, vcc
	v_add_co_u32_e32 v7, vcc, 0, v1
	v_addc_co_u32_e32 v2, vcc, v2, v8, vcc
	v_mov_b32_dpp v1, v1 row_ror:4 row_mask:0xf bank_mask:0xf bound_ctrl:1
	v_add_co_u32_e32 v1, vcc, v7, v1
	v_mov_b32_dpp v8, v2 row_ror:4 row_mask:0xf bank_mask:0xf bound_ctrl:1
	v_addc_co_u32_e32 v2, vcc, 0, v2, vcc
	v_add_co_u32_e32 v7, vcc, 0, v1
	v_addc_co_u32_e32 v2, vcc, v2, v8, vcc
	v_mov_b32_dpp v1, v1 row_ror:8 row_mask:0xf bank_mask:0xf bound_ctrl:1
	v_add_co_u32_e32 v1, vcc, v7, v1
	v_mov_b32_dpp v8, v2 row_ror:8 row_mask:0xf bank_mask:0xf bound_ctrl:1
	v_addc_co_u32_e32 v2, vcc, 0, v2, vcc
	v_add_co_u32_e32 v7, vcc, 0, v1
	v_addc_co_u32_e32 v2, vcc, v2, v8, vcc
	v_mov_b32_dpp v1, v1 row_bcast:15 row_mask:0xf bank_mask:0xf bound_ctrl:1
	v_add_co_u32_e32 v1, vcc, v7, v1
	v_mov_b32_dpp v8, v2 row_bcast:15 row_mask:0xf bank_mask:0xf bound_ctrl:1
	v_addc_co_u32_e32 v2, vcc, 0, v2, vcc
	v_add_co_u32_e32 v7, vcc, 0, v1
	v_addc_co_u32_e32 v2, vcc, v2, v8, vcc
	v_mov_b32_dpp v1, v1 row_bcast:31 row_mask:0xf bank_mask:0xf bound_ctrl:1
	v_add_co_u32_e32 v1, vcc, v7, v1
	v_addc_co_u32_e32 v7, vcc, 0, v2, vcc
	ds_bpermute_b32 v1, v9, v1
	s_nop 0
	v_add_u32_dpp v2, v2, v7 row_bcast:31 row_mask:0xf bank_mask:0xf bound_ctrl:1
	ds_bpermute_b32 v2, v9, v2
	v_cmp_eq_u32_e32 vcc, 0, v3
	s_and_saveexec_b64 s[10:11], vcc
	s_cbranch_execz .LBB221_3
; %bb.2:
	v_lshrrev_b32_e32 v7, 3, v0
	v_and_b32_e32 v7, 24, v7
	s_waitcnt lgkmcnt(0)
	ds_write_b64 v7, v[1:2]
.LBB221_3:
	s_or_b64 exec, exec, s[10:11]
	v_cmp_gt_u32_e32 vcc, 64, v0
	s_waitcnt lgkmcnt(0)
	s_barrier
	s_and_saveexec_b64 s[10:11], vcc
	s_cbranch_execz .LBB221_5
; %bb.4:
	v_and_b32_e32 v7, 3, v3
	v_lshlrev_b32_e32 v1, 3, v7
	ds_read_b64 v[1:2], v1
	v_cmp_ne_u32_e32 vcc, 3, v7
	v_addc_co_u32_e32 v3, vcc, 0, v3, vcc
	v_lshlrev_b32_e32 v3, 2, v3
	s_waitcnt lgkmcnt(0)
	ds_bpermute_b32 v7, v3, v1
	ds_bpermute_b32 v3, v3, v2
	v_or_b32_e32 v4, 8, v4
	s_waitcnt lgkmcnt(1)
	v_add_co_u32_e32 v1, vcc, v1, v7
	v_addc_co_u32_e32 v2, vcc, 0, v2, vcc
	ds_bpermute_b32 v7, v4, v1
	v_add_co_u32_e32 v1, vcc, 0, v1
	s_waitcnt lgkmcnt(1)
	v_addc_co_u32_e32 v2, vcc, v3, v2, vcc
	ds_bpermute_b32 v3, v4, v2
	s_waitcnt lgkmcnt(1)
	v_add_co_u32_e32 v1, vcc, v1, v7
	v_addc_co_u32_e32 v2, vcc, 0, v2, vcc
	v_add_co_u32_e32 v1, vcc, 0, v1
	s_waitcnt lgkmcnt(0)
	v_addc_co_u32_e32 v2, vcc, v2, v3, vcc
.LBB221_5:
	s_or_b64 exec, exec, s[10:11]
	s_branch .LBB221_28
.LBB221_6:
                                        ; implicit-def: $vgpr1_vgpr2
	s_cbranch_execz .LBB221_28
; %bb.7:
	s_sub_i32 s10, s12, s8
	v_mov_b32_e32 v1, 0
	v_cmp_gt_u32_e32 vcc, s10, v0
	v_mov_b32_e32 v2, v1
	v_mov_b32_e32 v3, v1
	;; [unrolled: 1-line block ×3, first 2 shown]
	s_and_saveexec_b64 s[8:9], vcc
	s_cbranch_execz .LBB221_9
; %bb.8:
	global_load_dwordx2 v[7:8], v6, s[4:5]
	v_mov_b32_e32 v9, v1
	v_mov_b32_e32 v10, v1
	s_waitcnt vmcnt(0)
	v_mov_b32_e32 v1, v7
	v_mov_b32_e32 v2, v8
	;; [unrolled: 1-line block ×4, first 2 shown]
.LBB221_9:
	s_or_b64 exec, exec, s[8:9]
	v_or_b32_e32 v7, 0x100, v0
	v_cmp_gt_u32_e32 vcc, s10, v7
	s_and_saveexec_b64 s[8:9], vcc
	s_cbranch_execz .LBB221_11
; %bb.10:
	global_load_dwordx2 v[3:4], v6, s[4:5] offset:2048
.LBB221_11:
	s_or_b64 exec, exec, s[8:9]
	s_waitcnt vmcnt(0)
	v_cndmask_b32_e32 v3, 0, v3, vcc
	v_cndmask_b32_e32 v4, 0, v4, vcc
	v_add_co_u32_e32 v1, vcc, v3, v1
	v_mbcnt_hi_u32_b32 v3, -1, v5
	v_addc_co_u32_e32 v2, vcc, v4, v2, vcc
	v_and_b32_e32 v4, 63, v3
	v_cmp_ne_u32_e32 vcc, 63, v4
	v_addc_co_u32_e32 v6, vcc, 0, v3, vcc
	v_lshlrev_b32_e32 v6, 2, v6
	ds_bpermute_b32 v8, v6, v1
	ds_bpermute_b32 v7, v6, v2
	s_min_u32 s8, s10, 0x100
	v_and_b32_e32 v5, 0xc0, v0
	v_sub_u32_e64 v5, s8, v5 clamp
	v_add_u32_e32 v6, 1, v4
	v_cmp_lt_u32_e32 vcc, v6, v5
	v_mov_b32_e32 v6, v1
	s_and_saveexec_b64 s[4:5], vcc
	s_cbranch_execz .LBB221_13
; %bb.12:
	s_waitcnt lgkmcnt(1)
	v_add_co_u32_e32 v6, vcc, v1, v8
	v_addc_co_u32_e32 v2, vcc, 0, v2, vcc
	v_add_co_u32_e32 v1, vcc, 0, v6
	s_waitcnt lgkmcnt(0)
	v_addc_co_u32_e32 v2, vcc, v7, v2, vcc
.LBB221_13:
	s_or_b64 exec, exec, s[4:5]
	v_cmp_gt_u32_e32 vcc, 62, v4
	s_waitcnt lgkmcnt(0)
	v_cndmask_b32_e64 v7, 0, 2, vcc
	v_add_lshl_u32 v7, v7, v3, 2
	ds_bpermute_b32 v8, v7, v6
	ds_bpermute_b32 v7, v7, v2
	v_add_u32_e32 v9, 2, v4
	v_cmp_lt_u32_e32 vcc, v9, v5
	s_and_saveexec_b64 s[4:5], vcc
	s_cbranch_execz .LBB221_15
; %bb.14:
	s_waitcnt lgkmcnt(1)
	v_add_co_u32_e32 v6, vcc, v1, v8
	v_addc_co_u32_e32 v2, vcc, 0, v2, vcc
	v_add_co_u32_e32 v1, vcc, 0, v6
	s_waitcnt lgkmcnt(0)
	v_addc_co_u32_e32 v2, vcc, v7, v2, vcc
.LBB221_15:
	s_or_b64 exec, exec, s[4:5]
	v_cmp_gt_u32_e32 vcc, 60, v4
	s_waitcnt lgkmcnt(0)
	v_cndmask_b32_e64 v7, 0, 4, vcc
	v_add_lshl_u32 v7, v7, v3, 2
	ds_bpermute_b32 v8, v7, v6
	ds_bpermute_b32 v7, v7, v2
	v_add_u32_e32 v9, 4, v4
	v_cmp_lt_u32_e32 vcc, v9, v5
	;; [unrolled: 19-line block ×4, first 2 shown]
	s_and_saveexec_b64 s[4:5], vcc
	s_cbranch_execz .LBB221_21
; %bb.20:
	s_waitcnt lgkmcnt(1)
	v_add_co_u32_e32 v6, vcc, v1, v8
	v_addc_co_u32_e32 v2, vcc, 0, v2, vcc
	v_add_co_u32_e32 v1, vcc, 0, v6
	s_waitcnt lgkmcnt(0)
	v_addc_co_u32_e32 v2, vcc, v7, v2, vcc
.LBB221_21:
	s_or_b64 exec, exec, s[4:5]
	s_waitcnt lgkmcnt(0)
	v_lshlrev_b32_e32 v7, 2, v3
	v_or_b32_e32 v8, 0x80, v7
	ds_bpermute_b32 v6, v8, v6
	ds_bpermute_b32 v8, v8, v2
	v_add_u32_e32 v4, 32, v4
	s_waitcnt lgkmcnt(1)
	v_add_co_u32_e32 v6, vcc, v1, v6
	v_addc_co_u32_e32 v9, vcc, 0, v2, vcc
	v_add_co_u32_e32 v6, vcc, 0, v6
	s_waitcnt lgkmcnt(0)
	v_addc_co_u32_e32 v8, vcc, v9, v8, vcc
	v_cmp_lt_u32_e32 vcc, v4, v5
	v_cndmask_b32_e32 v2, v2, v8, vcc
	v_cndmask_b32_e32 v1, v1, v6, vcc
	v_cmp_eq_u32_e32 vcc, 0, v3
	s_and_saveexec_b64 s[4:5], vcc
; %bb.22:
	v_lshrrev_b32_e32 v4, 3, v0
	v_and_b32_e32 v4, 24, v4
	ds_write_b64 v4, v[1:2] offset:32
; %bb.23:
	s_or_b64 exec, exec, s[4:5]
	v_cmp_gt_u32_e32 vcc, 4, v0
	s_waitcnt lgkmcnt(0)
	s_barrier
	s_and_saveexec_b64 s[4:5], vcc
	s_cbranch_execz .LBB221_27
; %bb.24:
	v_lshlrev_b32_e32 v1, 3, v3
	ds_read_b64 v[1:2], v1 offset:32
	v_and_b32_e32 v4, 3, v3
	v_cmp_ne_u32_e32 vcc, 3, v4
	v_addc_co_u32_e32 v3, vcc, 0, v3, vcc
	v_lshlrev_b32_e32 v3, 2, v3
	s_waitcnt lgkmcnt(0)
	ds_bpermute_b32 v6, v3, v1
	ds_bpermute_b32 v5, v3, v2
	s_add_i32 s8, s8, 63
	s_lshr_b32 s10, s8, 6
	v_add_u32_e32 v3, 1, v4
	v_cmp_gt_u32_e32 vcc, s10, v3
	v_mov_b32_e32 v3, v1
	s_and_saveexec_b64 s[8:9], vcc
	s_cbranch_execz .LBB221_26
; %bb.25:
	s_waitcnt lgkmcnt(1)
	v_add_co_u32_e32 v3, vcc, v1, v6
	v_addc_co_u32_e32 v2, vcc, 0, v2, vcc
	v_add_co_u32_e32 v1, vcc, 0, v3
	s_waitcnt lgkmcnt(0)
	v_addc_co_u32_e32 v2, vcc, v5, v2, vcc
.LBB221_26:
	s_or_b64 exec, exec, s[8:9]
	s_waitcnt lgkmcnt(0)
	v_or_b32_e32 v5, 8, v7
	ds_bpermute_b32 v3, v5, v3
	ds_bpermute_b32 v5, v5, v2
	v_add_u32_e32 v4, 2, v4
	s_waitcnt lgkmcnt(1)
	v_add_co_u32_e32 v3, vcc, v1, v3
	v_addc_co_u32_e32 v6, vcc, 0, v2, vcc
	v_add_co_u32_e32 v3, vcc, 0, v3
	s_waitcnt lgkmcnt(0)
	v_addc_co_u32_e32 v5, vcc, v6, v5, vcc
	v_cmp_gt_u32_e32 vcc, s10, v4
	v_cndmask_b32_e32 v2, v2, v5, vcc
	v_cndmask_b32_e32 v1, v1, v3, vcc
.LBB221_27:
	s_or_b64 exec, exec, s[4:5]
.LBB221_28:
	v_cmp_eq_u32_e32 vcc, 0, v0
	s_and_saveexec_b64 s[4:5], vcc
	s_cbranch_execnz .LBB221_30
; %bb.29:
	s_endpgm
.LBB221_30:
	s_mul_i32 s1, s2, s1
	s_mul_hi_u32 s4, s2, s0
	s_add_i32 s1, s4, s1
	s_mul_i32 s3, s3, s0
	s_add_i32 s1, s1, s3
	s_mul_i32 s0, s2, s0
	s_lshl_b64 s[0:1], s[0:1], 3
	s_add_u32 s2, s14, s0
	s_addc_u32 s3, s15, s1
	s_cmp_eq_u64 s[12:13], 0
	v_mov_b32_e32 v0, s17
	s_cselect_b64 vcc, -1, 0
	s_lshl_b64 s[0:1], s[6:7], 3
	v_cndmask_b32_e32 v2, v2, v0, vcc
	v_mov_b32_e32 v0, s16
	s_add_u32 s0, s2, s0
	v_cndmask_b32_e32 v1, v1, v0, vcc
	s_addc_u32 s1, s3, s1
	v_mov_b32_e32 v0, 0
	global_store_dwordx2 v0, v[1:2], s[0:1]
	s_endpgm
	.section	.rodata,"a",@progbits
	.p2align	6, 0x0
	.amdhsa_kernel _ZN7rocprim17ROCPRIM_400000_NS6detail17trampoline_kernelINS0_14default_configENS1_22reduce_config_selectorIlEEZNS1_11reduce_implILb1ES3_PlS7_lN6hipcub16HIPCUB_304000_NS6detail34convert_binary_result_type_wrapperINS9_3SumENS9_22TransformInputIteratorIb7NonZeroIfEPflEElEEEE10hipError_tPvRmT1_T2_T3_mT4_P12ihipStream_tbEUlT_E0_NS1_11comp_targetILNS1_3genE2ELNS1_11target_archE906ELNS1_3gpuE6ELNS1_3repE0EEENS1_30default_config_static_selectorELNS0_4arch9wavefront6targetE1EEEvSM_
		.amdhsa_group_segment_fixed_size 64
		.amdhsa_private_segment_fixed_size 0
		.amdhsa_kernarg_size 64
		.amdhsa_user_sgpr_count 6
		.amdhsa_user_sgpr_private_segment_buffer 1
		.amdhsa_user_sgpr_dispatch_ptr 0
		.amdhsa_user_sgpr_queue_ptr 0
		.amdhsa_user_sgpr_kernarg_segment_ptr 1
		.amdhsa_user_sgpr_dispatch_id 0
		.amdhsa_user_sgpr_flat_scratch_init 0
		.amdhsa_user_sgpr_private_segment_size 0
		.amdhsa_uses_dynamic_stack 0
		.amdhsa_system_sgpr_private_segment_wavefront_offset 0
		.amdhsa_system_sgpr_workgroup_id_x 1
		.amdhsa_system_sgpr_workgroup_id_y 0
		.amdhsa_system_sgpr_workgroup_id_z 0
		.amdhsa_system_sgpr_workgroup_info 0
		.amdhsa_system_vgpr_workitem_id 0
		.amdhsa_next_free_vgpr 11
		.amdhsa_next_free_sgpr 20
		.amdhsa_reserve_vcc 1
		.amdhsa_reserve_flat_scratch 0
		.amdhsa_float_round_mode_32 0
		.amdhsa_float_round_mode_16_64 0
		.amdhsa_float_denorm_mode_32 3
		.amdhsa_float_denorm_mode_16_64 3
		.amdhsa_dx10_clamp 1
		.amdhsa_ieee_mode 1
		.amdhsa_fp16_overflow 0
		.amdhsa_exception_fp_ieee_invalid_op 0
		.amdhsa_exception_fp_denorm_src 0
		.amdhsa_exception_fp_ieee_div_zero 0
		.amdhsa_exception_fp_ieee_overflow 0
		.amdhsa_exception_fp_ieee_underflow 0
		.amdhsa_exception_fp_ieee_inexact 0
		.amdhsa_exception_int_div_zero 0
	.end_amdhsa_kernel
	.section	.text._ZN7rocprim17ROCPRIM_400000_NS6detail17trampoline_kernelINS0_14default_configENS1_22reduce_config_selectorIlEEZNS1_11reduce_implILb1ES3_PlS7_lN6hipcub16HIPCUB_304000_NS6detail34convert_binary_result_type_wrapperINS9_3SumENS9_22TransformInputIteratorIb7NonZeroIfEPflEElEEEE10hipError_tPvRmT1_T2_T3_mT4_P12ihipStream_tbEUlT_E0_NS1_11comp_targetILNS1_3genE2ELNS1_11target_archE906ELNS1_3gpuE6ELNS1_3repE0EEENS1_30default_config_static_selectorELNS0_4arch9wavefront6targetE1EEEvSM_,"axG",@progbits,_ZN7rocprim17ROCPRIM_400000_NS6detail17trampoline_kernelINS0_14default_configENS1_22reduce_config_selectorIlEEZNS1_11reduce_implILb1ES3_PlS7_lN6hipcub16HIPCUB_304000_NS6detail34convert_binary_result_type_wrapperINS9_3SumENS9_22TransformInputIteratorIb7NonZeroIfEPflEElEEEE10hipError_tPvRmT1_T2_T3_mT4_P12ihipStream_tbEUlT_E0_NS1_11comp_targetILNS1_3genE2ELNS1_11target_archE906ELNS1_3gpuE6ELNS1_3repE0EEENS1_30default_config_static_selectorELNS0_4arch9wavefront6targetE1EEEvSM_,comdat
.Lfunc_end221:
	.size	_ZN7rocprim17ROCPRIM_400000_NS6detail17trampoline_kernelINS0_14default_configENS1_22reduce_config_selectorIlEEZNS1_11reduce_implILb1ES3_PlS7_lN6hipcub16HIPCUB_304000_NS6detail34convert_binary_result_type_wrapperINS9_3SumENS9_22TransformInputIteratorIb7NonZeroIfEPflEElEEEE10hipError_tPvRmT1_T2_T3_mT4_P12ihipStream_tbEUlT_E0_NS1_11comp_targetILNS1_3genE2ELNS1_11target_archE906ELNS1_3gpuE6ELNS1_3repE0EEENS1_30default_config_static_selectorELNS0_4arch9wavefront6targetE1EEEvSM_, .Lfunc_end221-_ZN7rocprim17ROCPRIM_400000_NS6detail17trampoline_kernelINS0_14default_configENS1_22reduce_config_selectorIlEEZNS1_11reduce_implILb1ES3_PlS7_lN6hipcub16HIPCUB_304000_NS6detail34convert_binary_result_type_wrapperINS9_3SumENS9_22TransformInputIteratorIb7NonZeroIfEPflEElEEEE10hipError_tPvRmT1_T2_T3_mT4_P12ihipStream_tbEUlT_E0_NS1_11comp_targetILNS1_3genE2ELNS1_11target_archE906ELNS1_3gpuE6ELNS1_3repE0EEENS1_30default_config_static_selectorELNS0_4arch9wavefront6targetE1EEEvSM_
                                        ; -- End function
	.set _ZN7rocprim17ROCPRIM_400000_NS6detail17trampoline_kernelINS0_14default_configENS1_22reduce_config_selectorIlEEZNS1_11reduce_implILb1ES3_PlS7_lN6hipcub16HIPCUB_304000_NS6detail34convert_binary_result_type_wrapperINS9_3SumENS9_22TransformInputIteratorIb7NonZeroIfEPflEElEEEE10hipError_tPvRmT1_T2_T3_mT4_P12ihipStream_tbEUlT_E0_NS1_11comp_targetILNS1_3genE2ELNS1_11target_archE906ELNS1_3gpuE6ELNS1_3repE0EEENS1_30default_config_static_selectorELNS0_4arch9wavefront6targetE1EEEvSM_.num_vgpr, 11
	.set _ZN7rocprim17ROCPRIM_400000_NS6detail17trampoline_kernelINS0_14default_configENS1_22reduce_config_selectorIlEEZNS1_11reduce_implILb1ES3_PlS7_lN6hipcub16HIPCUB_304000_NS6detail34convert_binary_result_type_wrapperINS9_3SumENS9_22TransformInputIteratorIb7NonZeroIfEPflEElEEEE10hipError_tPvRmT1_T2_T3_mT4_P12ihipStream_tbEUlT_E0_NS1_11comp_targetILNS1_3genE2ELNS1_11target_archE906ELNS1_3gpuE6ELNS1_3repE0EEENS1_30default_config_static_selectorELNS0_4arch9wavefront6targetE1EEEvSM_.num_agpr, 0
	.set _ZN7rocprim17ROCPRIM_400000_NS6detail17trampoline_kernelINS0_14default_configENS1_22reduce_config_selectorIlEEZNS1_11reduce_implILb1ES3_PlS7_lN6hipcub16HIPCUB_304000_NS6detail34convert_binary_result_type_wrapperINS9_3SumENS9_22TransformInputIteratorIb7NonZeroIfEPflEElEEEE10hipError_tPvRmT1_T2_T3_mT4_P12ihipStream_tbEUlT_E0_NS1_11comp_targetILNS1_3genE2ELNS1_11target_archE906ELNS1_3gpuE6ELNS1_3repE0EEENS1_30default_config_static_selectorELNS0_4arch9wavefront6targetE1EEEvSM_.numbered_sgpr, 20
	.set _ZN7rocprim17ROCPRIM_400000_NS6detail17trampoline_kernelINS0_14default_configENS1_22reduce_config_selectorIlEEZNS1_11reduce_implILb1ES3_PlS7_lN6hipcub16HIPCUB_304000_NS6detail34convert_binary_result_type_wrapperINS9_3SumENS9_22TransformInputIteratorIb7NonZeroIfEPflEElEEEE10hipError_tPvRmT1_T2_T3_mT4_P12ihipStream_tbEUlT_E0_NS1_11comp_targetILNS1_3genE2ELNS1_11target_archE906ELNS1_3gpuE6ELNS1_3repE0EEENS1_30default_config_static_selectorELNS0_4arch9wavefront6targetE1EEEvSM_.num_named_barrier, 0
	.set _ZN7rocprim17ROCPRIM_400000_NS6detail17trampoline_kernelINS0_14default_configENS1_22reduce_config_selectorIlEEZNS1_11reduce_implILb1ES3_PlS7_lN6hipcub16HIPCUB_304000_NS6detail34convert_binary_result_type_wrapperINS9_3SumENS9_22TransformInputIteratorIb7NonZeroIfEPflEElEEEE10hipError_tPvRmT1_T2_T3_mT4_P12ihipStream_tbEUlT_E0_NS1_11comp_targetILNS1_3genE2ELNS1_11target_archE906ELNS1_3gpuE6ELNS1_3repE0EEENS1_30default_config_static_selectorELNS0_4arch9wavefront6targetE1EEEvSM_.private_seg_size, 0
	.set _ZN7rocprim17ROCPRIM_400000_NS6detail17trampoline_kernelINS0_14default_configENS1_22reduce_config_selectorIlEEZNS1_11reduce_implILb1ES3_PlS7_lN6hipcub16HIPCUB_304000_NS6detail34convert_binary_result_type_wrapperINS9_3SumENS9_22TransformInputIteratorIb7NonZeroIfEPflEElEEEE10hipError_tPvRmT1_T2_T3_mT4_P12ihipStream_tbEUlT_E0_NS1_11comp_targetILNS1_3genE2ELNS1_11target_archE906ELNS1_3gpuE6ELNS1_3repE0EEENS1_30default_config_static_selectorELNS0_4arch9wavefront6targetE1EEEvSM_.uses_vcc, 1
	.set _ZN7rocprim17ROCPRIM_400000_NS6detail17trampoline_kernelINS0_14default_configENS1_22reduce_config_selectorIlEEZNS1_11reduce_implILb1ES3_PlS7_lN6hipcub16HIPCUB_304000_NS6detail34convert_binary_result_type_wrapperINS9_3SumENS9_22TransformInputIteratorIb7NonZeroIfEPflEElEEEE10hipError_tPvRmT1_T2_T3_mT4_P12ihipStream_tbEUlT_E0_NS1_11comp_targetILNS1_3genE2ELNS1_11target_archE906ELNS1_3gpuE6ELNS1_3repE0EEENS1_30default_config_static_selectorELNS0_4arch9wavefront6targetE1EEEvSM_.uses_flat_scratch, 0
	.set _ZN7rocprim17ROCPRIM_400000_NS6detail17trampoline_kernelINS0_14default_configENS1_22reduce_config_selectorIlEEZNS1_11reduce_implILb1ES3_PlS7_lN6hipcub16HIPCUB_304000_NS6detail34convert_binary_result_type_wrapperINS9_3SumENS9_22TransformInputIteratorIb7NonZeroIfEPflEElEEEE10hipError_tPvRmT1_T2_T3_mT4_P12ihipStream_tbEUlT_E0_NS1_11comp_targetILNS1_3genE2ELNS1_11target_archE906ELNS1_3gpuE6ELNS1_3repE0EEENS1_30default_config_static_selectorELNS0_4arch9wavefront6targetE1EEEvSM_.has_dyn_sized_stack, 0
	.set _ZN7rocprim17ROCPRIM_400000_NS6detail17trampoline_kernelINS0_14default_configENS1_22reduce_config_selectorIlEEZNS1_11reduce_implILb1ES3_PlS7_lN6hipcub16HIPCUB_304000_NS6detail34convert_binary_result_type_wrapperINS9_3SumENS9_22TransformInputIteratorIb7NonZeroIfEPflEElEEEE10hipError_tPvRmT1_T2_T3_mT4_P12ihipStream_tbEUlT_E0_NS1_11comp_targetILNS1_3genE2ELNS1_11target_archE906ELNS1_3gpuE6ELNS1_3repE0EEENS1_30default_config_static_selectorELNS0_4arch9wavefront6targetE1EEEvSM_.has_recursion, 0
	.set _ZN7rocprim17ROCPRIM_400000_NS6detail17trampoline_kernelINS0_14default_configENS1_22reduce_config_selectorIlEEZNS1_11reduce_implILb1ES3_PlS7_lN6hipcub16HIPCUB_304000_NS6detail34convert_binary_result_type_wrapperINS9_3SumENS9_22TransformInputIteratorIb7NonZeroIfEPflEElEEEE10hipError_tPvRmT1_T2_T3_mT4_P12ihipStream_tbEUlT_E0_NS1_11comp_targetILNS1_3genE2ELNS1_11target_archE906ELNS1_3gpuE6ELNS1_3repE0EEENS1_30default_config_static_selectorELNS0_4arch9wavefront6targetE1EEEvSM_.has_indirect_call, 0
	.section	.AMDGPU.csdata,"",@progbits
; Kernel info:
; codeLenInByte = 1496
; TotalNumSgprs: 24
; NumVgprs: 11
; ScratchSize: 0
; MemoryBound: 0
; FloatMode: 240
; IeeeMode: 1
; LDSByteSize: 64 bytes/workgroup (compile time only)
; SGPRBlocks: 2
; VGPRBlocks: 2
; NumSGPRsForWavesPerEU: 24
; NumVGPRsForWavesPerEU: 11
; Occupancy: 10
; WaveLimiterHint : 1
; COMPUTE_PGM_RSRC2:SCRATCH_EN: 0
; COMPUTE_PGM_RSRC2:USER_SGPR: 6
; COMPUTE_PGM_RSRC2:TRAP_HANDLER: 0
; COMPUTE_PGM_RSRC2:TGID_X_EN: 1
; COMPUTE_PGM_RSRC2:TGID_Y_EN: 0
; COMPUTE_PGM_RSRC2:TGID_Z_EN: 0
; COMPUTE_PGM_RSRC2:TIDIG_COMP_CNT: 0
	.section	.text._ZN7rocprim17ROCPRIM_400000_NS6detail17trampoline_kernelINS0_14default_configENS1_22reduce_config_selectorIlEEZNS1_11reduce_implILb1ES3_PlS7_lN6hipcub16HIPCUB_304000_NS6detail34convert_binary_result_type_wrapperINS9_3SumENS9_22TransformInputIteratorIb7NonZeroIfEPflEElEEEE10hipError_tPvRmT1_T2_T3_mT4_P12ihipStream_tbEUlT_E0_NS1_11comp_targetILNS1_3genE10ELNS1_11target_archE1201ELNS1_3gpuE5ELNS1_3repE0EEENS1_30default_config_static_selectorELNS0_4arch9wavefront6targetE1EEEvSM_,"axG",@progbits,_ZN7rocprim17ROCPRIM_400000_NS6detail17trampoline_kernelINS0_14default_configENS1_22reduce_config_selectorIlEEZNS1_11reduce_implILb1ES3_PlS7_lN6hipcub16HIPCUB_304000_NS6detail34convert_binary_result_type_wrapperINS9_3SumENS9_22TransformInputIteratorIb7NonZeroIfEPflEElEEEE10hipError_tPvRmT1_T2_T3_mT4_P12ihipStream_tbEUlT_E0_NS1_11comp_targetILNS1_3genE10ELNS1_11target_archE1201ELNS1_3gpuE5ELNS1_3repE0EEENS1_30default_config_static_selectorELNS0_4arch9wavefront6targetE1EEEvSM_,comdat
	.protected	_ZN7rocprim17ROCPRIM_400000_NS6detail17trampoline_kernelINS0_14default_configENS1_22reduce_config_selectorIlEEZNS1_11reduce_implILb1ES3_PlS7_lN6hipcub16HIPCUB_304000_NS6detail34convert_binary_result_type_wrapperINS9_3SumENS9_22TransformInputIteratorIb7NonZeroIfEPflEElEEEE10hipError_tPvRmT1_T2_T3_mT4_P12ihipStream_tbEUlT_E0_NS1_11comp_targetILNS1_3genE10ELNS1_11target_archE1201ELNS1_3gpuE5ELNS1_3repE0EEENS1_30default_config_static_selectorELNS0_4arch9wavefront6targetE1EEEvSM_ ; -- Begin function _ZN7rocprim17ROCPRIM_400000_NS6detail17trampoline_kernelINS0_14default_configENS1_22reduce_config_selectorIlEEZNS1_11reduce_implILb1ES3_PlS7_lN6hipcub16HIPCUB_304000_NS6detail34convert_binary_result_type_wrapperINS9_3SumENS9_22TransformInputIteratorIb7NonZeroIfEPflEElEEEE10hipError_tPvRmT1_T2_T3_mT4_P12ihipStream_tbEUlT_E0_NS1_11comp_targetILNS1_3genE10ELNS1_11target_archE1201ELNS1_3gpuE5ELNS1_3repE0EEENS1_30default_config_static_selectorELNS0_4arch9wavefront6targetE1EEEvSM_
	.globl	_ZN7rocprim17ROCPRIM_400000_NS6detail17trampoline_kernelINS0_14default_configENS1_22reduce_config_selectorIlEEZNS1_11reduce_implILb1ES3_PlS7_lN6hipcub16HIPCUB_304000_NS6detail34convert_binary_result_type_wrapperINS9_3SumENS9_22TransformInputIteratorIb7NonZeroIfEPflEElEEEE10hipError_tPvRmT1_T2_T3_mT4_P12ihipStream_tbEUlT_E0_NS1_11comp_targetILNS1_3genE10ELNS1_11target_archE1201ELNS1_3gpuE5ELNS1_3repE0EEENS1_30default_config_static_selectorELNS0_4arch9wavefront6targetE1EEEvSM_
	.p2align	8
	.type	_ZN7rocprim17ROCPRIM_400000_NS6detail17trampoline_kernelINS0_14default_configENS1_22reduce_config_selectorIlEEZNS1_11reduce_implILb1ES3_PlS7_lN6hipcub16HIPCUB_304000_NS6detail34convert_binary_result_type_wrapperINS9_3SumENS9_22TransformInputIteratorIb7NonZeroIfEPflEElEEEE10hipError_tPvRmT1_T2_T3_mT4_P12ihipStream_tbEUlT_E0_NS1_11comp_targetILNS1_3genE10ELNS1_11target_archE1201ELNS1_3gpuE5ELNS1_3repE0EEENS1_30default_config_static_selectorELNS0_4arch9wavefront6targetE1EEEvSM_,@function
_ZN7rocprim17ROCPRIM_400000_NS6detail17trampoline_kernelINS0_14default_configENS1_22reduce_config_selectorIlEEZNS1_11reduce_implILb1ES3_PlS7_lN6hipcub16HIPCUB_304000_NS6detail34convert_binary_result_type_wrapperINS9_3SumENS9_22TransformInputIteratorIb7NonZeroIfEPflEElEEEE10hipError_tPvRmT1_T2_T3_mT4_P12ihipStream_tbEUlT_E0_NS1_11comp_targetILNS1_3genE10ELNS1_11target_archE1201ELNS1_3gpuE5ELNS1_3repE0EEENS1_30default_config_static_selectorELNS0_4arch9wavefront6targetE1EEEvSM_: ; @_ZN7rocprim17ROCPRIM_400000_NS6detail17trampoline_kernelINS0_14default_configENS1_22reduce_config_selectorIlEEZNS1_11reduce_implILb1ES3_PlS7_lN6hipcub16HIPCUB_304000_NS6detail34convert_binary_result_type_wrapperINS9_3SumENS9_22TransformInputIteratorIb7NonZeroIfEPflEElEEEE10hipError_tPvRmT1_T2_T3_mT4_P12ihipStream_tbEUlT_E0_NS1_11comp_targetILNS1_3genE10ELNS1_11target_archE1201ELNS1_3gpuE5ELNS1_3repE0EEENS1_30default_config_static_selectorELNS0_4arch9wavefront6targetE1EEEvSM_
; %bb.0:
	.section	.rodata,"a",@progbits
	.p2align	6, 0x0
	.amdhsa_kernel _ZN7rocprim17ROCPRIM_400000_NS6detail17trampoline_kernelINS0_14default_configENS1_22reduce_config_selectorIlEEZNS1_11reduce_implILb1ES3_PlS7_lN6hipcub16HIPCUB_304000_NS6detail34convert_binary_result_type_wrapperINS9_3SumENS9_22TransformInputIteratorIb7NonZeroIfEPflEElEEEE10hipError_tPvRmT1_T2_T3_mT4_P12ihipStream_tbEUlT_E0_NS1_11comp_targetILNS1_3genE10ELNS1_11target_archE1201ELNS1_3gpuE5ELNS1_3repE0EEENS1_30default_config_static_selectorELNS0_4arch9wavefront6targetE1EEEvSM_
		.amdhsa_group_segment_fixed_size 0
		.amdhsa_private_segment_fixed_size 0
		.amdhsa_kernarg_size 64
		.amdhsa_user_sgpr_count 6
		.amdhsa_user_sgpr_private_segment_buffer 1
		.amdhsa_user_sgpr_dispatch_ptr 0
		.amdhsa_user_sgpr_queue_ptr 0
		.amdhsa_user_sgpr_kernarg_segment_ptr 1
		.amdhsa_user_sgpr_dispatch_id 0
		.amdhsa_user_sgpr_flat_scratch_init 0
		.amdhsa_user_sgpr_private_segment_size 0
		.amdhsa_uses_dynamic_stack 0
		.amdhsa_system_sgpr_private_segment_wavefront_offset 0
		.amdhsa_system_sgpr_workgroup_id_x 1
		.amdhsa_system_sgpr_workgroup_id_y 0
		.amdhsa_system_sgpr_workgroup_id_z 0
		.amdhsa_system_sgpr_workgroup_info 0
		.amdhsa_system_vgpr_workitem_id 0
		.amdhsa_next_free_vgpr 1
		.amdhsa_next_free_sgpr 0
		.amdhsa_reserve_vcc 0
		.amdhsa_reserve_flat_scratch 0
		.amdhsa_float_round_mode_32 0
		.amdhsa_float_round_mode_16_64 0
		.amdhsa_float_denorm_mode_32 3
		.amdhsa_float_denorm_mode_16_64 3
		.amdhsa_dx10_clamp 1
		.amdhsa_ieee_mode 1
		.amdhsa_fp16_overflow 0
		.amdhsa_exception_fp_ieee_invalid_op 0
		.amdhsa_exception_fp_denorm_src 0
		.amdhsa_exception_fp_ieee_div_zero 0
		.amdhsa_exception_fp_ieee_overflow 0
		.amdhsa_exception_fp_ieee_underflow 0
		.amdhsa_exception_fp_ieee_inexact 0
		.amdhsa_exception_int_div_zero 0
	.end_amdhsa_kernel
	.section	.text._ZN7rocprim17ROCPRIM_400000_NS6detail17trampoline_kernelINS0_14default_configENS1_22reduce_config_selectorIlEEZNS1_11reduce_implILb1ES3_PlS7_lN6hipcub16HIPCUB_304000_NS6detail34convert_binary_result_type_wrapperINS9_3SumENS9_22TransformInputIteratorIb7NonZeroIfEPflEElEEEE10hipError_tPvRmT1_T2_T3_mT4_P12ihipStream_tbEUlT_E0_NS1_11comp_targetILNS1_3genE10ELNS1_11target_archE1201ELNS1_3gpuE5ELNS1_3repE0EEENS1_30default_config_static_selectorELNS0_4arch9wavefront6targetE1EEEvSM_,"axG",@progbits,_ZN7rocprim17ROCPRIM_400000_NS6detail17trampoline_kernelINS0_14default_configENS1_22reduce_config_selectorIlEEZNS1_11reduce_implILb1ES3_PlS7_lN6hipcub16HIPCUB_304000_NS6detail34convert_binary_result_type_wrapperINS9_3SumENS9_22TransformInputIteratorIb7NonZeroIfEPflEElEEEE10hipError_tPvRmT1_T2_T3_mT4_P12ihipStream_tbEUlT_E0_NS1_11comp_targetILNS1_3genE10ELNS1_11target_archE1201ELNS1_3gpuE5ELNS1_3repE0EEENS1_30default_config_static_selectorELNS0_4arch9wavefront6targetE1EEEvSM_,comdat
.Lfunc_end222:
	.size	_ZN7rocprim17ROCPRIM_400000_NS6detail17trampoline_kernelINS0_14default_configENS1_22reduce_config_selectorIlEEZNS1_11reduce_implILb1ES3_PlS7_lN6hipcub16HIPCUB_304000_NS6detail34convert_binary_result_type_wrapperINS9_3SumENS9_22TransformInputIteratorIb7NonZeroIfEPflEElEEEE10hipError_tPvRmT1_T2_T3_mT4_P12ihipStream_tbEUlT_E0_NS1_11comp_targetILNS1_3genE10ELNS1_11target_archE1201ELNS1_3gpuE5ELNS1_3repE0EEENS1_30default_config_static_selectorELNS0_4arch9wavefront6targetE1EEEvSM_, .Lfunc_end222-_ZN7rocprim17ROCPRIM_400000_NS6detail17trampoline_kernelINS0_14default_configENS1_22reduce_config_selectorIlEEZNS1_11reduce_implILb1ES3_PlS7_lN6hipcub16HIPCUB_304000_NS6detail34convert_binary_result_type_wrapperINS9_3SumENS9_22TransformInputIteratorIb7NonZeroIfEPflEElEEEE10hipError_tPvRmT1_T2_T3_mT4_P12ihipStream_tbEUlT_E0_NS1_11comp_targetILNS1_3genE10ELNS1_11target_archE1201ELNS1_3gpuE5ELNS1_3repE0EEENS1_30default_config_static_selectorELNS0_4arch9wavefront6targetE1EEEvSM_
                                        ; -- End function
	.set _ZN7rocprim17ROCPRIM_400000_NS6detail17trampoline_kernelINS0_14default_configENS1_22reduce_config_selectorIlEEZNS1_11reduce_implILb1ES3_PlS7_lN6hipcub16HIPCUB_304000_NS6detail34convert_binary_result_type_wrapperINS9_3SumENS9_22TransformInputIteratorIb7NonZeroIfEPflEElEEEE10hipError_tPvRmT1_T2_T3_mT4_P12ihipStream_tbEUlT_E0_NS1_11comp_targetILNS1_3genE10ELNS1_11target_archE1201ELNS1_3gpuE5ELNS1_3repE0EEENS1_30default_config_static_selectorELNS0_4arch9wavefront6targetE1EEEvSM_.num_vgpr, 0
	.set _ZN7rocprim17ROCPRIM_400000_NS6detail17trampoline_kernelINS0_14default_configENS1_22reduce_config_selectorIlEEZNS1_11reduce_implILb1ES3_PlS7_lN6hipcub16HIPCUB_304000_NS6detail34convert_binary_result_type_wrapperINS9_3SumENS9_22TransformInputIteratorIb7NonZeroIfEPflEElEEEE10hipError_tPvRmT1_T2_T3_mT4_P12ihipStream_tbEUlT_E0_NS1_11comp_targetILNS1_3genE10ELNS1_11target_archE1201ELNS1_3gpuE5ELNS1_3repE0EEENS1_30default_config_static_selectorELNS0_4arch9wavefront6targetE1EEEvSM_.num_agpr, 0
	.set _ZN7rocprim17ROCPRIM_400000_NS6detail17trampoline_kernelINS0_14default_configENS1_22reduce_config_selectorIlEEZNS1_11reduce_implILb1ES3_PlS7_lN6hipcub16HIPCUB_304000_NS6detail34convert_binary_result_type_wrapperINS9_3SumENS9_22TransformInputIteratorIb7NonZeroIfEPflEElEEEE10hipError_tPvRmT1_T2_T3_mT4_P12ihipStream_tbEUlT_E0_NS1_11comp_targetILNS1_3genE10ELNS1_11target_archE1201ELNS1_3gpuE5ELNS1_3repE0EEENS1_30default_config_static_selectorELNS0_4arch9wavefront6targetE1EEEvSM_.numbered_sgpr, 0
	.set _ZN7rocprim17ROCPRIM_400000_NS6detail17trampoline_kernelINS0_14default_configENS1_22reduce_config_selectorIlEEZNS1_11reduce_implILb1ES3_PlS7_lN6hipcub16HIPCUB_304000_NS6detail34convert_binary_result_type_wrapperINS9_3SumENS9_22TransformInputIteratorIb7NonZeroIfEPflEElEEEE10hipError_tPvRmT1_T2_T3_mT4_P12ihipStream_tbEUlT_E0_NS1_11comp_targetILNS1_3genE10ELNS1_11target_archE1201ELNS1_3gpuE5ELNS1_3repE0EEENS1_30default_config_static_selectorELNS0_4arch9wavefront6targetE1EEEvSM_.num_named_barrier, 0
	.set _ZN7rocprim17ROCPRIM_400000_NS6detail17trampoline_kernelINS0_14default_configENS1_22reduce_config_selectorIlEEZNS1_11reduce_implILb1ES3_PlS7_lN6hipcub16HIPCUB_304000_NS6detail34convert_binary_result_type_wrapperINS9_3SumENS9_22TransformInputIteratorIb7NonZeroIfEPflEElEEEE10hipError_tPvRmT1_T2_T3_mT4_P12ihipStream_tbEUlT_E0_NS1_11comp_targetILNS1_3genE10ELNS1_11target_archE1201ELNS1_3gpuE5ELNS1_3repE0EEENS1_30default_config_static_selectorELNS0_4arch9wavefront6targetE1EEEvSM_.private_seg_size, 0
	.set _ZN7rocprim17ROCPRIM_400000_NS6detail17trampoline_kernelINS0_14default_configENS1_22reduce_config_selectorIlEEZNS1_11reduce_implILb1ES3_PlS7_lN6hipcub16HIPCUB_304000_NS6detail34convert_binary_result_type_wrapperINS9_3SumENS9_22TransformInputIteratorIb7NonZeroIfEPflEElEEEE10hipError_tPvRmT1_T2_T3_mT4_P12ihipStream_tbEUlT_E0_NS1_11comp_targetILNS1_3genE10ELNS1_11target_archE1201ELNS1_3gpuE5ELNS1_3repE0EEENS1_30default_config_static_selectorELNS0_4arch9wavefront6targetE1EEEvSM_.uses_vcc, 0
	.set _ZN7rocprim17ROCPRIM_400000_NS6detail17trampoline_kernelINS0_14default_configENS1_22reduce_config_selectorIlEEZNS1_11reduce_implILb1ES3_PlS7_lN6hipcub16HIPCUB_304000_NS6detail34convert_binary_result_type_wrapperINS9_3SumENS9_22TransformInputIteratorIb7NonZeroIfEPflEElEEEE10hipError_tPvRmT1_T2_T3_mT4_P12ihipStream_tbEUlT_E0_NS1_11comp_targetILNS1_3genE10ELNS1_11target_archE1201ELNS1_3gpuE5ELNS1_3repE0EEENS1_30default_config_static_selectorELNS0_4arch9wavefront6targetE1EEEvSM_.uses_flat_scratch, 0
	.set _ZN7rocprim17ROCPRIM_400000_NS6detail17trampoline_kernelINS0_14default_configENS1_22reduce_config_selectorIlEEZNS1_11reduce_implILb1ES3_PlS7_lN6hipcub16HIPCUB_304000_NS6detail34convert_binary_result_type_wrapperINS9_3SumENS9_22TransformInputIteratorIb7NonZeroIfEPflEElEEEE10hipError_tPvRmT1_T2_T3_mT4_P12ihipStream_tbEUlT_E0_NS1_11comp_targetILNS1_3genE10ELNS1_11target_archE1201ELNS1_3gpuE5ELNS1_3repE0EEENS1_30default_config_static_selectorELNS0_4arch9wavefront6targetE1EEEvSM_.has_dyn_sized_stack, 0
	.set _ZN7rocprim17ROCPRIM_400000_NS6detail17trampoline_kernelINS0_14default_configENS1_22reduce_config_selectorIlEEZNS1_11reduce_implILb1ES3_PlS7_lN6hipcub16HIPCUB_304000_NS6detail34convert_binary_result_type_wrapperINS9_3SumENS9_22TransformInputIteratorIb7NonZeroIfEPflEElEEEE10hipError_tPvRmT1_T2_T3_mT4_P12ihipStream_tbEUlT_E0_NS1_11comp_targetILNS1_3genE10ELNS1_11target_archE1201ELNS1_3gpuE5ELNS1_3repE0EEENS1_30default_config_static_selectorELNS0_4arch9wavefront6targetE1EEEvSM_.has_recursion, 0
	.set _ZN7rocprim17ROCPRIM_400000_NS6detail17trampoline_kernelINS0_14default_configENS1_22reduce_config_selectorIlEEZNS1_11reduce_implILb1ES3_PlS7_lN6hipcub16HIPCUB_304000_NS6detail34convert_binary_result_type_wrapperINS9_3SumENS9_22TransformInputIteratorIb7NonZeroIfEPflEElEEEE10hipError_tPvRmT1_T2_T3_mT4_P12ihipStream_tbEUlT_E0_NS1_11comp_targetILNS1_3genE10ELNS1_11target_archE1201ELNS1_3gpuE5ELNS1_3repE0EEENS1_30default_config_static_selectorELNS0_4arch9wavefront6targetE1EEEvSM_.has_indirect_call, 0
	.section	.AMDGPU.csdata,"",@progbits
; Kernel info:
; codeLenInByte = 0
; TotalNumSgprs: 4
; NumVgprs: 0
; ScratchSize: 0
; MemoryBound: 0
; FloatMode: 240
; IeeeMode: 1
; LDSByteSize: 0 bytes/workgroup (compile time only)
; SGPRBlocks: 0
; VGPRBlocks: 0
; NumSGPRsForWavesPerEU: 4
; NumVGPRsForWavesPerEU: 1
; Occupancy: 10
; WaveLimiterHint : 0
; COMPUTE_PGM_RSRC2:SCRATCH_EN: 0
; COMPUTE_PGM_RSRC2:USER_SGPR: 6
; COMPUTE_PGM_RSRC2:TRAP_HANDLER: 0
; COMPUTE_PGM_RSRC2:TGID_X_EN: 1
; COMPUTE_PGM_RSRC2:TGID_Y_EN: 0
; COMPUTE_PGM_RSRC2:TGID_Z_EN: 0
; COMPUTE_PGM_RSRC2:TIDIG_COMP_CNT: 0
	.section	.text._ZN7rocprim17ROCPRIM_400000_NS6detail17trampoline_kernelINS0_14default_configENS1_22reduce_config_selectorIlEEZNS1_11reduce_implILb1ES3_PlS7_lN6hipcub16HIPCUB_304000_NS6detail34convert_binary_result_type_wrapperINS9_3SumENS9_22TransformInputIteratorIb7NonZeroIfEPflEElEEEE10hipError_tPvRmT1_T2_T3_mT4_P12ihipStream_tbEUlT_E0_NS1_11comp_targetILNS1_3genE10ELNS1_11target_archE1200ELNS1_3gpuE4ELNS1_3repE0EEENS1_30default_config_static_selectorELNS0_4arch9wavefront6targetE1EEEvSM_,"axG",@progbits,_ZN7rocprim17ROCPRIM_400000_NS6detail17trampoline_kernelINS0_14default_configENS1_22reduce_config_selectorIlEEZNS1_11reduce_implILb1ES3_PlS7_lN6hipcub16HIPCUB_304000_NS6detail34convert_binary_result_type_wrapperINS9_3SumENS9_22TransformInputIteratorIb7NonZeroIfEPflEElEEEE10hipError_tPvRmT1_T2_T3_mT4_P12ihipStream_tbEUlT_E0_NS1_11comp_targetILNS1_3genE10ELNS1_11target_archE1200ELNS1_3gpuE4ELNS1_3repE0EEENS1_30default_config_static_selectorELNS0_4arch9wavefront6targetE1EEEvSM_,comdat
	.protected	_ZN7rocprim17ROCPRIM_400000_NS6detail17trampoline_kernelINS0_14default_configENS1_22reduce_config_selectorIlEEZNS1_11reduce_implILb1ES3_PlS7_lN6hipcub16HIPCUB_304000_NS6detail34convert_binary_result_type_wrapperINS9_3SumENS9_22TransformInputIteratorIb7NonZeroIfEPflEElEEEE10hipError_tPvRmT1_T2_T3_mT4_P12ihipStream_tbEUlT_E0_NS1_11comp_targetILNS1_3genE10ELNS1_11target_archE1200ELNS1_3gpuE4ELNS1_3repE0EEENS1_30default_config_static_selectorELNS0_4arch9wavefront6targetE1EEEvSM_ ; -- Begin function _ZN7rocprim17ROCPRIM_400000_NS6detail17trampoline_kernelINS0_14default_configENS1_22reduce_config_selectorIlEEZNS1_11reduce_implILb1ES3_PlS7_lN6hipcub16HIPCUB_304000_NS6detail34convert_binary_result_type_wrapperINS9_3SumENS9_22TransformInputIteratorIb7NonZeroIfEPflEElEEEE10hipError_tPvRmT1_T2_T3_mT4_P12ihipStream_tbEUlT_E0_NS1_11comp_targetILNS1_3genE10ELNS1_11target_archE1200ELNS1_3gpuE4ELNS1_3repE0EEENS1_30default_config_static_selectorELNS0_4arch9wavefront6targetE1EEEvSM_
	.globl	_ZN7rocprim17ROCPRIM_400000_NS6detail17trampoline_kernelINS0_14default_configENS1_22reduce_config_selectorIlEEZNS1_11reduce_implILb1ES3_PlS7_lN6hipcub16HIPCUB_304000_NS6detail34convert_binary_result_type_wrapperINS9_3SumENS9_22TransformInputIteratorIb7NonZeroIfEPflEElEEEE10hipError_tPvRmT1_T2_T3_mT4_P12ihipStream_tbEUlT_E0_NS1_11comp_targetILNS1_3genE10ELNS1_11target_archE1200ELNS1_3gpuE4ELNS1_3repE0EEENS1_30default_config_static_selectorELNS0_4arch9wavefront6targetE1EEEvSM_
	.p2align	8
	.type	_ZN7rocprim17ROCPRIM_400000_NS6detail17trampoline_kernelINS0_14default_configENS1_22reduce_config_selectorIlEEZNS1_11reduce_implILb1ES3_PlS7_lN6hipcub16HIPCUB_304000_NS6detail34convert_binary_result_type_wrapperINS9_3SumENS9_22TransformInputIteratorIb7NonZeroIfEPflEElEEEE10hipError_tPvRmT1_T2_T3_mT4_P12ihipStream_tbEUlT_E0_NS1_11comp_targetILNS1_3genE10ELNS1_11target_archE1200ELNS1_3gpuE4ELNS1_3repE0EEENS1_30default_config_static_selectorELNS0_4arch9wavefront6targetE1EEEvSM_,@function
_ZN7rocprim17ROCPRIM_400000_NS6detail17trampoline_kernelINS0_14default_configENS1_22reduce_config_selectorIlEEZNS1_11reduce_implILb1ES3_PlS7_lN6hipcub16HIPCUB_304000_NS6detail34convert_binary_result_type_wrapperINS9_3SumENS9_22TransformInputIteratorIb7NonZeroIfEPflEElEEEE10hipError_tPvRmT1_T2_T3_mT4_P12ihipStream_tbEUlT_E0_NS1_11comp_targetILNS1_3genE10ELNS1_11target_archE1200ELNS1_3gpuE4ELNS1_3repE0EEENS1_30default_config_static_selectorELNS0_4arch9wavefront6targetE1EEEvSM_: ; @_ZN7rocprim17ROCPRIM_400000_NS6detail17trampoline_kernelINS0_14default_configENS1_22reduce_config_selectorIlEEZNS1_11reduce_implILb1ES3_PlS7_lN6hipcub16HIPCUB_304000_NS6detail34convert_binary_result_type_wrapperINS9_3SumENS9_22TransformInputIteratorIb7NonZeroIfEPflEElEEEE10hipError_tPvRmT1_T2_T3_mT4_P12ihipStream_tbEUlT_E0_NS1_11comp_targetILNS1_3genE10ELNS1_11target_archE1200ELNS1_3gpuE4ELNS1_3repE0EEENS1_30default_config_static_selectorELNS0_4arch9wavefront6targetE1EEEvSM_
; %bb.0:
	.section	.rodata,"a",@progbits
	.p2align	6, 0x0
	.amdhsa_kernel _ZN7rocprim17ROCPRIM_400000_NS6detail17trampoline_kernelINS0_14default_configENS1_22reduce_config_selectorIlEEZNS1_11reduce_implILb1ES3_PlS7_lN6hipcub16HIPCUB_304000_NS6detail34convert_binary_result_type_wrapperINS9_3SumENS9_22TransformInputIteratorIb7NonZeroIfEPflEElEEEE10hipError_tPvRmT1_T2_T3_mT4_P12ihipStream_tbEUlT_E0_NS1_11comp_targetILNS1_3genE10ELNS1_11target_archE1200ELNS1_3gpuE4ELNS1_3repE0EEENS1_30default_config_static_selectorELNS0_4arch9wavefront6targetE1EEEvSM_
		.amdhsa_group_segment_fixed_size 0
		.amdhsa_private_segment_fixed_size 0
		.amdhsa_kernarg_size 64
		.amdhsa_user_sgpr_count 6
		.amdhsa_user_sgpr_private_segment_buffer 1
		.amdhsa_user_sgpr_dispatch_ptr 0
		.amdhsa_user_sgpr_queue_ptr 0
		.amdhsa_user_sgpr_kernarg_segment_ptr 1
		.amdhsa_user_sgpr_dispatch_id 0
		.amdhsa_user_sgpr_flat_scratch_init 0
		.amdhsa_user_sgpr_private_segment_size 0
		.amdhsa_uses_dynamic_stack 0
		.amdhsa_system_sgpr_private_segment_wavefront_offset 0
		.amdhsa_system_sgpr_workgroup_id_x 1
		.amdhsa_system_sgpr_workgroup_id_y 0
		.amdhsa_system_sgpr_workgroup_id_z 0
		.amdhsa_system_sgpr_workgroup_info 0
		.amdhsa_system_vgpr_workitem_id 0
		.amdhsa_next_free_vgpr 1
		.amdhsa_next_free_sgpr 0
		.amdhsa_reserve_vcc 0
		.amdhsa_reserve_flat_scratch 0
		.amdhsa_float_round_mode_32 0
		.amdhsa_float_round_mode_16_64 0
		.amdhsa_float_denorm_mode_32 3
		.amdhsa_float_denorm_mode_16_64 3
		.amdhsa_dx10_clamp 1
		.amdhsa_ieee_mode 1
		.amdhsa_fp16_overflow 0
		.amdhsa_exception_fp_ieee_invalid_op 0
		.amdhsa_exception_fp_denorm_src 0
		.amdhsa_exception_fp_ieee_div_zero 0
		.amdhsa_exception_fp_ieee_overflow 0
		.amdhsa_exception_fp_ieee_underflow 0
		.amdhsa_exception_fp_ieee_inexact 0
		.amdhsa_exception_int_div_zero 0
	.end_amdhsa_kernel
	.section	.text._ZN7rocprim17ROCPRIM_400000_NS6detail17trampoline_kernelINS0_14default_configENS1_22reduce_config_selectorIlEEZNS1_11reduce_implILb1ES3_PlS7_lN6hipcub16HIPCUB_304000_NS6detail34convert_binary_result_type_wrapperINS9_3SumENS9_22TransformInputIteratorIb7NonZeroIfEPflEElEEEE10hipError_tPvRmT1_T2_T3_mT4_P12ihipStream_tbEUlT_E0_NS1_11comp_targetILNS1_3genE10ELNS1_11target_archE1200ELNS1_3gpuE4ELNS1_3repE0EEENS1_30default_config_static_selectorELNS0_4arch9wavefront6targetE1EEEvSM_,"axG",@progbits,_ZN7rocprim17ROCPRIM_400000_NS6detail17trampoline_kernelINS0_14default_configENS1_22reduce_config_selectorIlEEZNS1_11reduce_implILb1ES3_PlS7_lN6hipcub16HIPCUB_304000_NS6detail34convert_binary_result_type_wrapperINS9_3SumENS9_22TransformInputIteratorIb7NonZeroIfEPflEElEEEE10hipError_tPvRmT1_T2_T3_mT4_P12ihipStream_tbEUlT_E0_NS1_11comp_targetILNS1_3genE10ELNS1_11target_archE1200ELNS1_3gpuE4ELNS1_3repE0EEENS1_30default_config_static_selectorELNS0_4arch9wavefront6targetE1EEEvSM_,comdat
.Lfunc_end223:
	.size	_ZN7rocprim17ROCPRIM_400000_NS6detail17trampoline_kernelINS0_14default_configENS1_22reduce_config_selectorIlEEZNS1_11reduce_implILb1ES3_PlS7_lN6hipcub16HIPCUB_304000_NS6detail34convert_binary_result_type_wrapperINS9_3SumENS9_22TransformInputIteratorIb7NonZeroIfEPflEElEEEE10hipError_tPvRmT1_T2_T3_mT4_P12ihipStream_tbEUlT_E0_NS1_11comp_targetILNS1_3genE10ELNS1_11target_archE1200ELNS1_3gpuE4ELNS1_3repE0EEENS1_30default_config_static_selectorELNS0_4arch9wavefront6targetE1EEEvSM_, .Lfunc_end223-_ZN7rocprim17ROCPRIM_400000_NS6detail17trampoline_kernelINS0_14default_configENS1_22reduce_config_selectorIlEEZNS1_11reduce_implILb1ES3_PlS7_lN6hipcub16HIPCUB_304000_NS6detail34convert_binary_result_type_wrapperINS9_3SumENS9_22TransformInputIteratorIb7NonZeroIfEPflEElEEEE10hipError_tPvRmT1_T2_T3_mT4_P12ihipStream_tbEUlT_E0_NS1_11comp_targetILNS1_3genE10ELNS1_11target_archE1200ELNS1_3gpuE4ELNS1_3repE0EEENS1_30default_config_static_selectorELNS0_4arch9wavefront6targetE1EEEvSM_
                                        ; -- End function
	.set _ZN7rocprim17ROCPRIM_400000_NS6detail17trampoline_kernelINS0_14default_configENS1_22reduce_config_selectorIlEEZNS1_11reduce_implILb1ES3_PlS7_lN6hipcub16HIPCUB_304000_NS6detail34convert_binary_result_type_wrapperINS9_3SumENS9_22TransformInputIteratorIb7NonZeroIfEPflEElEEEE10hipError_tPvRmT1_T2_T3_mT4_P12ihipStream_tbEUlT_E0_NS1_11comp_targetILNS1_3genE10ELNS1_11target_archE1200ELNS1_3gpuE4ELNS1_3repE0EEENS1_30default_config_static_selectorELNS0_4arch9wavefront6targetE1EEEvSM_.num_vgpr, 0
	.set _ZN7rocprim17ROCPRIM_400000_NS6detail17trampoline_kernelINS0_14default_configENS1_22reduce_config_selectorIlEEZNS1_11reduce_implILb1ES3_PlS7_lN6hipcub16HIPCUB_304000_NS6detail34convert_binary_result_type_wrapperINS9_3SumENS9_22TransformInputIteratorIb7NonZeroIfEPflEElEEEE10hipError_tPvRmT1_T2_T3_mT4_P12ihipStream_tbEUlT_E0_NS1_11comp_targetILNS1_3genE10ELNS1_11target_archE1200ELNS1_3gpuE4ELNS1_3repE0EEENS1_30default_config_static_selectorELNS0_4arch9wavefront6targetE1EEEvSM_.num_agpr, 0
	.set _ZN7rocprim17ROCPRIM_400000_NS6detail17trampoline_kernelINS0_14default_configENS1_22reduce_config_selectorIlEEZNS1_11reduce_implILb1ES3_PlS7_lN6hipcub16HIPCUB_304000_NS6detail34convert_binary_result_type_wrapperINS9_3SumENS9_22TransformInputIteratorIb7NonZeroIfEPflEElEEEE10hipError_tPvRmT1_T2_T3_mT4_P12ihipStream_tbEUlT_E0_NS1_11comp_targetILNS1_3genE10ELNS1_11target_archE1200ELNS1_3gpuE4ELNS1_3repE0EEENS1_30default_config_static_selectorELNS0_4arch9wavefront6targetE1EEEvSM_.numbered_sgpr, 0
	.set _ZN7rocprim17ROCPRIM_400000_NS6detail17trampoline_kernelINS0_14default_configENS1_22reduce_config_selectorIlEEZNS1_11reduce_implILb1ES3_PlS7_lN6hipcub16HIPCUB_304000_NS6detail34convert_binary_result_type_wrapperINS9_3SumENS9_22TransformInputIteratorIb7NonZeroIfEPflEElEEEE10hipError_tPvRmT1_T2_T3_mT4_P12ihipStream_tbEUlT_E0_NS1_11comp_targetILNS1_3genE10ELNS1_11target_archE1200ELNS1_3gpuE4ELNS1_3repE0EEENS1_30default_config_static_selectorELNS0_4arch9wavefront6targetE1EEEvSM_.num_named_barrier, 0
	.set _ZN7rocprim17ROCPRIM_400000_NS6detail17trampoline_kernelINS0_14default_configENS1_22reduce_config_selectorIlEEZNS1_11reduce_implILb1ES3_PlS7_lN6hipcub16HIPCUB_304000_NS6detail34convert_binary_result_type_wrapperINS9_3SumENS9_22TransformInputIteratorIb7NonZeroIfEPflEElEEEE10hipError_tPvRmT1_T2_T3_mT4_P12ihipStream_tbEUlT_E0_NS1_11comp_targetILNS1_3genE10ELNS1_11target_archE1200ELNS1_3gpuE4ELNS1_3repE0EEENS1_30default_config_static_selectorELNS0_4arch9wavefront6targetE1EEEvSM_.private_seg_size, 0
	.set _ZN7rocprim17ROCPRIM_400000_NS6detail17trampoline_kernelINS0_14default_configENS1_22reduce_config_selectorIlEEZNS1_11reduce_implILb1ES3_PlS7_lN6hipcub16HIPCUB_304000_NS6detail34convert_binary_result_type_wrapperINS9_3SumENS9_22TransformInputIteratorIb7NonZeroIfEPflEElEEEE10hipError_tPvRmT1_T2_T3_mT4_P12ihipStream_tbEUlT_E0_NS1_11comp_targetILNS1_3genE10ELNS1_11target_archE1200ELNS1_3gpuE4ELNS1_3repE0EEENS1_30default_config_static_selectorELNS0_4arch9wavefront6targetE1EEEvSM_.uses_vcc, 0
	.set _ZN7rocprim17ROCPRIM_400000_NS6detail17trampoline_kernelINS0_14default_configENS1_22reduce_config_selectorIlEEZNS1_11reduce_implILb1ES3_PlS7_lN6hipcub16HIPCUB_304000_NS6detail34convert_binary_result_type_wrapperINS9_3SumENS9_22TransformInputIteratorIb7NonZeroIfEPflEElEEEE10hipError_tPvRmT1_T2_T3_mT4_P12ihipStream_tbEUlT_E0_NS1_11comp_targetILNS1_3genE10ELNS1_11target_archE1200ELNS1_3gpuE4ELNS1_3repE0EEENS1_30default_config_static_selectorELNS0_4arch9wavefront6targetE1EEEvSM_.uses_flat_scratch, 0
	.set _ZN7rocprim17ROCPRIM_400000_NS6detail17trampoline_kernelINS0_14default_configENS1_22reduce_config_selectorIlEEZNS1_11reduce_implILb1ES3_PlS7_lN6hipcub16HIPCUB_304000_NS6detail34convert_binary_result_type_wrapperINS9_3SumENS9_22TransformInputIteratorIb7NonZeroIfEPflEElEEEE10hipError_tPvRmT1_T2_T3_mT4_P12ihipStream_tbEUlT_E0_NS1_11comp_targetILNS1_3genE10ELNS1_11target_archE1200ELNS1_3gpuE4ELNS1_3repE0EEENS1_30default_config_static_selectorELNS0_4arch9wavefront6targetE1EEEvSM_.has_dyn_sized_stack, 0
	.set _ZN7rocprim17ROCPRIM_400000_NS6detail17trampoline_kernelINS0_14default_configENS1_22reduce_config_selectorIlEEZNS1_11reduce_implILb1ES3_PlS7_lN6hipcub16HIPCUB_304000_NS6detail34convert_binary_result_type_wrapperINS9_3SumENS9_22TransformInputIteratorIb7NonZeroIfEPflEElEEEE10hipError_tPvRmT1_T2_T3_mT4_P12ihipStream_tbEUlT_E0_NS1_11comp_targetILNS1_3genE10ELNS1_11target_archE1200ELNS1_3gpuE4ELNS1_3repE0EEENS1_30default_config_static_selectorELNS0_4arch9wavefront6targetE1EEEvSM_.has_recursion, 0
	.set _ZN7rocprim17ROCPRIM_400000_NS6detail17trampoline_kernelINS0_14default_configENS1_22reduce_config_selectorIlEEZNS1_11reduce_implILb1ES3_PlS7_lN6hipcub16HIPCUB_304000_NS6detail34convert_binary_result_type_wrapperINS9_3SumENS9_22TransformInputIteratorIb7NonZeroIfEPflEElEEEE10hipError_tPvRmT1_T2_T3_mT4_P12ihipStream_tbEUlT_E0_NS1_11comp_targetILNS1_3genE10ELNS1_11target_archE1200ELNS1_3gpuE4ELNS1_3repE0EEENS1_30default_config_static_selectorELNS0_4arch9wavefront6targetE1EEEvSM_.has_indirect_call, 0
	.section	.AMDGPU.csdata,"",@progbits
; Kernel info:
; codeLenInByte = 0
; TotalNumSgprs: 4
; NumVgprs: 0
; ScratchSize: 0
; MemoryBound: 0
; FloatMode: 240
; IeeeMode: 1
; LDSByteSize: 0 bytes/workgroup (compile time only)
; SGPRBlocks: 0
; VGPRBlocks: 0
; NumSGPRsForWavesPerEU: 4
; NumVGPRsForWavesPerEU: 1
; Occupancy: 10
; WaveLimiterHint : 0
; COMPUTE_PGM_RSRC2:SCRATCH_EN: 0
; COMPUTE_PGM_RSRC2:USER_SGPR: 6
; COMPUTE_PGM_RSRC2:TRAP_HANDLER: 0
; COMPUTE_PGM_RSRC2:TGID_X_EN: 1
; COMPUTE_PGM_RSRC2:TGID_Y_EN: 0
; COMPUTE_PGM_RSRC2:TGID_Z_EN: 0
; COMPUTE_PGM_RSRC2:TIDIG_COMP_CNT: 0
	.section	.text._ZN7rocprim17ROCPRIM_400000_NS6detail17trampoline_kernelINS0_14default_configENS1_22reduce_config_selectorIlEEZNS1_11reduce_implILb1ES3_PlS7_lN6hipcub16HIPCUB_304000_NS6detail34convert_binary_result_type_wrapperINS9_3SumENS9_22TransformInputIteratorIb7NonZeroIfEPflEElEEEE10hipError_tPvRmT1_T2_T3_mT4_P12ihipStream_tbEUlT_E0_NS1_11comp_targetILNS1_3genE9ELNS1_11target_archE1100ELNS1_3gpuE3ELNS1_3repE0EEENS1_30default_config_static_selectorELNS0_4arch9wavefront6targetE1EEEvSM_,"axG",@progbits,_ZN7rocprim17ROCPRIM_400000_NS6detail17trampoline_kernelINS0_14default_configENS1_22reduce_config_selectorIlEEZNS1_11reduce_implILb1ES3_PlS7_lN6hipcub16HIPCUB_304000_NS6detail34convert_binary_result_type_wrapperINS9_3SumENS9_22TransformInputIteratorIb7NonZeroIfEPflEElEEEE10hipError_tPvRmT1_T2_T3_mT4_P12ihipStream_tbEUlT_E0_NS1_11comp_targetILNS1_3genE9ELNS1_11target_archE1100ELNS1_3gpuE3ELNS1_3repE0EEENS1_30default_config_static_selectorELNS0_4arch9wavefront6targetE1EEEvSM_,comdat
	.protected	_ZN7rocprim17ROCPRIM_400000_NS6detail17trampoline_kernelINS0_14default_configENS1_22reduce_config_selectorIlEEZNS1_11reduce_implILb1ES3_PlS7_lN6hipcub16HIPCUB_304000_NS6detail34convert_binary_result_type_wrapperINS9_3SumENS9_22TransformInputIteratorIb7NonZeroIfEPflEElEEEE10hipError_tPvRmT1_T2_T3_mT4_P12ihipStream_tbEUlT_E0_NS1_11comp_targetILNS1_3genE9ELNS1_11target_archE1100ELNS1_3gpuE3ELNS1_3repE0EEENS1_30default_config_static_selectorELNS0_4arch9wavefront6targetE1EEEvSM_ ; -- Begin function _ZN7rocprim17ROCPRIM_400000_NS6detail17trampoline_kernelINS0_14default_configENS1_22reduce_config_selectorIlEEZNS1_11reduce_implILb1ES3_PlS7_lN6hipcub16HIPCUB_304000_NS6detail34convert_binary_result_type_wrapperINS9_3SumENS9_22TransformInputIteratorIb7NonZeroIfEPflEElEEEE10hipError_tPvRmT1_T2_T3_mT4_P12ihipStream_tbEUlT_E0_NS1_11comp_targetILNS1_3genE9ELNS1_11target_archE1100ELNS1_3gpuE3ELNS1_3repE0EEENS1_30default_config_static_selectorELNS0_4arch9wavefront6targetE1EEEvSM_
	.globl	_ZN7rocprim17ROCPRIM_400000_NS6detail17trampoline_kernelINS0_14default_configENS1_22reduce_config_selectorIlEEZNS1_11reduce_implILb1ES3_PlS7_lN6hipcub16HIPCUB_304000_NS6detail34convert_binary_result_type_wrapperINS9_3SumENS9_22TransformInputIteratorIb7NonZeroIfEPflEElEEEE10hipError_tPvRmT1_T2_T3_mT4_P12ihipStream_tbEUlT_E0_NS1_11comp_targetILNS1_3genE9ELNS1_11target_archE1100ELNS1_3gpuE3ELNS1_3repE0EEENS1_30default_config_static_selectorELNS0_4arch9wavefront6targetE1EEEvSM_
	.p2align	8
	.type	_ZN7rocprim17ROCPRIM_400000_NS6detail17trampoline_kernelINS0_14default_configENS1_22reduce_config_selectorIlEEZNS1_11reduce_implILb1ES3_PlS7_lN6hipcub16HIPCUB_304000_NS6detail34convert_binary_result_type_wrapperINS9_3SumENS9_22TransformInputIteratorIb7NonZeroIfEPflEElEEEE10hipError_tPvRmT1_T2_T3_mT4_P12ihipStream_tbEUlT_E0_NS1_11comp_targetILNS1_3genE9ELNS1_11target_archE1100ELNS1_3gpuE3ELNS1_3repE0EEENS1_30default_config_static_selectorELNS0_4arch9wavefront6targetE1EEEvSM_,@function
_ZN7rocprim17ROCPRIM_400000_NS6detail17trampoline_kernelINS0_14default_configENS1_22reduce_config_selectorIlEEZNS1_11reduce_implILb1ES3_PlS7_lN6hipcub16HIPCUB_304000_NS6detail34convert_binary_result_type_wrapperINS9_3SumENS9_22TransformInputIteratorIb7NonZeroIfEPflEElEEEE10hipError_tPvRmT1_T2_T3_mT4_P12ihipStream_tbEUlT_E0_NS1_11comp_targetILNS1_3genE9ELNS1_11target_archE1100ELNS1_3gpuE3ELNS1_3repE0EEENS1_30default_config_static_selectorELNS0_4arch9wavefront6targetE1EEEvSM_: ; @_ZN7rocprim17ROCPRIM_400000_NS6detail17trampoline_kernelINS0_14default_configENS1_22reduce_config_selectorIlEEZNS1_11reduce_implILb1ES3_PlS7_lN6hipcub16HIPCUB_304000_NS6detail34convert_binary_result_type_wrapperINS9_3SumENS9_22TransformInputIteratorIb7NonZeroIfEPflEElEEEE10hipError_tPvRmT1_T2_T3_mT4_P12ihipStream_tbEUlT_E0_NS1_11comp_targetILNS1_3genE9ELNS1_11target_archE1100ELNS1_3gpuE3ELNS1_3repE0EEENS1_30default_config_static_selectorELNS0_4arch9wavefront6targetE1EEEvSM_
; %bb.0:
	.section	.rodata,"a",@progbits
	.p2align	6, 0x0
	.amdhsa_kernel _ZN7rocprim17ROCPRIM_400000_NS6detail17trampoline_kernelINS0_14default_configENS1_22reduce_config_selectorIlEEZNS1_11reduce_implILb1ES3_PlS7_lN6hipcub16HIPCUB_304000_NS6detail34convert_binary_result_type_wrapperINS9_3SumENS9_22TransformInputIteratorIb7NonZeroIfEPflEElEEEE10hipError_tPvRmT1_T2_T3_mT4_P12ihipStream_tbEUlT_E0_NS1_11comp_targetILNS1_3genE9ELNS1_11target_archE1100ELNS1_3gpuE3ELNS1_3repE0EEENS1_30default_config_static_selectorELNS0_4arch9wavefront6targetE1EEEvSM_
		.amdhsa_group_segment_fixed_size 0
		.amdhsa_private_segment_fixed_size 0
		.amdhsa_kernarg_size 64
		.amdhsa_user_sgpr_count 6
		.amdhsa_user_sgpr_private_segment_buffer 1
		.amdhsa_user_sgpr_dispatch_ptr 0
		.amdhsa_user_sgpr_queue_ptr 0
		.amdhsa_user_sgpr_kernarg_segment_ptr 1
		.amdhsa_user_sgpr_dispatch_id 0
		.amdhsa_user_sgpr_flat_scratch_init 0
		.amdhsa_user_sgpr_private_segment_size 0
		.amdhsa_uses_dynamic_stack 0
		.amdhsa_system_sgpr_private_segment_wavefront_offset 0
		.amdhsa_system_sgpr_workgroup_id_x 1
		.amdhsa_system_sgpr_workgroup_id_y 0
		.amdhsa_system_sgpr_workgroup_id_z 0
		.amdhsa_system_sgpr_workgroup_info 0
		.amdhsa_system_vgpr_workitem_id 0
		.amdhsa_next_free_vgpr 1
		.amdhsa_next_free_sgpr 0
		.amdhsa_reserve_vcc 0
		.amdhsa_reserve_flat_scratch 0
		.amdhsa_float_round_mode_32 0
		.amdhsa_float_round_mode_16_64 0
		.amdhsa_float_denorm_mode_32 3
		.amdhsa_float_denorm_mode_16_64 3
		.amdhsa_dx10_clamp 1
		.amdhsa_ieee_mode 1
		.amdhsa_fp16_overflow 0
		.amdhsa_exception_fp_ieee_invalid_op 0
		.amdhsa_exception_fp_denorm_src 0
		.amdhsa_exception_fp_ieee_div_zero 0
		.amdhsa_exception_fp_ieee_overflow 0
		.amdhsa_exception_fp_ieee_underflow 0
		.amdhsa_exception_fp_ieee_inexact 0
		.amdhsa_exception_int_div_zero 0
	.end_amdhsa_kernel
	.section	.text._ZN7rocprim17ROCPRIM_400000_NS6detail17trampoline_kernelINS0_14default_configENS1_22reduce_config_selectorIlEEZNS1_11reduce_implILb1ES3_PlS7_lN6hipcub16HIPCUB_304000_NS6detail34convert_binary_result_type_wrapperINS9_3SumENS9_22TransformInputIteratorIb7NonZeroIfEPflEElEEEE10hipError_tPvRmT1_T2_T3_mT4_P12ihipStream_tbEUlT_E0_NS1_11comp_targetILNS1_3genE9ELNS1_11target_archE1100ELNS1_3gpuE3ELNS1_3repE0EEENS1_30default_config_static_selectorELNS0_4arch9wavefront6targetE1EEEvSM_,"axG",@progbits,_ZN7rocprim17ROCPRIM_400000_NS6detail17trampoline_kernelINS0_14default_configENS1_22reduce_config_selectorIlEEZNS1_11reduce_implILb1ES3_PlS7_lN6hipcub16HIPCUB_304000_NS6detail34convert_binary_result_type_wrapperINS9_3SumENS9_22TransformInputIteratorIb7NonZeroIfEPflEElEEEE10hipError_tPvRmT1_T2_T3_mT4_P12ihipStream_tbEUlT_E0_NS1_11comp_targetILNS1_3genE9ELNS1_11target_archE1100ELNS1_3gpuE3ELNS1_3repE0EEENS1_30default_config_static_selectorELNS0_4arch9wavefront6targetE1EEEvSM_,comdat
.Lfunc_end224:
	.size	_ZN7rocprim17ROCPRIM_400000_NS6detail17trampoline_kernelINS0_14default_configENS1_22reduce_config_selectorIlEEZNS1_11reduce_implILb1ES3_PlS7_lN6hipcub16HIPCUB_304000_NS6detail34convert_binary_result_type_wrapperINS9_3SumENS9_22TransformInputIteratorIb7NonZeroIfEPflEElEEEE10hipError_tPvRmT1_T2_T3_mT4_P12ihipStream_tbEUlT_E0_NS1_11comp_targetILNS1_3genE9ELNS1_11target_archE1100ELNS1_3gpuE3ELNS1_3repE0EEENS1_30default_config_static_selectorELNS0_4arch9wavefront6targetE1EEEvSM_, .Lfunc_end224-_ZN7rocprim17ROCPRIM_400000_NS6detail17trampoline_kernelINS0_14default_configENS1_22reduce_config_selectorIlEEZNS1_11reduce_implILb1ES3_PlS7_lN6hipcub16HIPCUB_304000_NS6detail34convert_binary_result_type_wrapperINS9_3SumENS9_22TransformInputIteratorIb7NonZeroIfEPflEElEEEE10hipError_tPvRmT1_T2_T3_mT4_P12ihipStream_tbEUlT_E0_NS1_11comp_targetILNS1_3genE9ELNS1_11target_archE1100ELNS1_3gpuE3ELNS1_3repE0EEENS1_30default_config_static_selectorELNS0_4arch9wavefront6targetE1EEEvSM_
                                        ; -- End function
	.set _ZN7rocprim17ROCPRIM_400000_NS6detail17trampoline_kernelINS0_14default_configENS1_22reduce_config_selectorIlEEZNS1_11reduce_implILb1ES3_PlS7_lN6hipcub16HIPCUB_304000_NS6detail34convert_binary_result_type_wrapperINS9_3SumENS9_22TransformInputIteratorIb7NonZeroIfEPflEElEEEE10hipError_tPvRmT1_T2_T3_mT4_P12ihipStream_tbEUlT_E0_NS1_11comp_targetILNS1_3genE9ELNS1_11target_archE1100ELNS1_3gpuE3ELNS1_3repE0EEENS1_30default_config_static_selectorELNS0_4arch9wavefront6targetE1EEEvSM_.num_vgpr, 0
	.set _ZN7rocprim17ROCPRIM_400000_NS6detail17trampoline_kernelINS0_14default_configENS1_22reduce_config_selectorIlEEZNS1_11reduce_implILb1ES3_PlS7_lN6hipcub16HIPCUB_304000_NS6detail34convert_binary_result_type_wrapperINS9_3SumENS9_22TransformInputIteratorIb7NonZeroIfEPflEElEEEE10hipError_tPvRmT1_T2_T3_mT4_P12ihipStream_tbEUlT_E0_NS1_11comp_targetILNS1_3genE9ELNS1_11target_archE1100ELNS1_3gpuE3ELNS1_3repE0EEENS1_30default_config_static_selectorELNS0_4arch9wavefront6targetE1EEEvSM_.num_agpr, 0
	.set _ZN7rocprim17ROCPRIM_400000_NS6detail17trampoline_kernelINS0_14default_configENS1_22reduce_config_selectorIlEEZNS1_11reduce_implILb1ES3_PlS7_lN6hipcub16HIPCUB_304000_NS6detail34convert_binary_result_type_wrapperINS9_3SumENS9_22TransformInputIteratorIb7NonZeroIfEPflEElEEEE10hipError_tPvRmT1_T2_T3_mT4_P12ihipStream_tbEUlT_E0_NS1_11comp_targetILNS1_3genE9ELNS1_11target_archE1100ELNS1_3gpuE3ELNS1_3repE0EEENS1_30default_config_static_selectorELNS0_4arch9wavefront6targetE1EEEvSM_.numbered_sgpr, 0
	.set _ZN7rocprim17ROCPRIM_400000_NS6detail17trampoline_kernelINS0_14default_configENS1_22reduce_config_selectorIlEEZNS1_11reduce_implILb1ES3_PlS7_lN6hipcub16HIPCUB_304000_NS6detail34convert_binary_result_type_wrapperINS9_3SumENS9_22TransformInputIteratorIb7NonZeroIfEPflEElEEEE10hipError_tPvRmT1_T2_T3_mT4_P12ihipStream_tbEUlT_E0_NS1_11comp_targetILNS1_3genE9ELNS1_11target_archE1100ELNS1_3gpuE3ELNS1_3repE0EEENS1_30default_config_static_selectorELNS0_4arch9wavefront6targetE1EEEvSM_.num_named_barrier, 0
	.set _ZN7rocprim17ROCPRIM_400000_NS6detail17trampoline_kernelINS0_14default_configENS1_22reduce_config_selectorIlEEZNS1_11reduce_implILb1ES3_PlS7_lN6hipcub16HIPCUB_304000_NS6detail34convert_binary_result_type_wrapperINS9_3SumENS9_22TransformInputIteratorIb7NonZeroIfEPflEElEEEE10hipError_tPvRmT1_T2_T3_mT4_P12ihipStream_tbEUlT_E0_NS1_11comp_targetILNS1_3genE9ELNS1_11target_archE1100ELNS1_3gpuE3ELNS1_3repE0EEENS1_30default_config_static_selectorELNS0_4arch9wavefront6targetE1EEEvSM_.private_seg_size, 0
	.set _ZN7rocprim17ROCPRIM_400000_NS6detail17trampoline_kernelINS0_14default_configENS1_22reduce_config_selectorIlEEZNS1_11reduce_implILb1ES3_PlS7_lN6hipcub16HIPCUB_304000_NS6detail34convert_binary_result_type_wrapperINS9_3SumENS9_22TransformInputIteratorIb7NonZeroIfEPflEElEEEE10hipError_tPvRmT1_T2_T3_mT4_P12ihipStream_tbEUlT_E0_NS1_11comp_targetILNS1_3genE9ELNS1_11target_archE1100ELNS1_3gpuE3ELNS1_3repE0EEENS1_30default_config_static_selectorELNS0_4arch9wavefront6targetE1EEEvSM_.uses_vcc, 0
	.set _ZN7rocprim17ROCPRIM_400000_NS6detail17trampoline_kernelINS0_14default_configENS1_22reduce_config_selectorIlEEZNS1_11reduce_implILb1ES3_PlS7_lN6hipcub16HIPCUB_304000_NS6detail34convert_binary_result_type_wrapperINS9_3SumENS9_22TransformInputIteratorIb7NonZeroIfEPflEElEEEE10hipError_tPvRmT1_T2_T3_mT4_P12ihipStream_tbEUlT_E0_NS1_11comp_targetILNS1_3genE9ELNS1_11target_archE1100ELNS1_3gpuE3ELNS1_3repE0EEENS1_30default_config_static_selectorELNS0_4arch9wavefront6targetE1EEEvSM_.uses_flat_scratch, 0
	.set _ZN7rocprim17ROCPRIM_400000_NS6detail17trampoline_kernelINS0_14default_configENS1_22reduce_config_selectorIlEEZNS1_11reduce_implILb1ES3_PlS7_lN6hipcub16HIPCUB_304000_NS6detail34convert_binary_result_type_wrapperINS9_3SumENS9_22TransformInputIteratorIb7NonZeroIfEPflEElEEEE10hipError_tPvRmT1_T2_T3_mT4_P12ihipStream_tbEUlT_E0_NS1_11comp_targetILNS1_3genE9ELNS1_11target_archE1100ELNS1_3gpuE3ELNS1_3repE0EEENS1_30default_config_static_selectorELNS0_4arch9wavefront6targetE1EEEvSM_.has_dyn_sized_stack, 0
	.set _ZN7rocprim17ROCPRIM_400000_NS6detail17trampoline_kernelINS0_14default_configENS1_22reduce_config_selectorIlEEZNS1_11reduce_implILb1ES3_PlS7_lN6hipcub16HIPCUB_304000_NS6detail34convert_binary_result_type_wrapperINS9_3SumENS9_22TransformInputIteratorIb7NonZeroIfEPflEElEEEE10hipError_tPvRmT1_T2_T3_mT4_P12ihipStream_tbEUlT_E0_NS1_11comp_targetILNS1_3genE9ELNS1_11target_archE1100ELNS1_3gpuE3ELNS1_3repE0EEENS1_30default_config_static_selectorELNS0_4arch9wavefront6targetE1EEEvSM_.has_recursion, 0
	.set _ZN7rocprim17ROCPRIM_400000_NS6detail17trampoline_kernelINS0_14default_configENS1_22reduce_config_selectorIlEEZNS1_11reduce_implILb1ES3_PlS7_lN6hipcub16HIPCUB_304000_NS6detail34convert_binary_result_type_wrapperINS9_3SumENS9_22TransformInputIteratorIb7NonZeroIfEPflEElEEEE10hipError_tPvRmT1_T2_T3_mT4_P12ihipStream_tbEUlT_E0_NS1_11comp_targetILNS1_3genE9ELNS1_11target_archE1100ELNS1_3gpuE3ELNS1_3repE0EEENS1_30default_config_static_selectorELNS0_4arch9wavefront6targetE1EEEvSM_.has_indirect_call, 0
	.section	.AMDGPU.csdata,"",@progbits
; Kernel info:
; codeLenInByte = 0
; TotalNumSgprs: 4
; NumVgprs: 0
; ScratchSize: 0
; MemoryBound: 0
; FloatMode: 240
; IeeeMode: 1
; LDSByteSize: 0 bytes/workgroup (compile time only)
; SGPRBlocks: 0
; VGPRBlocks: 0
; NumSGPRsForWavesPerEU: 4
; NumVGPRsForWavesPerEU: 1
; Occupancy: 10
; WaveLimiterHint : 0
; COMPUTE_PGM_RSRC2:SCRATCH_EN: 0
; COMPUTE_PGM_RSRC2:USER_SGPR: 6
; COMPUTE_PGM_RSRC2:TRAP_HANDLER: 0
; COMPUTE_PGM_RSRC2:TGID_X_EN: 1
; COMPUTE_PGM_RSRC2:TGID_Y_EN: 0
; COMPUTE_PGM_RSRC2:TGID_Z_EN: 0
; COMPUTE_PGM_RSRC2:TIDIG_COMP_CNT: 0
	.section	.text._ZN7rocprim17ROCPRIM_400000_NS6detail17trampoline_kernelINS0_14default_configENS1_22reduce_config_selectorIlEEZNS1_11reduce_implILb1ES3_PlS7_lN6hipcub16HIPCUB_304000_NS6detail34convert_binary_result_type_wrapperINS9_3SumENS9_22TransformInputIteratorIb7NonZeroIfEPflEElEEEE10hipError_tPvRmT1_T2_T3_mT4_P12ihipStream_tbEUlT_E0_NS1_11comp_targetILNS1_3genE8ELNS1_11target_archE1030ELNS1_3gpuE2ELNS1_3repE0EEENS1_30default_config_static_selectorELNS0_4arch9wavefront6targetE1EEEvSM_,"axG",@progbits,_ZN7rocprim17ROCPRIM_400000_NS6detail17trampoline_kernelINS0_14default_configENS1_22reduce_config_selectorIlEEZNS1_11reduce_implILb1ES3_PlS7_lN6hipcub16HIPCUB_304000_NS6detail34convert_binary_result_type_wrapperINS9_3SumENS9_22TransformInputIteratorIb7NonZeroIfEPflEElEEEE10hipError_tPvRmT1_T2_T3_mT4_P12ihipStream_tbEUlT_E0_NS1_11comp_targetILNS1_3genE8ELNS1_11target_archE1030ELNS1_3gpuE2ELNS1_3repE0EEENS1_30default_config_static_selectorELNS0_4arch9wavefront6targetE1EEEvSM_,comdat
	.protected	_ZN7rocprim17ROCPRIM_400000_NS6detail17trampoline_kernelINS0_14default_configENS1_22reduce_config_selectorIlEEZNS1_11reduce_implILb1ES3_PlS7_lN6hipcub16HIPCUB_304000_NS6detail34convert_binary_result_type_wrapperINS9_3SumENS9_22TransformInputIteratorIb7NonZeroIfEPflEElEEEE10hipError_tPvRmT1_T2_T3_mT4_P12ihipStream_tbEUlT_E0_NS1_11comp_targetILNS1_3genE8ELNS1_11target_archE1030ELNS1_3gpuE2ELNS1_3repE0EEENS1_30default_config_static_selectorELNS0_4arch9wavefront6targetE1EEEvSM_ ; -- Begin function _ZN7rocprim17ROCPRIM_400000_NS6detail17trampoline_kernelINS0_14default_configENS1_22reduce_config_selectorIlEEZNS1_11reduce_implILb1ES3_PlS7_lN6hipcub16HIPCUB_304000_NS6detail34convert_binary_result_type_wrapperINS9_3SumENS9_22TransformInputIteratorIb7NonZeroIfEPflEElEEEE10hipError_tPvRmT1_T2_T3_mT4_P12ihipStream_tbEUlT_E0_NS1_11comp_targetILNS1_3genE8ELNS1_11target_archE1030ELNS1_3gpuE2ELNS1_3repE0EEENS1_30default_config_static_selectorELNS0_4arch9wavefront6targetE1EEEvSM_
	.globl	_ZN7rocprim17ROCPRIM_400000_NS6detail17trampoline_kernelINS0_14default_configENS1_22reduce_config_selectorIlEEZNS1_11reduce_implILb1ES3_PlS7_lN6hipcub16HIPCUB_304000_NS6detail34convert_binary_result_type_wrapperINS9_3SumENS9_22TransformInputIteratorIb7NonZeroIfEPflEElEEEE10hipError_tPvRmT1_T2_T3_mT4_P12ihipStream_tbEUlT_E0_NS1_11comp_targetILNS1_3genE8ELNS1_11target_archE1030ELNS1_3gpuE2ELNS1_3repE0EEENS1_30default_config_static_selectorELNS0_4arch9wavefront6targetE1EEEvSM_
	.p2align	8
	.type	_ZN7rocprim17ROCPRIM_400000_NS6detail17trampoline_kernelINS0_14default_configENS1_22reduce_config_selectorIlEEZNS1_11reduce_implILb1ES3_PlS7_lN6hipcub16HIPCUB_304000_NS6detail34convert_binary_result_type_wrapperINS9_3SumENS9_22TransformInputIteratorIb7NonZeroIfEPflEElEEEE10hipError_tPvRmT1_T2_T3_mT4_P12ihipStream_tbEUlT_E0_NS1_11comp_targetILNS1_3genE8ELNS1_11target_archE1030ELNS1_3gpuE2ELNS1_3repE0EEENS1_30default_config_static_selectorELNS0_4arch9wavefront6targetE1EEEvSM_,@function
_ZN7rocprim17ROCPRIM_400000_NS6detail17trampoline_kernelINS0_14default_configENS1_22reduce_config_selectorIlEEZNS1_11reduce_implILb1ES3_PlS7_lN6hipcub16HIPCUB_304000_NS6detail34convert_binary_result_type_wrapperINS9_3SumENS9_22TransformInputIteratorIb7NonZeroIfEPflEElEEEE10hipError_tPvRmT1_T2_T3_mT4_P12ihipStream_tbEUlT_E0_NS1_11comp_targetILNS1_3genE8ELNS1_11target_archE1030ELNS1_3gpuE2ELNS1_3repE0EEENS1_30default_config_static_selectorELNS0_4arch9wavefront6targetE1EEEvSM_: ; @_ZN7rocprim17ROCPRIM_400000_NS6detail17trampoline_kernelINS0_14default_configENS1_22reduce_config_selectorIlEEZNS1_11reduce_implILb1ES3_PlS7_lN6hipcub16HIPCUB_304000_NS6detail34convert_binary_result_type_wrapperINS9_3SumENS9_22TransformInputIteratorIb7NonZeroIfEPflEElEEEE10hipError_tPvRmT1_T2_T3_mT4_P12ihipStream_tbEUlT_E0_NS1_11comp_targetILNS1_3genE8ELNS1_11target_archE1030ELNS1_3gpuE2ELNS1_3repE0EEENS1_30default_config_static_selectorELNS0_4arch9wavefront6targetE1EEEvSM_
; %bb.0:
	.section	.rodata,"a",@progbits
	.p2align	6, 0x0
	.amdhsa_kernel _ZN7rocprim17ROCPRIM_400000_NS6detail17trampoline_kernelINS0_14default_configENS1_22reduce_config_selectorIlEEZNS1_11reduce_implILb1ES3_PlS7_lN6hipcub16HIPCUB_304000_NS6detail34convert_binary_result_type_wrapperINS9_3SumENS9_22TransformInputIteratorIb7NonZeroIfEPflEElEEEE10hipError_tPvRmT1_T2_T3_mT4_P12ihipStream_tbEUlT_E0_NS1_11comp_targetILNS1_3genE8ELNS1_11target_archE1030ELNS1_3gpuE2ELNS1_3repE0EEENS1_30default_config_static_selectorELNS0_4arch9wavefront6targetE1EEEvSM_
		.amdhsa_group_segment_fixed_size 0
		.amdhsa_private_segment_fixed_size 0
		.amdhsa_kernarg_size 64
		.amdhsa_user_sgpr_count 6
		.amdhsa_user_sgpr_private_segment_buffer 1
		.amdhsa_user_sgpr_dispatch_ptr 0
		.amdhsa_user_sgpr_queue_ptr 0
		.amdhsa_user_sgpr_kernarg_segment_ptr 1
		.amdhsa_user_sgpr_dispatch_id 0
		.amdhsa_user_sgpr_flat_scratch_init 0
		.amdhsa_user_sgpr_private_segment_size 0
		.amdhsa_uses_dynamic_stack 0
		.amdhsa_system_sgpr_private_segment_wavefront_offset 0
		.amdhsa_system_sgpr_workgroup_id_x 1
		.amdhsa_system_sgpr_workgroup_id_y 0
		.amdhsa_system_sgpr_workgroup_id_z 0
		.amdhsa_system_sgpr_workgroup_info 0
		.amdhsa_system_vgpr_workitem_id 0
		.amdhsa_next_free_vgpr 1
		.amdhsa_next_free_sgpr 0
		.amdhsa_reserve_vcc 0
		.amdhsa_reserve_flat_scratch 0
		.amdhsa_float_round_mode_32 0
		.amdhsa_float_round_mode_16_64 0
		.amdhsa_float_denorm_mode_32 3
		.amdhsa_float_denorm_mode_16_64 3
		.amdhsa_dx10_clamp 1
		.amdhsa_ieee_mode 1
		.amdhsa_fp16_overflow 0
		.amdhsa_exception_fp_ieee_invalid_op 0
		.amdhsa_exception_fp_denorm_src 0
		.amdhsa_exception_fp_ieee_div_zero 0
		.amdhsa_exception_fp_ieee_overflow 0
		.amdhsa_exception_fp_ieee_underflow 0
		.amdhsa_exception_fp_ieee_inexact 0
		.amdhsa_exception_int_div_zero 0
	.end_amdhsa_kernel
	.section	.text._ZN7rocprim17ROCPRIM_400000_NS6detail17trampoline_kernelINS0_14default_configENS1_22reduce_config_selectorIlEEZNS1_11reduce_implILb1ES3_PlS7_lN6hipcub16HIPCUB_304000_NS6detail34convert_binary_result_type_wrapperINS9_3SumENS9_22TransformInputIteratorIb7NonZeroIfEPflEElEEEE10hipError_tPvRmT1_T2_T3_mT4_P12ihipStream_tbEUlT_E0_NS1_11comp_targetILNS1_3genE8ELNS1_11target_archE1030ELNS1_3gpuE2ELNS1_3repE0EEENS1_30default_config_static_selectorELNS0_4arch9wavefront6targetE1EEEvSM_,"axG",@progbits,_ZN7rocprim17ROCPRIM_400000_NS6detail17trampoline_kernelINS0_14default_configENS1_22reduce_config_selectorIlEEZNS1_11reduce_implILb1ES3_PlS7_lN6hipcub16HIPCUB_304000_NS6detail34convert_binary_result_type_wrapperINS9_3SumENS9_22TransformInputIteratorIb7NonZeroIfEPflEElEEEE10hipError_tPvRmT1_T2_T3_mT4_P12ihipStream_tbEUlT_E0_NS1_11comp_targetILNS1_3genE8ELNS1_11target_archE1030ELNS1_3gpuE2ELNS1_3repE0EEENS1_30default_config_static_selectorELNS0_4arch9wavefront6targetE1EEEvSM_,comdat
.Lfunc_end225:
	.size	_ZN7rocprim17ROCPRIM_400000_NS6detail17trampoline_kernelINS0_14default_configENS1_22reduce_config_selectorIlEEZNS1_11reduce_implILb1ES3_PlS7_lN6hipcub16HIPCUB_304000_NS6detail34convert_binary_result_type_wrapperINS9_3SumENS9_22TransformInputIteratorIb7NonZeroIfEPflEElEEEE10hipError_tPvRmT1_T2_T3_mT4_P12ihipStream_tbEUlT_E0_NS1_11comp_targetILNS1_3genE8ELNS1_11target_archE1030ELNS1_3gpuE2ELNS1_3repE0EEENS1_30default_config_static_selectorELNS0_4arch9wavefront6targetE1EEEvSM_, .Lfunc_end225-_ZN7rocprim17ROCPRIM_400000_NS6detail17trampoline_kernelINS0_14default_configENS1_22reduce_config_selectorIlEEZNS1_11reduce_implILb1ES3_PlS7_lN6hipcub16HIPCUB_304000_NS6detail34convert_binary_result_type_wrapperINS9_3SumENS9_22TransformInputIteratorIb7NonZeroIfEPflEElEEEE10hipError_tPvRmT1_T2_T3_mT4_P12ihipStream_tbEUlT_E0_NS1_11comp_targetILNS1_3genE8ELNS1_11target_archE1030ELNS1_3gpuE2ELNS1_3repE0EEENS1_30default_config_static_selectorELNS0_4arch9wavefront6targetE1EEEvSM_
                                        ; -- End function
	.set _ZN7rocprim17ROCPRIM_400000_NS6detail17trampoline_kernelINS0_14default_configENS1_22reduce_config_selectorIlEEZNS1_11reduce_implILb1ES3_PlS7_lN6hipcub16HIPCUB_304000_NS6detail34convert_binary_result_type_wrapperINS9_3SumENS9_22TransformInputIteratorIb7NonZeroIfEPflEElEEEE10hipError_tPvRmT1_T2_T3_mT4_P12ihipStream_tbEUlT_E0_NS1_11comp_targetILNS1_3genE8ELNS1_11target_archE1030ELNS1_3gpuE2ELNS1_3repE0EEENS1_30default_config_static_selectorELNS0_4arch9wavefront6targetE1EEEvSM_.num_vgpr, 0
	.set _ZN7rocprim17ROCPRIM_400000_NS6detail17trampoline_kernelINS0_14default_configENS1_22reduce_config_selectorIlEEZNS1_11reduce_implILb1ES3_PlS7_lN6hipcub16HIPCUB_304000_NS6detail34convert_binary_result_type_wrapperINS9_3SumENS9_22TransformInputIteratorIb7NonZeroIfEPflEElEEEE10hipError_tPvRmT1_T2_T3_mT4_P12ihipStream_tbEUlT_E0_NS1_11comp_targetILNS1_3genE8ELNS1_11target_archE1030ELNS1_3gpuE2ELNS1_3repE0EEENS1_30default_config_static_selectorELNS0_4arch9wavefront6targetE1EEEvSM_.num_agpr, 0
	.set _ZN7rocprim17ROCPRIM_400000_NS6detail17trampoline_kernelINS0_14default_configENS1_22reduce_config_selectorIlEEZNS1_11reduce_implILb1ES3_PlS7_lN6hipcub16HIPCUB_304000_NS6detail34convert_binary_result_type_wrapperINS9_3SumENS9_22TransformInputIteratorIb7NonZeroIfEPflEElEEEE10hipError_tPvRmT1_T2_T3_mT4_P12ihipStream_tbEUlT_E0_NS1_11comp_targetILNS1_3genE8ELNS1_11target_archE1030ELNS1_3gpuE2ELNS1_3repE0EEENS1_30default_config_static_selectorELNS0_4arch9wavefront6targetE1EEEvSM_.numbered_sgpr, 0
	.set _ZN7rocprim17ROCPRIM_400000_NS6detail17trampoline_kernelINS0_14default_configENS1_22reduce_config_selectorIlEEZNS1_11reduce_implILb1ES3_PlS7_lN6hipcub16HIPCUB_304000_NS6detail34convert_binary_result_type_wrapperINS9_3SumENS9_22TransformInputIteratorIb7NonZeroIfEPflEElEEEE10hipError_tPvRmT1_T2_T3_mT4_P12ihipStream_tbEUlT_E0_NS1_11comp_targetILNS1_3genE8ELNS1_11target_archE1030ELNS1_3gpuE2ELNS1_3repE0EEENS1_30default_config_static_selectorELNS0_4arch9wavefront6targetE1EEEvSM_.num_named_barrier, 0
	.set _ZN7rocprim17ROCPRIM_400000_NS6detail17trampoline_kernelINS0_14default_configENS1_22reduce_config_selectorIlEEZNS1_11reduce_implILb1ES3_PlS7_lN6hipcub16HIPCUB_304000_NS6detail34convert_binary_result_type_wrapperINS9_3SumENS9_22TransformInputIteratorIb7NonZeroIfEPflEElEEEE10hipError_tPvRmT1_T2_T3_mT4_P12ihipStream_tbEUlT_E0_NS1_11comp_targetILNS1_3genE8ELNS1_11target_archE1030ELNS1_3gpuE2ELNS1_3repE0EEENS1_30default_config_static_selectorELNS0_4arch9wavefront6targetE1EEEvSM_.private_seg_size, 0
	.set _ZN7rocprim17ROCPRIM_400000_NS6detail17trampoline_kernelINS0_14default_configENS1_22reduce_config_selectorIlEEZNS1_11reduce_implILb1ES3_PlS7_lN6hipcub16HIPCUB_304000_NS6detail34convert_binary_result_type_wrapperINS9_3SumENS9_22TransformInputIteratorIb7NonZeroIfEPflEElEEEE10hipError_tPvRmT1_T2_T3_mT4_P12ihipStream_tbEUlT_E0_NS1_11comp_targetILNS1_3genE8ELNS1_11target_archE1030ELNS1_3gpuE2ELNS1_3repE0EEENS1_30default_config_static_selectorELNS0_4arch9wavefront6targetE1EEEvSM_.uses_vcc, 0
	.set _ZN7rocprim17ROCPRIM_400000_NS6detail17trampoline_kernelINS0_14default_configENS1_22reduce_config_selectorIlEEZNS1_11reduce_implILb1ES3_PlS7_lN6hipcub16HIPCUB_304000_NS6detail34convert_binary_result_type_wrapperINS9_3SumENS9_22TransformInputIteratorIb7NonZeroIfEPflEElEEEE10hipError_tPvRmT1_T2_T3_mT4_P12ihipStream_tbEUlT_E0_NS1_11comp_targetILNS1_3genE8ELNS1_11target_archE1030ELNS1_3gpuE2ELNS1_3repE0EEENS1_30default_config_static_selectorELNS0_4arch9wavefront6targetE1EEEvSM_.uses_flat_scratch, 0
	.set _ZN7rocprim17ROCPRIM_400000_NS6detail17trampoline_kernelINS0_14default_configENS1_22reduce_config_selectorIlEEZNS1_11reduce_implILb1ES3_PlS7_lN6hipcub16HIPCUB_304000_NS6detail34convert_binary_result_type_wrapperINS9_3SumENS9_22TransformInputIteratorIb7NonZeroIfEPflEElEEEE10hipError_tPvRmT1_T2_T3_mT4_P12ihipStream_tbEUlT_E0_NS1_11comp_targetILNS1_3genE8ELNS1_11target_archE1030ELNS1_3gpuE2ELNS1_3repE0EEENS1_30default_config_static_selectorELNS0_4arch9wavefront6targetE1EEEvSM_.has_dyn_sized_stack, 0
	.set _ZN7rocprim17ROCPRIM_400000_NS6detail17trampoline_kernelINS0_14default_configENS1_22reduce_config_selectorIlEEZNS1_11reduce_implILb1ES3_PlS7_lN6hipcub16HIPCUB_304000_NS6detail34convert_binary_result_type_wrapperINS9_3SumENS9_22TransformInputIteratorIb7NonZeroIfEPflEElEEEE10hipError_tPvRmT1_T2_T3_mT4_P12ihipStream_tbEUlT_E0_NS1_11comp_targetILNS1_3genE8ELNS1_11target_archE1030ELNS1_3gpuE2ELNS1_3repE0EEENS1_30default_config_static_selectorELNS0_4arch9wavefront6targetE1EEEvSM_.has_recursion, 0
	.set _ZN7rocprim17ROCPRIM_400000_NS6detail17trampoline_kernelINS0_14default_configENS1_22reduce_config_selectorIlEEZNS1_11reduce_implILb1ES3_PlS7_lN6hipcub16HIPCUB_304000_NS6detail34convert_binary_result_type_wrapperINS9_3SumENS9_22TransformInputIteratorIb7NonZeroIfEPflEElEEEE10hipError_tPvRmT1_T2_T3_mT4_P12ihipStream_tbEUlT_E0_NS1_11comp_targetILNS1_3genE8ELNS1_11target_archE1030ELNS1_3gpuE2ELNS1_3repE0EEENS1_30default_config_static_selectorELNS0_4arch9wavefront6targetE1EEEvSM_.has_indirect_call, 0
	.section	.AMDGPU.csdata,"",@progbits
; Kernel info:
; codeLenInByte = 0
; TotalNumSgprs: 4
; NumVgprs: 0
; ScratchSize: 0
; MemoryBound: 0
; FloatMode: 240
; IeeeMode: 1
; LDSByteSize: 0 bytes/workgroup (compile time only)
; SGPRBlocks: 0
; VGPRBlocks: 0
; NumSGPRsForWavesPerEU: 4
; NumVGPRsForWavesPerEU: 1
; Occupancy: 10
; WaveLimiterHint : 0
; COMPUTE_PGM_RSRC2:SCRATCH_EN: 0
; COMPUTE_PGM_RSRC2:USER_SGPR: 6
; COMPUTE_PGM_RSRC2:TRAP_HANDLER: 0
; COMPUTE_PGM_RSRC2:TGID_X_EN: 1
; COMPUTE_PGM_RSRC2:TGID_Y_EN: 0
; COMPUTE_PGM_RSRC2:TGID_Z_EN: 0
; COMPUTE_PGM_RSRC2:TIDIG_COMP_CNT: 0
	.section	.text._ZN7rocprim17ROCPRIM_400000_NS6detail17trampoline_kernelINS0_14default_configENS1_22reduce_config_selectorIlEEZNS1_11reduce_implILb1ES3_PlS7_lN6hipcub16HIPCUB_304000_NS6detail34convert_binary_result_type_wrapperINS9_3SumENS9_22TransformInputIteratorIb7NonZeroIfEPflEElEEEE10hipError_tPvRmT1_T2_T3_mT4_P12ihipStream_tbEUlT_E1_NS1_11comp_targetILNS1_3genE0ELNS1_11target_archE4294967295ELNS1_3gpuE0ELNS1_3repE0EEENS1_30default_config_static_selectorELNS0_4arch9wavefront6targetE1EEEvSM_,"axG",@progbits,_ZN7rocprim17ROCPRIM_400000_NS6detail17trampoline_kernelINS0_14default_configENS1_22reduce_config_selectorIlEEZNS1_11reduce_implILb1ES3_PlS7_lN6hipcub16HIPCUB_304000_NS6detail34convert_binary_result_type_wrapperINS9_3SumENS9_22TransformInputIteratorIb7NonZeroIfEPflEElEEEE10hipError_tPvRmT1_T2_T3_mT4_P12ihipStream_tbEUlT_E1_NS1_11comp_targetILNS1_3genE0ELNS1_11target_archE4294967295ELNS1_3gpuE0ELNS1_3repE0EEENS1_30default_config_static_selectorELNS0_4arch9wavefront6targetE1EEEvSM_,comdat
	.protected	_ZN7rocprim17ROCPRIM_400000_NS6detail17trampoline_kernelINS0_14default_configENS1_22reduce_config_selectorIlEEZNS1_11reduce_implILb1ES3_PlS7_lN6hipcub16HIPCUB_304000_NS6detail34convert_binary_result_type_wrapperINS9_3SumENS9_22TransformInputIteratorIb7NonZeroIfEPflEElEEEE10hipError_tPvRmT1_T2_T3_mT4_P12ihipStream_tbEUlT_E1_NS1_11comp_targetILNS1_3genE0ELNS1_11target_archE4294967295ELNS1_3gpuE0ELNS1_3repE0EEENS1_30default_config_static_selectorELNS0_4arch9wavefront6targetE1EEEvSM_ ; -- Begin function _ZN7rocprim17ROCPRIM_400000_NS6detail17trampoline_kernelINS0_14default_configENS1_22reduce_config_selectorIlEEZNS1_11reduce_implILb1ES3_PlS7_lN6hipcub16HIPCUB_304000_NS6detail34convert_binary_result_type_wrapperINS9_3SumENS9_22TransformInputIteratorIb7NonZeroIfEPflEElEEEE10hipError_tPvRmT1_T2_T3_mT4_P12ihipStream_tbEUlT_E1_NS1_11comp_targetILNS1_3genE0ELNS1_11target_archE4294967295ELNS1_3gpuE0ELNS1_3repE0EEENS1_30default_config_static_selectorELNS0_4arch9wavefront6targetE1EEEvSM_
	.globl	_ZN7rocprim17ROCPRIM_400000_NS6detail17trampoline_kernelINS0_14default_configENS1_22reduce_config_selectorIlEEZNS1_11reduce_implILb1ES3_PlS7_lN6hipcub16HIPCUB_304000_NS6detail34convert_binary_result_type_wrapperINS9_3SumENS9_22TransformInputIteratorIb7NonZeroIfEPflEElEEEE10hipError_tPvRmT1_T2_T3_mT4_P12ihipStream_tbEUlT_E1_NS1_11comp_targetILNS1_3genE0ELNS1_11target_archE4294967295ELNS1_3gpuE0ELNS1_3repE0EEENS1_30default_config_static_selectorELNS0_4arch9wavefront6targetE1EEEvSM_
	.p2align	8
	.type	_ZN7rocprim17ROCPRIM_400000_NS6detail17trampoline_kernelINS0_14default_configENS1_22reduce_config_selectorIlEEZNS1_11reduce_implILb1ES3_PlS7_lN6hipcub16HIPCUB_304000_NS6detail34convert_binary_result_type_wrapperINS9_3SumENS9_22TransformInputIteratorIb7NonZeroIfEPflEElEEEE10hipError_tPvRmT1_T2_T3_mT4_P12ihipStream_tbEUlT_E1_NS1_11comp_targetILNS1_3genE0ELNS1_11target_archE4294967295ELNS1_3gpuE0ELNS1_3repE0EEENS1_30default_config_static_selectorELNS0_4arch9wavefront6targetE1EEEvSM_,@function
_ZN7rocprim17ROCPRIM_400000_NS6detail17trampoline_kernelINS0_14default_configENS1_22reduce_config_selectorIlEEZNS1_11reduce_implILb1ES3_PlS7_lN6hipcub16HIPCUB_304000_NS6detail34convert_binary_result_type_wrapperINS9_3SumENS9_22TransformInputIteratorIb7NonZeroIfEPflEElEEEE10hipError_tPvRmT1_T2_T3_mT4_P12ihipStream_tbEUlT_E1_NS1_11comp_targetILNS1_3genE0ELNS1_11target_archE4294967295ELNS1_3gpuE0ELNS1_3repE0EEENS1_30default_config_static_selectorELNS0_4arch9wavefront6targetE1EEEvSM_: ; @_ZN7rocprim17ROCPRIM_400000_NS6detail17trampoline_kernelINS0_14default_configENS1_22reduce_config_selectorIlEEZNS1_11reduce_implILb1ES3_PlS7_lN6hipcub16HIPCUB_304000_NS6detail34convert_binary_result_type_wrapperINS9_3SumENS9_22TransformInputIteratorIb7NonZeroIfEPflEElEEEE10hipError_tPvRmT1_T2_T3_mT4_P12ihipStream_tbEUlT_E1_NS1_11comp_targetILNS1_3genE0ELNS1_11target_archE4294967295ELNS1_3gpuE0ELNS1_3repE0EEENS1_30default_config_static_selectorELNS0_4arch9wavefront6targetE1EEEvSM_
; %bb.0:
	.section	.rodata,"a",@progbits
	.p2align	6, 0x0
	.amdhsa_kernel _ZN7rocprim17ROCPRIM_400000_NS6detail17trampoline_kernelINS0_14default_configENS1_22reduce_config_selectorIlEEZNS1_11reduce_implILb1ES3_PlS7_lN6hipcub16HIPCUB_304000_NS6detail34convert_binary_result_type_wrapperINS9_3SumENS9_22TransformInputIteratorIb7NonZeroIfEPflEElEEEE10hipError_tPvRmT1_T2_T3_mT4_P12ihipStream_tbEUlT_E1_NS1_11comp_targetILNS1_3genE0ELNS1_11target_archE4294967295ELNS1_3gpuE0ELNS1_3repE0EEENS1_30default_config_static_selectorELNS0_4arch9wavefront6targetE1EEEvSM_
		.amdhsa_group_segment_fixed_size 0
		.amdhsa_private_segment_fixed_size 0
		.amdhsa_kernarg_size 48
		.amdhsa_user_sgpr_count 6
		.amdhsa_user_sgpr_private_segment_buffer 1
		.amdhsa_user_sgpr_dispatch_ptr 0
		.amdhsa_user_sgpr_queue_ptr 0
		.amdhsa_user_sgpr_kernarg_segment_ptr 1
		.amdhsa_user_sgpr_dispatch_id 0
		.amdhsa_user_sgpr_flat_scratch_init 0
		.amdhsa_user_sgpr_private_segment_size 0
		.amdhsa_uses_dynamic_stack 0
		.amdhsa_system_sgpr_private_segment_wavefront_offset 0
		.amdhsa_system_sgpr_workgroup_id_x 1
		.amdhsa_system_sgpr_workgroup_id_y 0
		.amdhsa_system_sgpr_workgroup_id_z 0
		.amdhsa_system_sgpr_workgroup_info 0
		.amdhsa_system_vgpr_workitem_id 0
		.amdhsa_next_free_vgpr 1
		.amdhsa_next_free_sgpr 0
		.amdhsa_reserve_vcc 0
		.amdhsa_reserve_flat_scratch 0
		.amdhsa_float_round_mode_32 0
		.amdhsa_float_round_mode_16_64 0
		.amdhsa_float_denorm_mode_32 3
		.amdhsa_float_denorm_mode_16_64 3
		.amdhsa_dx10_clamp 1
		.amdhsa_ieee_mode 1
		.amdhsa_fp16_overflow 0
		.amdhsa_exception_fp_ieee_invalid_op 0
		.amdhsa_exception_fp_denorm_src 0
		.amdhsa_exception_fp_ieee_div_zero 0
		.amdhsa_exception_fp_ieee_overflow 0
		.amdhsa_exception_fp_ieee_underflow 0
		.amdhsa_exception_fp_ieee_inexact 0
		.amdhsa_exception_int_div_zero 0
	.end_amdhsa_kernel
	.section	.text._ZN7rocprim17ROCPRIM_400000_NS6detail17trampoline_kernelINS0_14default_configENS1_22reduce_config_selectorIlEEZNS1_11reduce_implILb1ES3_PlS7_lN6hipcub16HIPCUB_304000_NS6detail34convert_binary_result_type_wrapperINS9_3SumENS9_22TransformInputIteratorIb7NonZeroIfEPflEElEEEE10hipError_tPvRmT1_T2_T3_mT4_P12ihipStream_tbEUlT_E1_NS1_11comp_targetILNS1_3genE0ELNS1_11target_archE4294967295ELNS1_3gpuE0ELNS1_3repE0EEENS1_30default_config_static_selectorELNS0_4arch9wavefront6targetE1EEEvSM_,"axG",@progbits,_ZN7rocprim17ROCPRIM_400000_NS6detail17trampoline_kernelINS0_14default_configENS1_22reduce_config_selectorIlEEZNS1_11reduce_implILb1ES3_PlS7_lN6hipcub16HIPCUB_304000_NS6detail34convert_binary_result_type_wrapperINS9_3SumENS9_22TransformInputIteratorIb7NonZeroIfEPflEElEEEE10hipError_tPvRmT1_T2_T3_mT4_P12ihipStream_tbEUlT_E1_NS1_11comp_targetILNS1_3genE0ELNS1_11target_archE4294967295ELNS1_3gpuE0ELNS1_3repE0EEENS1_30default_config_static_selectorELNS0_4arch9wavefront6targetE1EEEvSM_,comdat
.Lfunc_end226:
	.size	_ZN7rocprim17ROCPRIM_400000_NS6detail17trampoline_kernelINS0_14default_configENS1_22reduce_config_selectorIlEEZNS1_11reduce_implILb1ES3_PlS7_lN6hipcub16HIPCUB_304000_NS6detail34convert_binary_result_type_wrapperINS9_3SumENS9_22TransformInputIteratorIb7NonZeroIfEPflEElEEEE10hipError_tPvRmT1_T2_T3_mT4_P12ihipStream_tbEUlT_E1_NS1_11comp_targetILNS1_3genE0ELNS1_11target_archE4294967295ELNS1_3gpuE0ELNS1_3repE0EEENS1_30default_config_static_selectorELNS0_4arch9wavefront6targetE1EEEvSM_, .Lfunc_end226-_ZN7rocprim17ROCPRIM_400000_NS6detail17trampoline_kernelINS0_14default_configENS1_22reduce_config_selectorIlEEZNS1_11reduce_implILb1ES3_PlS7_lN6hipcub16HIPCUB_304000_NS6detail34convert_binary_result_type_wrapperINS9_3SumENS9_22TransformInputIteratorIb7NonZeroIfEPflEElEEEE10hipError_tPvRmT1_T2_T3_mT4_P12ihipStream_tbEUlT_E1_NS1_11comp_targetILNS1_3genE0ELNS1_11target_archE4294967295ELNS1_3gpuE0ELNS1_3repE0EEENS1_30default_config_static_selectorELNS0_4arch9wavefront6targetE1EEEvSM_
                                        ; -- End function
	.set _ZN7rocprim17ROCPRIM_400000_NS6detail17trampoline_kernelINS0_14default_configENS1_22reduce_config_selectorIlEEZNS1_11reduce_implILb1ES3_PlS7_lN6hipcub16HIPCUB_304000_NS6detail34convert_binary_result_type_wrapperINS9_3SumENS9_22TransformInputIteratorIb7NonZeroIfEPflEElEEEE10hipError_tPvRmT1_T2_T3_mT4_P12ihipStream_tbEUlT_E1_NS1_11comp_targetILNS1_3genE0ELNS1_11target_archE4294967295ELNS1_3gpuE0ELNS1_3repE0EEENS1_30default_config_static_selectorELNS0_4arch9wavefront6targetE1EEEvSM_.num_vgpr, 0
	.set _ZN7rocprim17ROCPRIM_400000_NS6detail17trampoline_kernelINS0_14default_configENS1_22reduce_config_selectorIlEEZNS1_11reduce_implILb1ES3_PlS7_lN6hipcub16HIPCUB_304000_NS6detail34convert_binary_result_type_wrapperINS9_3SumENS9_22TransformInputIteratorIb7NonZeroIfEPflEElEEEE10hipError_tPvRmT1_T2_T3_mT4_P12ihipStream_tbEUlT_E1_NS1_11comp_targetILNS1_3genE0ELNS1_11target_archE4294967295ELNS1_3gpuE0ELNS1_3repE0EEENS1_30default_config_static_selectorELNS0_4arch9wavefront6targetE1EEEvSM_.num_agpr, 0
	.set _ZN7rocprim17ROCPRIM_400000_NS6detail17trampoline_kernelINS0_14default_configENS1_22reduce_config_selectorIlEEZNS1_11reduce_implILb1ES3_PlS7_lN6hipcub16HIPCUB_304000_NS6detail34convert_binary_result_type_wrapperINS9_3SumENS9_22TransformInputIteratorIb7NonZeroIfEPflEElEEEE10hipError_tPvRmT1_T2_T3_mT4_P12ihipStream_tbEUlT_E1_NS1_11comp_targetILNS1_3genE0ELNS1_11target_archE4294967295ELNS1_3gpuE0ELNS1_3repE0EEENS1_30default_config_static_selectorELNS0_4arch9wavefront6targetE1EEEvSM_.numbered_sgpr, 0
	.set _ZN7rocprim17ROCPRIM_400000_NS6detail17trampoline_kernelINS0_14default_configENS1_22reduce_config_selectorIlEEZNS1_11reduce_implILb1ES3_PlS7_lN6hipcub16HIPCUB_304000_NS6detail34convert_binary_result_type_wrapperINS9_3SumENS9_22TransformInputIteratorIb7NonZeroIfEPflEElEEEE10hipError_tPvRmT1_T2_T3_mT4_P12ihipStream_tbEUlT_E1_NS1_11comp_targetILNS1_3genE0ELNS1_11target_archE4294967295ELNS1_3gpuE0ELNS1_3repE0EEENS1_30default_config_static_selectorELNS0_4arch9wavefront6targetE1EEEvSM_.num_named_barrier, 0
	.set _ZN7rocprim17ROCPRIM_400000_NS6detail17trampoline_kernelINS0_14default_configENS1_22reduce_config_selectorIlEEZNS1_11reduce_implILb1ES3_PlS7_lN6hipcub16HIPCUB_304000_NS6detail34convert_binary_result_type_wrapperINS9_3SumENS9_22TransformInputIteratorIb7NonZeroIfEPflEElEEEE10hipError_tPvRmT1_T2_T3_mT4_P12ihipStream_tbEUlT_E1_NS1_11comp_targetILNS1_3genE0ELNS1_11target_archE4294967295ELNS1_3gpuE0ELNS1_3repE0EEENS1_30default_config_static_selectorELNS0_4arch9wavefront6targetE1EEEvSM_.private_seg_size, 0
	.set _ZN7rocprim17ROCPRIM_400000_NS6detail17trampoline_kernelINS0_14default_configENS1_22reduce_config_selectorIlEEZNS1_11reduce_implILb1ES3_PlS7_lN6hipcub16HIPCUB_304000_NS6detail34convert_binary_result_type_wrapperINS9_3SumENS9_22TransformInputIteratorIb7NonZeroIfEPflEElEEEE10hipError_tPvRmT1_T2_T3_mT4_P12ihipStream_tbEUlT_E1_NS1_11comp_targetILNS1_3genE0ELNS1_11target_archE4294967295ELNS1_3gpuE0ELNS1_3repE0EEENS1_30default_config_static_selectorELNS0_4arch9wavefront6targetE1EEEvSM_.uses_vcc, 0
	.set _ZN7rocprim17ROCPRIM_400000_NS6detail17trampoline_kernelINS0_14default_configENS1_22reduce_config_selectorIlEEZNS1_11reduce_implILb1ES3_PlS7_lN6hipcub16HIPCUB_304000_NS6detail34convert_binary_result_type_wrapperINS9_3SumENS9_22TransformInputIteratorIb7NonZeroIfEPflEElEEEE10hipError_tPvRmT1_T2_T3_mT4_P12ihipStream_tbEUlT_E1_NS1_11comp_targetILNS1_3genE0ELNS1_11target_archE4294967295ELNS1_3gpuE0ELNS1_3repE0EEENS1_30default_config_static_selectorELNS0_4arch9wavefront6targetE1EEEvSM_.uses_flat_scratch, 0
	.set _ZN7rocprim17ROCPRIM_400000_NS6detail17trampoline_kernelINS0_14default_configENS1_22reduce_config_selectorIlEEZNS1_11reduce_implILb1ES3_PlS7_lN6hipcub16HIPCUB_304000_NS6detail34convert_binary_result_type_wrapperINS9_3SumENS9_22TransformInputIteratorIb7NonZeroIfEPflEElEEEE10hipError_tPvRmT1_T2_T3_mT4_P12ihipStream_tbEUlT_E1_NS1_11comp_targetILNS1_3genE0ELNS1_11target_archE4294967295ELNS1_3gpuE0ELNS1_3repE0EEENS1_30default_config_static_selectorELNS0_4arch9wavefront6targetE1EEEvSM_.has_dyn_sized_stack, 0
	.set _ZN7rocprim17ROCPRIM_400000_NS6detail17trampoline_kernelINS0_14default_configENS1_22reduce_config_selectorIlEEZNS1_11reduce_implILb1ES3_PlS7_lN6hipcub16HIPCUB_304000_NS6detail34convert_binary_result_type_wrapperINS9_3SumENS9_22TransformInputIteratorIb7NonZeroIfEPflEElEEEE10hipError_tPvRmT1_T2_T3_mT4_P12ihipStream_tbEUlT_E1_NS1_11comp_targetILNS1_3genE0ELNS1_11target_archE4294967295ELNS1_3gpuE0ELNS1_3repE0EEENS1_30default_config_static_selectorELNS0_4arch9wavefront6targetE1EEEvSM_.has_recursion, 0
	.set _ZN7rocprim17ROCPRIM_400000_NS6detail17trampoline_kernelINS0_14default_configENS1_22reduce_config_selectorIlEEZNS1_11reduce_implILb1ES3_PlS7_lN6hipcub16HIPCUB_304000_NS6detail34convert_binary_result_type_wrapperINS9_3SumENS9_22TransformInputIteratorIb7NonZeroIfEPflEElEEEE10hipError_tPvRmT1_T2_T3_mT4_P12ihipStream_tbEUlT_E1_NS1_11comp_targetILNS1_3genE0ELNS1_11target_archE4294967295ELNS1_3gpuE0ELNS1_3repE0EEENS1_30default_config_static_selectorELNS0_4arch9wavefront6targetE1EEEvSM_.has_indirect_call, 0
	.section	.AMDGPU.csdata,"",@progbits
; Kernel info:
; codeLenInByte = 0
; TotalNumSgprs: 4
; NumVgprs: 0
; ScratchSize: 0
; MemoryBound: 0
; FloatMode: 240
; IeeeMode: 1
; LDSByteSize: 0 bytes/workgroup (compile time only)
; SGPRBlocks: 0
; VGPRBlocks: 0
; NumSGPRsForWavesPerEU: 4
; NumVGPRsForWavesPerEU: 1
; Occupancy: 10
; WaveLimiterHint : 0
; COMPUTE_PGM_RSRC2:SCRATCH_EN: 0
; COMPUTE_PGM_RSRC2:USER_SGPR: 6
; COMPUTE_PGM_RSRC2:TRAP_HANDLER: 0
; COMPUTE_PGM_RSRC2:TGID_X_EN: 1
; COMPUTE_PGM_RSRC2:TGID_Y_EN: 0
; COMPUTE_PGM_RSRC2:TGID_Z_EN: 0
; COMPUTE_PGM_RSRC2:TIDIG_COMP_CNT: 0
	.section	.text._ZN7rocprim17ROCPRIM_400000_NS6detail17trampoline_kernelINS0_14default_configENS1_22reduce_config_selectorIlEEZNS1_11reduce_implILb1ES3_PlS7_lN6hipcub16HIPCUB_304000_NS6detail34convert_binary_result_type_wrapperINS9_3SumENS9_22TransformInputIteratorIb7NonZeroIfEPflEElEEEE10hipError_tPvRmT1_T2_T3_mT4_P12ihipStream_tbEUlT_E1_NS1_11comp_targetILNS1_3genE5ELNS1_11target_archE942ELNS1_3gpuE9ELNS1_3repE0EEENS1_30default_config_static_selectorELNS0_4arch9wavefront6targetE1EEEvSM_,"axG",@progbits,_ZN7rocprim17ROCPRIM_400000_NS6detail17trampoline_kernelINS0_14default_configENS1_22reduce_config_selectorIlEEZNS1_11reduce_implILb1ES3_PlS7_lN6hipcub16HIPCUB_304000_NS6detail34convert_binary_result_type_wrapperINS9_3SumENS9_22TransformInputIteratorIb7NonZeroIfEPflEElEEEE10hipError_tPvRmT1_T2_T3_mT4_P12ihipStream_tbEUlT_E1_NS1_11comp_targetILNS1_3genE5ELNS1_11target_archE942ELNS1_3gpuE9ELNS1_3repE0EEENS1_30default_config_static_selectorELNS0_4arch9wavefront6targetE1EEEvSM_,comdat
	.protected	_ZN7rocprim17ROCPRIM_400000_NS6detail17trampoline_kernelINS0_14default_configENS1_22reduce_config_selectorIlEEZNS1_11reduce_implILb1ES3_PlS7_lN6hipcub16HIPCUB_304000_NS6detail34convert_binary_result_type_wrapperINS9_3SumENS9_22TransformInputIteratorIb7NonZeroIfEPflEElEEEE10hipError_tPvRmT1_T2_T3_mT4_P12ihipStream_tbEUlT_E1_NS1_11comp_targetILNS1_3genE5ELNS1_11target_archE942ELNS1_3gpuE9ELNS1_3repE0EEENS1_30default_config_static_selectorELNS0_4arch9wavefront6targetE1EEEvSM_ ; -- Begin function _ZN7rocprim17ROCPRIM_400000_NS6detail17trampoline_kernelINS0_14default_configENS1_22reduce_config_selectorIlEEZNS1_11reduce_implILb1ES3_PlS7_lN6hipcub16HIPCUB_304000_NS6detail34convert_binary_result_type_wrapperINS9_3SumENS9_22TransformInputIteratorIb7NonZeroIfEPflEElEEEE10hipError_tPvRmT1_T2_T3_mT4_P12ihipStream_tbEUlT_E1_NS1_11comp_targetILNS1_3genE5ELNS1_11target_archE942ELNS1_3gpuE9ELNS1_3repE0EEENS1_30default_config_static_selectorELNS0_4arch9wavefront6targetE1EEEvSM_
	.globl	_ZN7rocprim17ROCPRIM_400000_NS6detail17trampoline_kernelINS0_14default_configENS1_22reduce_config_selectorIlEEZNS1_11reduce_implILb1ES3_PlS7_lN6hipcub16HIPCUB_304000_NS6detail34convert_binary_result_type_wrapperINS9_3SumENS9_22TransformInputIteratorIb7NonZeroIfEPflEElEEEE10hipError_tPvRmT1_T2_T3_mT4_P12ihipStream_tbEUlT_E1_NS1_11comp_targetILNS1_3genE5ELNS1_11target_archE942ELNS1_3gpuE9ELNS1_3repE0EEENS1_30default_config_static_selectorELNS0_4arch9wavefront6targetE1EEEvSM_
	.p2align	8
	.type	_ZN7rocprim17ROCPRIM_400000_NS6detail17trampoline_kernelINS0_14default_configENS1_22reduce_config_selectorIlEEZNS1_11reduce_implILb1ES3_PlS7_lN6hipcub16HIPCUB_304000_NS6detail34convert_binary_result_type_wrapperINS9_3SumENS9_22TransformInputIteratorIb7NonZeroIfEPflEElEEEE10hipError_tPvRmT1_T2_T3_mT4_P12ihipStream_tbEUlT_E1_NS1_11comp_targetILNS1_3genE5ELNS1_11target_archE942ELNS1_3gpuE9ELNS1_3repE0EEENS1_30default_config_static_selectorELNS0_4arch9wavefront6targetE1EEEvSM_,@function
_ZN7rocprim17ROCPRIM_400000_NS6detail17trampoline_kernelINS0_14default_configENS1_22reduce_config_selectorIlEEZNS1_11reduce_implILb1ES3_PlS7_lN6hipcub16HIPCUB_304000_NS6detail34convert_binary_result_type_wrapperINS9_3SumENS9_22TransformInputIteratorIb7NonZeroIfEPflEElEEEE10hipError_tPvRmT1_T2_T3_mT4_P12ihipStream_tbEUlT_E1_NS1_11comp_targetILNS1_3genE5ELNS1_11target_archE942ELNS1_3gpuE9ELNS1_3repE0EEENS1_30default_config_static_selectorELNS0_4arch9wavefront6targetE1EEEvSM_: ; @_ZN7rocprim17ROCPRIM_400000_NS6detail17trampoline_kernelINS0_14default_configENS1_22reduce_config_selectorIlEEZNS1_11reduce_implILb1ES3_PlS7_lN6hipcub16HIPCUB_304000_NS6detail34convert_binary_result_type_wrapperINS9_3SumENS9_22TransformInputIteratorIb7NonZeroIfEPflEElEEEE10hipError_tPvRmT1_T2_T3_mT4_P12ihipStream_tbEUlT_E1_NS1_11comp_targetILNS1_3genE5ELNS1_11target_archE942ELNS1_3gpuE9ELNS1_3repE0EEENS1_30default_config_static_selectorELNS0_4arch9wavefront6targetE1EEEvSM_
; %bb.0:
	.section	.rodata,"a",@progbits
	.p2align	6, 0x0
	.amdhsa_kernel _ZN7rocprim17ROCPRIM_400000_NS6detail17trampoline_kernelINS0_14default_configENS1_22reduce_config_selectorIlEEZNS1_11reduce_implILb1ES3_PlS7_lN6hipcub16HIPCUB_304000_NS6detail34convert_binary_result_type_wrapperINS9_3SumENS9_22TransformInputIteratorIb7NonZeroIfEPflEElEEEE10hipError_tPvRmT1_T2_T3_mT4_P12ihipStream_tbEUlT_E1_NS1_11comp_targetILNS1_3genE5ELNS1_11target_archE942ELNS1_3gpuE9ELNS1_3repE0EEENS1_30default_config_static_selectorELNS0_4arch9wavefront6targetE1EEEvSM_
		.amdhsa_group_segment_fixed_size 0
		.amdhsa_private_segment_fixed_size 0
		.amdhsa_kernarg_size 48
		.amdhsa_user_sgpr_count 6
		.amdhsa_user_sgpr_private_segment_buffer 1
		.amdhsa_user_sgpr_dispatch_ptr 0
		.amdhsa_user_sgpr_queue_ptr 0
		.amdhsa_user_sgpr_kernarg_segment_ptr 1
		.amdhsa_user_sgpr_dispatch_id 0
		.amdhsa_user_sgpr_flat_scratch_init 0
		.amdhsa_user_sgpr_private_segment_size 0
		.amdhsa_uses_dynamic_stack 0
		.amdhsa_system_sgpr_private_segment_wavefront_offset 0
		.amdhsa_system_sgpr_workgroup_id_x 1
		.amdhsa_system_sgpr_workgroup_id_y 0
		.amdhsa_system_sgpr_workgroup_id_z 0
		.amdhsa_system_sgpr_workgroup_info 0
		.amdhsa_system_vgpr_workitem_id 0
		.amdhsa_next_free_vgpr 1
		.amdhsa_next_free_sgpr 0
		.amdhsa_reserve_vcc 0
		.amdhsa_reserve_flat_scratch 0
		.amdhsa_float_round_mode_32 0
		.amdhsa_float_round_mode_16_64 0
		.amdhsa_float_denorm_mode_32 3
		.amdhsa_float_denorm_mode_16_64 3
		.amdhsa_dx10_clamp 1
		.amdhsa_ieee_mode 1
		.amdhsa_fp16_overflow 0
		.amdhsa_exception_fp_ieee_invalid_op 0
		.amdhsa_exception_fp_denorm_src 0
		.amdhsa_exception_fp_ieee_div_zero 0
		.amdhsa_exception_fp_ieee_overflow 0
		.amdhsa_exception_fp_ieee_underflow 0
		.amdhsa_exception_fp_ieee_inexact 0
		.amdhsa_exception_int_div_zero 0
	.end_amdhsa_kernel
	.section	.text._ZN7rocprim17ROCPRIM_400000_NS6detail17trampoline_kernelINS0_14default_configENS1_22reduce_config_selectorIlEEZNS1_11reduce_implILb1ES3_PlS7_lN6hipcub16HIPCUB_304000_NS6detail34convert_binary_result_type_wrapperINS9_3SumENS9_22TransformInputIteratorIb7NonZeroIfEPflEElEEEE10hipError_tPvRmT1_T2_T3_mT4_P12ihipStream_tbEUlT_E1_NS1_11comp_targetILNS1_3genE5ELNS1_11target_archE942ELNS1_3gpuE9ELNS1_3repE0EEENS1_30default_config_static_selectorELNS0_4arch9wavefront6targetE1EEEvSM_,"axG",@progbits,_ZN7rocprim17ROCPRIM_400000_NS6detail17trampoline_kernelINS0_14default_configENS1_22reduce_config_selectorIlEEZNS1_11reduce_implILb1ES3_PlS7_lN6hipcub16HIPCUB_304000_NS6detail34convert_binary_result_type_wrapperINS9_3SumENS9_22TransformInputIteratorIb7NonZeroIfEPflEElEEEE10hipError_tPvRmT1_T2_T3_mT4_P12ihipStream_tbEUlT_E1_NS1_11comp_targetILNS1_3genE5ELNS1_11target_archE942ELNS1_3gpuE9ELNS1_3repE0EEENS1_30default_config_static_selectorELNS0_4arch9wavefront6targetE1EEEvSM_,comdat
.Lfunc_end227:
	.size	_ZN7rocprim17ROCPRIM_400000_NS6detail17trampoline_kernelINS0_14default_configENS1_22reduce_config_selectorIlEEZNS1_11reduce_implILb1ES3_PlS7_lN6hipcub16HIPCUB_304000_NS6detail34convert_binary_result_type_wrapperINS9_3SumENS9_22TransformInputIteratorIb7NonZeroIfEPflEElEEEE10hipError_tPvRmT1_T2_T3_mT4_P12ihipStream_tbEUlT_E1_NS1_11comp_targetILNS1_3genE5ELNS1_11target_archE942ELNS1_3gpuE9ELNS1_3repE0EEENS1_30default_config_static_selectorELNS0_4arch9wavefront6targetE1EEEvSM_, .Lfunc_end227-_ZN7rocprim17ROCPRIM_400000_NS6detail17trampoline_kernelINS0_14default_configENS1_22reduce_config_selectorIlEEZNS1_11reduce_implILb1ES3_PlS7_lN6hipcub16HIPCUB_304000_NS6detail34convert_binary_result_type_wrapperINS9_3SumENS9_22TransformInputIteratorIb7NonZeroIfEPflEElEEEE10hipError_tPvRmT1_T2_T3_mT4_P12ihipStream_tbEUlT_E1_NS1_11comp_targetILNS1_3genE5ELNS1_11target_archE942ELNS1_3gpuE9ELNS1_3repE0EEENS1_30default_config_static_selectorELNS0_4arch9wavefront6targetE1EEEvSM_
                                        ; -- End function
	.set _ZN7rocprim17ROCPRIM_400000_NS6detail17trampoline_kernelINS0_14default_configENS1_22reduce_config_selectorIlEEZNS1_11reduce_implILb1ES3_PlS7_lN6hipcub16HIPCUB_304000_NS6detail34convert_binary_result_type_wrapperINS9_3SumENS9_22TransformInputIteratorIb7NonZeroIfEPflEElEEEE10hipError_tPvRmT1_T2_T3_mT4_P12ihipStream_tbEUlT_E1_NS1_11comp_targetILNS1_3genE5ELNS1_11target_archE942ELNS1_3gpuE9ELNS1_3repE0EEENS1_30default_config_static_selectorELNS0_4arch9wavefront6targetE1EEEvSM_.num_vgpr, 0
	.set _ZN7rocprim17ROCPRIM_400000_NS6detail17trampoline_kernelINS0_14default_configENS1_22reduce_config_selectorIlEEZNS1_11reduce_implILb1ES3_PlS7_lN6hipcub16HIPCUB_304000_NS6detail34convert_binary_result_type_wrapperINS9_3SumENS9_22TransformInputIteratorIb7NonZeroIfEPflEElEEEE10hipError_tPvRmT1_T2_T3_mT4_P12ihipStream_tbEUlT_E1_NS1_11comp_targetILNS1_3genE5ELNS1_11target_archE942ELNS1_3gpuE9ELNS1_3repE0EEENS1_30default_config_static_selectorELNS0_4arch9wavefront6targetE1EEEvSM_.num_agpr, 0
	.set _ZN7rocprim17ROCPRIM_400000_NS6detail17trampoline_kernelINS0_14default_configENS1_22reduce_config_selectorIlEEZNS1_11reduce_implILb1ES3_PlS7_lN6hipcub16HIPCUB_304000_NS6detail34convert_binary_result_type_wrapperINS9_3SumENS9_22TransformInputIteratorIb7NonZeroIfEPflEElEEEE10hipError_tPvRmT1_T2_T3_mT4_P12ihipStream_tbEUlT_E1_NS1_11comp_targetILNS1_3genE5ELNS1_11target_archE942ELNS1_3gpuE9ELNS1_3repE0EEENS1_30default_config_static_selectorELNS0_4arch9wavefront6targetE1EEEvSM_.numbered_sgpr, 0
	.set _ZN7rocprim17ROCPRIM_400000_NS6detail17trampoline_kernelINS0_14default_configENS1_22reduce_config_selectorIlEEZNS1_11reduce_implILb1ES3_PlS7_lN6hipcub16HIPCUB_304000_NS6detail34convert_binary_result_type_wrapperINS9_3SumENS9_22TransformInputIteratorIb7NonZeroIfEPflEElEEEE10hipError_tPvRmT1_T2_T3_mT4_P12ihipStream_tbEUlT_E1_NS1_11comp_targetILNS1_3genE5ELNS1_11target_archE942ELNS1_3gpuE9ELNS1_3repE0EEENS1_30default_config_static_selectorELNS0_4arch9wavefront6targetE1EEEvSM_.num_named_barrier, 0
	.set _ZN7rocprim17ROCPRIM_400000_NS6detail17trampoline_kernelINS0_14default_configENS1_22reduce_config_selectorIlEEZNS1_11reduce_implILb1ES3_PlS7_lN6hipcub16HIPCUB_304000_NS6detail34convert_binary_result_type_wrapperINS9_3SumENS9_22TransformInputIteratorIb7NonZeroIfEPflEElEEEE10hipError_tPvRmT1_T2_T3_mT4_P12ihipStream_tbEUlT_E1_NS1_11comp_targetILNS1_3genE5ELNS1_11target_archE942ELNS1_3gpuE9ELNS1_3repE0EEENS1_30default_config_static_selectorELNS0_4arch9wavefront6targetE1EEEvSM_.private_seg_size, 0
	.set _ZN7rocprim17ROCPRIM_400000_NS6detail17trampoline_kernelINS0_14default_configENS1_22reduce_config_selectorIlEEZNS1_11reduce_implILb1ES3_PlS7_lN6hipcub16HIPCUB_304000_NS6detail34convert_binary_result_type_wrapperINS9_3SumENS9_22TransformInputIteratorIb7NonZeroIfEPflEElEEEE10hipError_tPvRmT1_T2_T3_mT4_P12ihipStream_tbEUlT_E1_NS1_11comp_targetILNS1_3genE5ELNS1_11target_archE942ELNS1_3gpuE9ELNS1_3repE0EEENS1_30default_config_static_selectorELNS0_4arch9wavefront6targetE1EEEvSM_.uses_vcc, 0
	.set _ZN7rocprim17ROCPRIM_400000_NS6detail17trampoline_kernelINS0_14default_configENS1_22reduce_config_selectorIlEEZNS1_11reduce_implILb1ES3_PlS7_lN6hipcub16HIPCUB_304000_NS6detail34convert_binary_result_type_wrapperINS9_3SumENS9_22TransformInputIteratorIb7NonZeroIfEPflEElEEEE10hipError_tPvRmT1_T2_T3_mT4_P12ihipStream_tbEUlT_E1_NS1_11comp_targetILNS1_3genE5ELNS1_11target_archE942ELNS1_3gpuE9ELNS1_3repE0EEENS1_30default_config_static_selectorELNS0_4arch9wavefront6targetE1EEEvSM_.uses_flat_scratch, 0
	.set _ZN7rocprim17ROCPRIM_400000_NS6detail17trampoline_kernelINS0_14default_configENS1_22reduce_config_selectorIlEEZNS1_11reduce_implILb1ES3_PlS7_lN6hipcub16HIPCUB_304000_NS6detail34convert_binary_result_type_wrapperINS9_3SumENS9_22TransformInputIteratorIb7NonZeroIfEPflEElEEEE10hipError_tPvRmT1_T2_T3_mT4_P12ihipStream_tbEUlT_E1_NS1_11comp_targetILNS1_3genE5ELNS1_11target_archE942ELNS1_3gpuE9ELNS1_3repE0EEENS1_30default_config_static_selectorELNS0_4arch9wavefront6targetE1EEEvSM_.has_dyn_sized_stack, 0
	.set _ZN7rocprim17ROCPRIM_400000_NS6detail17trampoline_kernelINS0_14default_configENS1_22reduce_config_selectorIlEEZNS1_11reduce_implILb1ES3_PlS7_lN6hipcub16HIPCUB_304000_NS6detail34convert_binary_result_type_wrapperINS9_3SumENS9_22TransformInputIteratorIb7NonZeroIfEPflEElEEEE10hipError_tPvRmT1_T2_T3_mT4_P12ihipStream_tbEUlT_E1_NS1_11comp_targetILNS1_3genE5ELNS1_11target_archE942ELNS1_3gpuE9ELNS1_3repE0EEENS1_30default_config_static_selectorELNS0_4arch9wavefront6targetE1EEEvSM_.has_recursion, 0
	.set _ZN7rocprim17ROCPRIM_400000_NS6detail17trampoline_kernelINS0_14default_configENS1_22reduce_config_selectorIlEEZNS1_11reduce_implILb1ES3_PlS7_lN6hipcub16HIPCUB_304000_NS6detail34convert_binary_result_type_wrapperINS9_3SumENS9_22TransformInputIteratorIb7NonZeroIfEPflEElEEEE10hipError_tPvRmT1_T2_T3_mT4_P12ihipStream_tbEUlT_E1_NS1_11comp_targetILNS1_3genE5ELNS1_11target_archE942ELNS1_3gpuE9ELNS1_3repE0EEENS1_30default_config_static_selectorELNS0_4arch9wavefront6targetE1EEEvSM_.has_indirect_call, 0
	.section	.AMDGPU.csdata,"",@progbits
; Kernel info:
; codeLenInByte = 0
; TotalNumSgprs: 4
; NumVgprs: 0
; ScratchSize: 0
; MemoryBound: 0
; FloatMode: 240
; IeeeMode: 1
; LDSByteSize: 0 bytes/workgroup (compile time only)
; SGPRBlocks: 0
; VGPRBlocks: 0
; NumSGPRsForWavesPerEU: 4
; NumVGPRsForWavesPerEU: 1
; Occupancy: 10
; WaveLimiterHint : 0
; COMPUTE_PGM_RSRC2:SCRATCH_EN: 0
; COMPUTE_PGM_RSRC2:USER_SGPR: 6
; COMPUTE_PGM_RSRC2:TRAP_HANDLER: 0
; COMPUTE_PGM_RSRC2:TGID_X_EN: 1
; COMPUTE_PGM_RSRC2:TGID_Y_EN: 0
; COMPUTE_PGM_RSRC2:TGID_Z_EN: 0
; COMPUTE_PGM_RSRC2:TIDIG_COMP_CNT: 0
	.section	.text._ZN7rocprim17ROCPRIM_400000_NS6detail17trampoline_kernelINS0_14default_configENS1_22reduce_config_selectorIlEEZNS1_11reduce_implILb1ES3_PlS7_lN6hipcub16HIPCUB_304000_NS6detail34convert_binary_result_type_wrapperINS9_3SumENS9_22TransformInputIteratorIb7NonZeroIfEPflEElEEEE10hipError_tPvRmT1_T2_T3_mT4_P12ihipStream_tbEUlT_E1_NS1_11comp_targetILNS1_3genE4ELNS1_11target_archE910ELNS1_3gpuE8ELNS1_3repE0EEENS1_30default_config_static_selectorELNS0_4arch9wavefront6targetE1EEEvSM_,"axG",@progbits,_ZN7rocprim17ROCPRIM_400000_NS6detail17trampoline_kernelINS0_14default_configENS1_22reduce_config_selectorIlEEZNS1_11reduce_implILb1ES3_PlS7_lN6hipcub16HIPCUB_304000_NS6detail34convert_binary_result_type_wrapperINS9_3SumENS9_22TransformInputIteratorIb7NonZeroIfEPflEElEEEE10hipError_tPvRmT1_T2_T3_mT4_P12ihipStream_tbEUlT_E1_NS1_11comp_targetILNS1_3genE4ELNS1_11target_archE910ELNS1_3gpuE8ELNS1_3repE0EEENS1_30default_config_static_selectorELNS0_4arch9wavefront6targetE1EEEvSM_,comdat
	.protected	_ZN7rocprim17ROCPRIM_400000_NS6detail17trampoline_kernelINS0_14default_configENS1_22reduce_config_selectorIlEEZNS1_11reduce_implILb1ES3_PlS7_lN6hipcub16HIPCUB_304000_NS6detail34convert_binary_result_type_wrapperINS9_3SumENS9_22TransformInputIteratorIb7NonZeroIfEPflEElEEEE10hipError_tPvRmT1_T2_T3_mT4_P12ihipStream_tbEUlT_E1_NS1_11comp_targetILNS1_3genE4ELNS1_11target_archE910ELNS1_3gpuE8ELNS1_3repE0EEENS1_30default_config_static_selectorELNS0_4arch9wavefront6targetE1EEEvSM_ ; -- Begin function _ZN7rocprim17ROCPRIM_400000_NS6detail17trampoline_kernelINS0_14default_configENS1_22reduce_config_selectorIlEEZNS1_11reduce_implILb1ES3_PlS7_lN6hipcub16HIPCUB_304000_NS6detail34convert_binary_result_type_wrapperINS9_3SumENS9_22TransformInputIteratorIb7NonZeroIfEPflEElEEEE10hipError_tPvRmT1_T2_T3_mT4_P12ihipStream_tbEUlT_E1_NS1_11comp_targetILNS1_3genE4ELNS1_11target_archE910ELNS1_3gpuE8ELNS1_3repE0EEENS1_30default_config_static_selectorELNS0_4arch9wavefront6targetE1EEEvSM_
	.globl	_ZN7rocprim17ROCPRIM_400000_NS6detail17trampoline_kernelINS0_14default_configENS1_22reduce_config_selectorIlEEZNS1_11reduce_implILb1ES3_PlS7_lN6hipcub16HIPCUB_304000_NS6detail34convert_binary_result_type_wrapperINS9_3SumENS9_22TransformInputIteratorIb7NonZeroIfEPflEElEEEE10hipError_tPvRmT1_T2_T3_mT4_P12ihipStream_tbEUlT_E1_NS1_11comp_targetILNS1_3genE4ELNS1_11target_archE910ELNS1_3gpuE8ELNS1_3repE0EEENS1_30default_config_static_selectorELNS0_4arch9wavefront6targetE1EEEvSM_
	.p2align	8
	.type	_ZN7rocprim17ROCPRIM_400000_NS6detail17trampoline_kernelINS0_14default_configENS1_22reduce_config_selectorIlEEZNS1_11reduce_implILb1ES3_PlS7_lN6hipcub16HIPCUB_304000_NS6detail34convert_binary_result_type_wrapperINS9_3SumENS9_22TransformInputIteratorIb7NonZeroIfEPflEElEEEE10hipError_tPvRmT1_T2_T3_mT4_P12ihipStream_tbEUlT_E1_NS1_11comp_targetILNS1_3genE4ELNS1_11target_archE910ELNS1_3gpuE8ELNS1_3repE0EEENS1_30default_config_static_selectorELNS0_4arch9wavefront6targetE1EEEvSM_,@function
_ZN7rocprim17ROCPRIM_400000_NS6detail17trampoline_kernelINS0_14default_configENS1_22reduce_config_selectorIlEEZNS1_11reduce_implILb1ES3_PlS7_lN6hipcub16HIPCUB_304000_NS6detail34convert_binary_result_type_wrapperINS9_3SumENS9_22TransformInputIteratorIb7NonZeroIfEPflEElEEEE10hipError_tPvRmT1_T2_T3_mT4_P12ihipStream_tbEUlT_E1_NS1_11comp_targetILNS1_3genE4ELNS1_11target_archE910ELNS1_3gpuE8ELNS1_3repE0EEENS1_30default_config_static_selectorELNS0_4arch9wavefront6targetE1EEEvSM_: ; @_ZN7rocprim17ROCPRIM_400000_NS6detail17trampoline_kernelINS0_14default_configENS1_22reduce_config_selectorIlEEZNS1_11reduce_implILb1ES3_PlS7_lN6hipcub16HIPCUB_304000_NS6detail34convert_binary_result_type_wrapperINS9_3SumENS9_22TransformInputIteratorIb7NonZeroIfEPflEElEEEE10hipError_tPvRmT1_T2_T3_mT4_P12ihipStream_tbEUlT_E1_NS1_11comp_targetILNS1_3genE4ELNS1_11target_archE910ELNS1_3gpuE8ELNS1_3repE0EEENS1_30default_config_static_selectorELNS0_4arch9wavefront6targetE1EEEvSM_
; %bb.0:
	.section	.rodata,"a",@progbits
	.p2align	6, 0x0
	.amdhsa_kernel _ZN7rocprim17ROCPRIM_400000_NS6detail17trampoline_kernelINS0_14default_configENS1_22reduce_config_selectorIlEEZNS1_11reduce_implILb1ES3_PlS7_lN6hipcub16HIPCUB_304000_NS6detail34convert_binary_result_type_wrapperINS9_3SumENS9_22TransformInputIteratorIb7NonZeroIfEPflEElEEEE10hipError_tPvRmT1_T2_T3_mT4_P12ihipStream_tbEUlT_E1_NS1_11comp_targetILNS1_3genE4ELNS1_11target_archE910ELNS1_3gpuE8ELNS1_3repE0EEENS1_30default_config_static_selectorELNS0_4arch9wavefront6targetE1EEEvSM_
		.amdhsa_group_segment_fixed_size 0
		.amdhsa_private_segment_fixed_size 0
		.amdhsa_kernarg_size 48
		.amdhsa_user_sgpr_count 6
		.amdhsa_user_sgpr_private_segment_buffer 1
		.amdhsa_user_sgpr_dispatch_ptr 0
		.amdhsa_user_sgpr_queue_ptr 0
		.amdhsa_user_sgpr_kernarg_segment_ptr 1
		.amdhsa_user_sgpr_dispatch_id 0
		.amdhsa_user_sgpr_flat_scratch_init 0
		.amdhsa_user_sgpr_private_segment_size 0
		.amdhsa_uses_dynamic_stack 0
		.amdhsa_system_sgpr_private_segment_wavefront_offset 0
		.amdhsa_system_sgpr_workgroup_id_x 1
		.amdhsa_system_sgpr_workgroup_id_y 0
		.amdhsa_system_sgpr_workgroup_id_z 0
		.amdhsa_system_sgpr_workgroup_info 0
		.amdhsa_system_vgpr_workitem_id 0
		.amdhsa_next_free_vgpr 1
		.amdhsa_next_free_sgpr 0
		.amdhsa_reserve_vcc 0
		.amdhsa_reserve_flat_scratch 0
		.amdhsa_float_round_mode_32 0
		.amdhsa_float_round_mode_16_64 0
		.amdhsa_float_denorm_mode_32 3
		.amdhsa_float_denorm_mode_16_64 3
		.amdhsa_dx10_clamp 1
		.amdhsa_ieee_mode 1
		.amdhsa_fp16_overflow 0
		.amdhsa_exception_fp_ieee_invalid_op 0
		.amdhsa_exception_fp_denorm_src 0
		.amdhsa_exception_fp_ieee_div_zero 0
		.amdhsa_exception_fp_ieee_overflow 0
		.amdhsa_exception_fp_ieee_underflow 0
		.amdhsa_exception_fp_ieee_inexact 0
		.amdhsa_exception_int_div_zero 0
	.end_amdhsa_kernel
	.section	.text._ZN7rocprim17ROCPRIM_400000_NS6detail17trampoline_kernelINS0_14default_configENS1_22reduce_config_selectorIlEEZNS1_11reduce_implILb1ES3_PlS7_lN6hipcub16HIPCUB_304000_NS6detail34convert_binary_result_type_wrapperINS9_3SumENS9_22TransformInputIteratorIb7NonZeroIfEPflEElEEEE10hipError_tPvRmT1_T2_T3_mT4_P12ihipStream_tbEUlT_E1_NS1_11comp_targetILNS1_3genE4ELNS1_11target_archE910ELNS1_3gpuE8ELNS1_3repE0EEENS1_30default_config_static_selectorELNS0_4arch9wavefront6targetE1EEEvSM_,"axG",@progbits,_ZN7rocprim17ROCPRIM_400000_NS6detail17trampoline_kernelINS0_14default_configENS1_22reduce_config_selectorIlEEZNS1_11reduce_implILb1ES3_PlS7_lN6hipcub16HIPCUB_304000_NS6detail34convert_binary_result_type_wrapperINS9_3SumENS9_22TransformInputIteratorIb7NonZeroIfEPflEElEEEE10hipError_tPvRmT1_T2_T3_mT4_P12ihipStream_tbEUlT_E1_NS1_11comp_targetILNS1_3genE4ELNS1_11target_archE910ELNS1_3gpuE8ELNS1_3repE0EEENS1_30default_config_static_selectorELNS0_4arch9wavefront6targetE1EEEvSM_,comdat
.Lfunc_end228:
	.size	_ZN7rocprim17ROCPRIM_400000_NS6detail17trampoline_kernelINS0_14default_configENS1_22reduce_config_selectorIlEEZNS1_11reduce_implILb1ES3_PlS7_lN6hipcub16HIPCUB_304000_NS6detail34convert_binary_result_type_wrapperINS9_3SumENS9_22TransformInputIteratorIb7NonZeroIfEPflEElEEEE10hipError_tPvRmT1_T2_T3_mT4_P12ihipStream_tbEUlT_E1_NS1_11comp_targetILNS1_3genE4ELNS1_11target_archE910ELNS1_3gpuE8ELNS1_3repE0EEENS1_30default_config_static_selectorELNS0_4arch9wavefront6targetE1EEEvSM_, .Lfunc_end228-_ZN7rocprim17ROCPRIM_400000_NS6detail17trampoline_kernelINS0_14default_configENS1_22reduce_config_selectorIlEEZNS1_11reduce_implILb1ES3_PlS7_lN6hipcub16HIPCUB_304000_NS6detail34convert_binary_result_type_wrapperINS9_3SumENS9_22TransformInputIteratorIb7NonZeroIfEPflEElEEEE10hipError_tPvRmT1_T2_T3_mT4_P12ihipStream_tbEUlT_E1_NS1_11comp_targetILNS1_3genE4ELNS1_11target_archE910ELNS1_3gpuE8ELNS1_3repE0EEENS1_30default_config_static_selectorELNS0_4arch9wavefront6targetE1EEEvSM_
                                        ; -- End function
	.set _ZN7rocprim17ROCPRIM_400000_NS6detail17trampoline_kernelINS0_14default_configENS1_22reduce_config_selectorIlEEZNS1_11reduce_implILb1ES3_PlS7_lN6hipcub16HIPCUB_304000_NS6detail34convert_binary_result_type_wrapperINS9_3SumENS9_22TransformInputIteratorIb7NonZeroIfEPflEElEEEE10hipError_tPvRmT1_T2_T3_mT4_P12ihipStream_tbEUlT_E1_NS1_11comp_targetILNS1_3genE4ELNS1_11target_archE910ELNS1_3gpuE8ELNS1_3repE0EEENS1_30default_config_static_selectorELNS0_4arch9wavefront6targetE1EEEvSM_.num_vgpr, 0
	.set _ZN7rocprim17ROCPRIM_400000_NS6detail17trampoline_kernelINS0_14default_configENS1_22reduce_config_selectorIlEEZNS1_11reduce_implILb1ES3_PlS7_lN6hipcub16HIPCUB_304000_NS6detail34convert_binary_result_type_wrapperINS9_3SumENS9_22TransformInputIteratorIb7NonZeroIfEPflEElEEEE10hipError_tPvRmT1_T2_T3_mT4_P12ihipStream_tbEUlT_E1_NS1_11comp_targetILNS1_3genE4ELNS1_11target_archE910ELNS1_3gpuE8ELNS1_3repE0EEENS1_30default_config_static_selectorELNS0_4arch9wavefront6targetE1EEEvSM_.num_agpr, 0
	.set _ZN7rocprim17ROCPRIM_400000_NS6detail17trampoline_kernelINS0_14default_configENS1_22reduce_config_selectorIlEEZNS1_11reduce_implILb1ES3_PlS7_lN6hipcub16HIPCUB_304000_NS6detail34convert_binary_result_type_wrapperINS9_3SumENS9_22TransformInputIteratorIb7NonZeroIfEPflEElEEEE10hipError_tPvRmT1_T2_T3_mT4_P12ihipStream_tbEUlT_E1_NS1_11comp_targetILNS1_3genE4ELNS1_11target_archE910ELNS1_3gpuE8ELNS1_3repE0EEENS1_30default_config_static_selectorELNS0_4arch9wavefront6targetE1EEEvSM_.numbered_sgpr, 0
	.set _ZN7rocprim17ROCPRIM_400000_NS6detail17trampoline_kernelINS0_14default_configENS1_22reduce_config_selectorIlEEZNS1_11reduce_implILb1ES3_PlS7_lN6hipcub16HIPCUB_304000_NS6detail34convert_binary_result_type_wrapperINS9_3SumENS9_22TransformInputIteratorIb7NonZeroIfEPflEElEEEE10hipError_tPvRmT1_T2_T3_mT4_P12ihipStream_tbEUlT_E1_NS1_11comp_targetILNS1_3genE4ELNS1_11target_archE910ELNS1_3gpuE8ELNS1_3repE0EEENS1_30default_config_static_selectorELNS0_4arch9wavefront6targetE1EEEvSM_.num_named_barrier, 0
	.set _ZN7rocprim17ROCPRIM_400000_NS6detail17trampoline_kernelINS0_14default_configENS1_22reduce_config_selectorIlEEZNS1_11reduce_implILb1ES3_PlS7_lN6hipcub16HIPCUB_304000_NS6detail34convert_binary_result_type_wrapperINS9_3SumENS9_22TransformInputIteratorIb7NonZeroIfEPflEElEEEE10hipError_tPvRmT1_T2_T3_mT4_P12ihipStream_tbEUlT_E1_NS1_11comp_targetILNS1_3genE4ELNS1_11target_archE910ELNS1_3gpuE8ELNS1_3repE0EEENS1_30default_config_static_selectorELNS0_4arch9wavefront6targetE1EEEvSM_.private_seg_size, 0
	.set _ZN7rocprim17ROCPRIM_400000_NS6detail17trampoline_kernelINS0_14default_configENS1_22reduce_config_selectorIlEEZNS1_11reduce_implILb1ES3_PlS7_lN6hipcub16HIPCUB_304000_NS6detail34convert_binary_result_type_wrapperINS9_3SumENS9_22TransformInputIteratorIb7NonZeroIfEPflEElEEEE10hipError_tPvRmT1_T2_T3_mT4_P12ihipStream_tbEUlT_E1_NS1_11comp_targetILNS1_3genE4ELNS1_11target_archE910ELNS1_3gpuE8ELNS1_3repE0EEENS1_30default_config_static_selectorELNS0_4arch9wavefront6targetE1EEEvSM_.uses_vcc, 0
	.set _ZN7rocprim17ROCPRIM_400000_NS6detail17trampoline_kernelINS0_14default_configENS1_22reduce_config_selectorIlEEZNS1_11reduce_implILb1ES3_PlS7_lN6hipcub16HIPCUB_304000_NS6detail34convert_binary_result_type_wrapperINS9_3SumENS9_22TransformInputIteratorIb7NonZeroIfEPflEElEEEE10hipError_tPvRmT1_T2_T3_mT4_P12ihipStream_tbEUlT_E1_NS1_11comp_targetILNS1_3genE4ELNS1_11target_archE910ELNS1_3gpuE8ELNS1_3repE0EEENS1_30default_config_static_selectorELNS0_4arch9wavefront6targetE1EEEvSM_.uses_flat_scratch, 0
	.set _ZN7rocprim17ROCPRIM_400000_NS6detail17trampoline_kernelINS0_14default_configENS1_22reduce_config_selectorIlEEZNS1_11reduce_implILb1ES3_PlS7_lN6hipcub16HIPCUB_304000_NS6detail34convert_binary_result_type_wrapperINS9_3SumENS9_22TransformInputIteratorIb7NonZeroIfEPflEElEEEE10hipError_tPvRmT1_T2_T3_mT4_P12ihipStream_tbEUlT_E1_NS1_11comp_targetILNS1_3genE4ELNS1_11target_archE910ELNS1_3gpuE8ELNS1_3repE0EEENS1_30default_config_static_selectorELNS0_4arch9wavefront6targetE1EEEvSM_.has_dyn_sized_stack, 0
	.set _ZN7rocprim17ROCPRIM_400000_NS6detail17trampoline_kernelINS0_14default_configENS1_22reduce_config_selectorIlEEZNS1_11reduce_implILb1ES3_PlS7_lN6hipcub16HIPCUB_304000_NS6detail34convert_binary_result_type_wrapperINS9_3SumENS9_22TransformInputIteratorIb7NonZeroIfEPflEElEEEE10hipError_tPvRmT1_T2_T3_mT4_P12ihipStream_tbEUlT_E1_NS1_11comp_targetILNS1_3genE4ELNS1_11target_archE910ELNS1_3gpuE8ELNS1_3repE0EEENS1_30default_config_static_selectorELNS0_4arch9wavefront6targetE1EEEvSM_.has_recursion, 0
	.set _ZN7rocprim17ROCPRIM_400000_NS6detail17trampoline_kernelINS0_14default_configENS1_22reduce_config_selectorIlEEZNS1_11reduce_implILb1ES3_PlS7_lN6hipcub16HIPCUB_304000_NS6detail34convert_binary_result_type_wrapperINS9_3SumENS9_22TransformInputIteratorIb7NonZeroIfEPflEElEEEE10hipError_tPvRmT1_T2_T3_mT4_P12ihipStream_tbEUlT_E1_NS1_11comp_targetILNS1_3genE4ELNS1_11target_archE910ELNS1_3gpuE8ELNS1_3repE0EEENS1_30default_config_static_selectorELNS0_4arch9wavefront6targetE1EEEvSM_.has_indirect_call, 0
	.section	.AMDGPU.csdata,"",@progbits
; Kernel info:
; codeLenInByte = 0
; TotalNumSgprs: 4
; NumVgprs: 0
; ScratchSize: 0
; MemoryBound: 0
; FloatMode: 240
; IeeeMode: 1
; LDSByteSize: 0 bytes/workgroup (compile time only)
; SGPRBlocks: 0
; VGPRBlocks: 0
; NumSGPRsForWavesPerEU: 4
; NumVGPRsForWavesPerEU: 1
; Occupancy: 10
; WaveLimiterHint : 0
; COMPUTE_PGM_RSRC2:SCRATCH_EN: 0
; COMPUTE_PGM_RSRC2:USER_SGPR: 6
; COMPUTE_PGM_RSRC2:TRAP_HANDLER: 0
; COMPUTE_PGM_RSRC2:TGID_X_EN: 1
; COMPUTE_PGM_RSRC2:TGID_Y_EN: 0
; COMPUTE_PGM_RSRC2:TGID_Z_EN: 0
; COMPUTE_PGM_RSRC2:TIDIG_COMP_CNT: 0
	.section	.text._ZN7rocprim17ROCPRIM_400000_NS6detail17trampoline_kernelINS0_14default_configENS1_22reduce_config_selectorIlEEZNS1_11reduce_implILb1ES3_PlS7_lN6hipcub16HIPCUB_304000_NS6detail34convert_binary_result_type_wrapperINS9_3SumENS9_22TransformInputIteratorIb7NonZeroIfEPflEElEEEE10hipError_tPvRmT1_T2_T3_mT4_P12ihipStream_tbEUlT_E1_NS1_11comp_targetILNS1_3genE3ELNS1_11target_archE908ELNS1_3gpuE7ELNS1_3repE0EEENS1_30default_config_static_selectorELNS0_4arch9wavefront6targetE1EEEvSM_,"axG",@progbits,_ZN7rocprim17ROCPRIM_400000_NS6detail17trampoline_kernelINS0_14default_configENS1_22reduce_config_selectorIlEEZNS1_11reduce_implILb1ES3_PlS7_lN6hipcub16HIPCUB_304000_NS6detail34convert_binary_result_type_wrapperINS9_3SumENS9_22TransformInputIteratorIb7NonZeroIfEPflEElEEEE10hipError_tPvRmT1_T2_T3_mT4_P12ihipStream_tbEUlT_E1_NS1_11comp_targetILNS1_3genE3ELNS1_11target_archE908ELNS1_3gpuE7ELNS1_3repE0EEENS1_30default_config_static_selectorELNS0_4arch9wavefront6targetE1EEEvSM_,comdat
	.protected	_ZN7rocprim17ROCPRIM_400000_NS6detail17trampoline_kernelINS0_14default_configENS1_22reduce_config_selectorIlEEZNS1_11reduce_implILb1ES3_PlS7_lN6hipcub16HIPCUB_304000_NS6detail34convert_binary_result_type_wrapperINS9_3SumENS9_22TransformInputIteratorIb7NonZeroIfEPflEElEEEE10hipError_tPvRmT1_T2_T3_mT4_P12ihipStream_tbEUlT_E1_NS1_11comp_targetILNS1_3genE3ELNS1_11target_archE908ELNS1_3gpuE7ELNS1_3repE0EEENS1_30default_config_static_selectorELNS0_4arch9wavefront6targetE1EEEvSM_ ; -- Begin function _ZN7rocprim17ROCPRIM_400000_NS6detail17trampoline_kernelINS0_14default_configENS1_22reduce_config_selectorIlEEZNS1_11reduce_implILb1ES3_PlS7_lN6hipcub16HIPCUB_304000_NS6detail34convert_binary_result_type_wrapperINS9_3SumENS9_22TransformInputIteratorIb7NonZeroIfEPflEElEEEE10hipError_tPvRmT1_T2_T3_mT4_P12ihipStream_tbEUlT_E1_NS1_11comp_targetILNS1_3genE3ELNS1_11target_archE908ELNS1_3gpuE7ELNS1_3repE0EEENS1_30default_config_static_selectorELNS0_4arch9wavefront6targetE1EEEvSM_
	.globl	_ZN7rocprim17ROCPRIM_400000_NS6detail17trampoline_kernelINS0_14default_configENS1_22reduce_config_selectorIlEEZNS1_11reduce_implILb1ES3_PlS7_lN6hipcub16HIPCUB_304000_NS6detail34convert_binary_result_type_wrapperINS9_3SumENS9_22TransformInputIteratorIb7NonZeroIfEPflEElEEEE10hipError_tPvRmT1_T2_T3_mT4_P12ihipStream_tbEUlT_E1_NS1_11comp_targetILNS1_3genE3ELNS1_11target_archE908ELNS1_3gpuE7ELNS1_3repE0EEENS1_30default_config_static_selectorELNS0_4arch9wavefront6targetE1EEEvSM_
	.p2align	8
	.type	_ZN7rocprim17ROCPRIM_400000_NS6detail17trampoline_kernelINS0_14default_configENS1_22reduce_config_selectorIlEEZNS1_11reduce_implILb1ES3_PlS7_lN6hipcub16HIPCUB_304000_NS6detail34convert_binary_result_type_wrapperINS9_3SumENS9_22TransformInputIteratorIb7NonZeroIfEPflEElEEEE10hipError_tPvRmT1_T2_T3_mT4_P12ihipStream_tbEUlT_E1_NS1_11comp_targetILNS1_3genE3ELNS1_11target_archE908ELNS1_3gpuE7ELNS1_3repE0EEENS1_30default_config_static_selectorELNS0_4arch9wavefront6targetE1EEEvSM_,@function
_ZN7rocprim17ROCPRIM_400000_NS6detail17trampoline_kernelINS0_14default_configENS1_22reduce_config_selectorIlEEZNS1_11reduce_implILb1ES3_PlS7_lN6hipcub16HIPCUB_304000_NS6detail34convert_binary_result_type_wrapperINS9_3SumENS9_22TransformInputIteratorIb7NonZeroIfEPflEElEEEE10hipError_tPvRmT1_T2_T3_mT4_P12ihipStream_tbEUlT_E1_NS1_11comp_targetILNS1_3genE3ELNS1_11target_archE908ELNS1_3gpuE7ELNS1_3repE0EEENS1_30default_config_static_selectorELNS0_4arch9wavefront6targetE1EEEvSM_: ; @_ZN7rocprim17ROCPRIM_400000_NS6detail17trampoline_kernelINS0_14default_configENS1_22reduce_config_selectorIlEEZNS1_11reduce_implILb1ES3_PlS7_lN6hipcub16HIPCUB_304000_NS6detail34convert_binary_result_type_wrapperINS9_3SumENS9_22TransformInputIteratorIb7NonZeroIfEPflEElEEEE10hipError_tPvRmT1_T2_T3_mT4_P12ihipStream_tbEUlT_E1_NS1_11comp_targetILNS1_3genE3ELNS1_11target_archE908ELNS1_3gpuE7ELNS1_3repE0EEENS1_30default_config_static_selectorELNS0_4arch9wavefront6targetE1EEEvSM_
; %bb.0:
	.section	.rodata,"a",@progbits
	.p2align	6, 0x0
	.amdhsa_kernel _ZN7rocprim17ROCPRIM_400000_NS6detail17trampoline_kernelINS0_14default_configENS1_22reduce_config_selectorIlEEZNS1_11reduce_implILb1ES3_PlS7_lN6hipcub16HIPCUB_304000_NS6detail34convert_binary_result_type_wrapperINS9_3SumENS9_22TransformInputIteratorIb7NonZeroIfEPflEElEEEE10hipError_tPvRmT1_T2_T3_mT4_P12ihipStream_tbEUlT_E1_NS1_11comp_targetILNS1_3genE3ELNS1_11target_archE908ELNS1_3gpuE7ELNS1_3repE0EEENS1_30default_config_static_selectorELNS0_4arch9wavefront6targetE1EEEvSM_
		.amdhsa_group_segment_fixed_size 0
		.amdhsa_private_segment_fixed_size 0
		.amdhsa_kernarg_size 48
		.amdhsa_user_sgpr_count 6
		.amdhsa_user_sgpr_private_segment_buffer 1
		.amdhsa_user_sgpr_dispatch_ptr 0
		.amdhsa_user_sgpr_queue_ptr 0
		.amdhsa_user_sgpr_kernarg_segment_ptr 1
		.amdhsa_user_sgpr_dispatch_id 0
		.amdhsa_user_sgpr_flat_scratch_init 0
		.amdhsa_user_sgpr_private_segment_size 0
		.amdhsa_uses_dynamic_stack 0
		.amdhsa_system_sgpr_private_segment_wavefront_offset 0
		.amdhsa_system_sgpr_workgroup_id_x 1
		.amdhsa_system_sgpr_workgroup_id_y 0
		.amdhsa_system_sgpr_workgroup_id_z 0
		.amdhsa_system_sgpr_workgroup_info 0
		.amdhsa_system_vgpr_workitem_id 0
		.amdhsa_next_free_vgpr 1
		.amdhsa_next_free_sgpr 0
		.amdhsa_reserve_vcc 0
		.amdhsa_reserve_flat_scratch 0
		.amdhsa_float_round_mode_32 0
		.amdhsa_float_round_mode_16_64 0
		.amdhsa_float_denorm_mode_32 3
		.amdhsa_float_denorm_mode_16_64 3
		.amdhsa_dx10_clamp 1
		.amdhsa_ieee_mode 1
		.amdhsa_fp16_overflow 0
		.amdhsa_exception_fp_ieee_invalid_op 0
		.amdhsa_exception_fp_denorm_src 0
		.amdhsa_exception_fp_ieee_div_zero 0
		.amdhsa_exception_fp_ieee_overflow 0
		.amdhsa_exception_fp_ieee_underflow 0
		.amdhsa_exception_fp_ieee_inexact 0
		.amdhsa_exception_int_div_zero 0
	.end_amdhsa_kernel
	.section	.text._ZN7rocprim17ROCPRIM_400000_NS6detail17trampoline_kernelINS0_14default_configENS1_22reduce_config_selectorIlEEZNS1_11reduce_implILb1ES3_PlS7_lN6hipcub16HIPCUB_304000_NS6detail34convert_binary_result_type_wrapperINS9_3SumENS9_22TransformInputIteratorIb7NonZeroIfEPflEElEEEE10hipError_tPvRmT1_T2_T3_mT4_P12ihipStream_tbEUlT_E1_NS1_11comp_targetILNS1_3genE3ELNS1_11target_archE908ELNS1_3gpuE7ELNS1_3repE0EEENS1_30default_config_static_selectorELNS0_4arch9wavefront6targetE1EEEvSM_,"axG",@progbits,_ZN7rocprim17ROCPRIM_400000_NS6detail17trampoline_kernelINS0_14default_configENS1_22reduce_config_selectorIlEEZNS1_11reduce_implILb1ES3_PlS7_lN6hipcub16HIPCUB_304000_NS6detail34convert_binary_result_type_wrapperINS9_3SumENS9_22TransformInputIteratorIb7NonZeroIfEPflEElEEEE10hipError_tPvRmT1_T2_T3_mT4_P12ihipStream_tbEUlT_E1_NS1_11comp_targetILNS1_3genE3ELNS1_11target_archE908ELNS1_3gpuE7ELNS1_3repE0EEENS1_30default_config_static_selectorELNS0_4arch9wavefront6targetE1EEEvSM_,comdat
.Lfunc_end229:
	.size	_ZN7rocprim17ROCPRIM_400000_NS6detail17trampoline_kernelINS0_14default_configENS1_22reduce_config_selectorIlEEZNS1_11reduce_implILb1ES3_PlS7_lN6hipcub16HIPCUB_304000_NS6detail34convert_binary_result_type_wrapperINS9_3SumENS9_22TransformInputIteratorIb7NonZeroIfEPflEElEEEE10hipError_tPvRmT1_T2_T3_mT4_P12ihipStream_tbEUlT_E1_NS1_11comp_targetILNS1_3genE3ELNS1_11target_archE908ELNS1_3gpuE7ELNS1_3repE0EEENS1_30default_config_static_selectorELNS0_4arch9wavefront6targetE1EEEvSM_, .Lfunc_end229-_ZN7rocprim17ROCPRIM_400000_NS6detail17trampoline_kernelINS0_14default_configENS1_22reduce_config_selectorIlEEZNS1_11reduce_implILb1ES3_PlS7_lN6hipcub16HIPCUB_304000_NS6detail34convert_binary_result_type_wrapperINS9_3SumENS9_22TransformInputIteratorIb7NonZeroIfEPflEElEEEE10hipError_tPvRmT1_T2_T3_mT4_P12ihipStream_tbEUlT_E1_NS1_11comp_targetILNS1_3genE3ELNS1_11target_archE908ELNS1_3gpuE7ELNS1_3repE0EEENS1_30default_config_static_selectorELNS0_4arch9wavefront6targetE1EEEvSM_
                                        ; -- End function
	.set _ZN7rocprim17ROCPRIM_400000_NS6detail17trampoline_kernelINS0_14default_configENS1_22reduce_config_selectorIlEEZNS1_11reduce_implILb1ES3_PlS7_lN6hipcub16HIPCUB_304000_NS6detail34convert_binary_result_type_wrapperINS9_3SumENS9_22TransformInputIteratorIb7NonZeroIfEPflEElEEEE10hipError_tPvRmT1_T2_T3_mT4_P12ihipStream_tbEUlT_E1_NS1_11comp_targetILNS1_3genE3ELNS1_11target_archE908ELNS1_3gpuE7ELNS1_3repE0EEENS1_30default_config_static_selectorELNS0_4arch9wavefront6targetE1EEEvSM_.num_vgpr, 0
	.set _ZN7rocprim17ROCPRIM_400000_NS6detail17trampoline_kernelINS0_14default_configENS1_22reduce_config_selectorIlEEZNS1_11reduce_implILb1ES3_PlS7_lN6hipcub16HIPCUB_304000_NS6detail34convert_binary_result_type_wrapperINS9_3SumENS9_22TransformInputIteratorIb7NonZeroIfEPflEElEEEE10hipError_tPvRmT1_T2_T3_mT4_P12ihipStream_tbEUlT_E1_NS1_11comp_targetILNS1_3genE3ELNS1_11target_archE908ELNS1_3gpuE7ELNS1_3repE0EEENS1_30default_config_static_selectorELNS0_4arch9wavefront6targetE1EEEvSM_.num_agpr, 0
	.set _ZN7rocprim17ROCPRIM_400000_NS6detail17trampoline_kernelINS0_14default_configENS1_22reduce_config_selectorIlEEZNS1_11reduce_implILb1ES3_PlS7_lN6hipcub16HIPCUB_304000_NS6detail34convert_binary_result_type_wrapperINS9_3SumENS9_22TransformInputIteratorIb7NonZeroIfEPflEElEEEE10hipError_tPvRmT1_T2_T3_mT4_P12ihipStream_tbEUlT_E1_NS1_11comp_targetILNS1_3genE3ELNS1_11target_archE908ELNS1_3gpuE7ELNS1_3repE0EEENS1_30default_config_static_selectorELNS0_4arch9wavefront6targetE1EEEvSM_.numbered_sgpr, 0
	.set _ZN7rocprim17ROCPRIM_400000_NS6detail17trampoline_kernelINS0_14default_configENS1_22reduce_config_selectorIlEEZNS1_11reduce_implILb1ES3_PlS7_lN6hipcub16HIPCUB_304000_NS6detail34convert_binary_result_type_wrapperINS9_3SumENS9_22TransformInputIteratorIb7NonZeroIfEPflEElEEEE10hipError_tPvRmT1_T2_T3_mT4_P12ihipStream_tbEUlT_E1_NS1_11comp_targetILNS1_3genE3ELNS1_11target_archE908ELNS1_3gpuE7ELNS1_3repE0EEENS1_30default_config_static_selectorELNS0_4arch9wavefront6targetE1EEEvSM_.num_named_barrier, 0
	.set _ZN7rocprim17ROCPRIM_400000_NS6detail17trampoline_kernelINS0_14default_configENS1_22reduce_config_selectorIlEEZNS1_11reduce_implILb1ES3_PlS7_lN6hipcub16HIPCUB_304000_NS6detail34convert_binary_result_type_wrapperINS9_3SumENS9_22TransformInputIteratorIb7NonZeroIfEPflEElEEEE10hipError_tPvRmT1_T2_T3_mT4_P12ihipStream_tbEUlT_E1_NS1_11comp_targetILNS1_3genE3ELNS1_11target_archE908ELNS1_3gpuE7ELNS1_3repE0EEENS1_30default_config_static_selectorELNS0_4arch9wavefront6targetE1EEEvSM_.private_seg_size, 0
	.set _ZN7rocprim17ROCPRIM_400000_NS6detail17trampoline_kernelINS0_14default_configENS1_22reduce_config_selectorIlEEZNS1_11reduce_implILb1ES3_PlS7_lN6hipcub16HIPCUB_304000_NS6detail34convert_binary_result_type_wrapperINS9_3SumENS9_22TransformInputIteratorIb7NonZeroIfEPflEElEEEE10hipError_tPvRmT1_T2_T3_mT4_P12ihipStream_tbEUlT_E1_NS1_11comp_targetILNS1_3genE3ELNS1_11target_archE908ELNS1_3gpuE7ELNS1_3repE0EEENS1_30default_config_static_selectorELNS0_4arch9wavefront6targetE1EEEvSM_.uses_vcc, 0
	.set _ZN7rocprim17ROCPRIM_400000_NS6detail17trampoline_kernelINS0_14default_configENS1_22reduce_config_selectorIlEEZNS1_11reduce_implILb1ES3_PlS7_lN6hipcub16HIPCUB_304000_NS6detail34convert_binary_result_type_wrapperINS9_3SumENS9_22TransformInputIteratorIb7NonZeroIfEPflEElEEEE10hipError_tPvRmT1_T2_T3_mT4_P12ihipStream_tbEUlT_E1_NS1_11comp_targetILNS1_3genE3ELNS1_11target_archE908ELNS1_3gpuE7ELNS1_3repE0EEENS1_30default_config_static_selectorELNS0_4arch9wavefront6targetE1EEEvSM_.uses_flat_scratch, 0
	.set _ZN7rocprim17ROCPRIM_400000_NS6detail17trampoline_kernelINS0_14default_configENS1_22reduce_config_selectorIlEEZNS1_11reduce_implILb1ES3_PlS7_lN6hipcub16HIPCUB_304000_NS6detail34convert_binary_result_type_wrapperINS9_3SumENS9_22TransformInputIteratorIb7NonZeroIfEPflEElEEEE10hipError_tPvRmT1_T2_T3_mT4_P12ihipStream_tbEUlT_E1_NS1_11comp_targetILNS1_3genE3ELNS1_11target_archE908ELNS1_3gpuE7ELNS1_3repE0EEENS1_30default_config_static_selectorELNS0_4arch9wavefront6targetE1EEEvSM_.has_dyn_sized_stack, 0
	.set _ZN7rocprim17ROCPRIM_400000_NS6detail17trampoline_kernelINS0_14default_configENS1_22reduce_config_selectorIlEEZNS1_11reduce_implILb1ES3_PlS7_lN6hipcub16HIPCUB_304000_NS6detail34convert_binary_result_type_wrapperINS9_3SumENS9_22TransformInputIteratorIb7NonZeroIfEPflEElEEEE10hipError_tPvRmT1_T2_T3_mT4_P12ihipStream_tbEUlT_E1_NS1_11comp_targetILNS1_3genE3ELNS1_11target_archE908ELNS1_3gpuE7ELNS1_3repE0EEENS1_30default_config_static_selectorELNS0_4arch9wavefront6targetE1EEEvSM_.has_recursion, 0
	.set _ZN7rocprim17ROCPRIM_400000_NS6detail17trampoline_kernelINS0_14default_configENS1_22reduce_config_selectorIlEEZNS1_11reduce_implILb1ES3_PlS7_lN6hipcub16HIPCUB_304000_NS6detail34convert_binary_result_type_wrapperINS9_3SumENS9_22TransformInputIteratorIb7NonZeroIfEPflEElEEEE10hipError_tPvRmT1_T2_T3_mT4_P12ihipStream_tbEUlT_E1_NS1_11comp_targetILNS1_3genE3ELNS1_11target_archE908ELNS1_3gpuE7ELNS1_3repE0EEENS1_30default_config_static_selectorELNS0_4arch9wavefront6targetE1EEEvSM_.has_indirect_call, 0
	.section	.AMDGPU.csdata,"",@progbits
; Kernel info:
; codeLenInByte = 0
; TotalNumSgprs: 4
; NumVgprs: 0
; ScratchSize: 0
; MemoryBound: 0
; FloatMode: 240
; IeeeMode: 1
; LDSByteSize: 0 bytes/workgroup (compile time only)
; SGPRBlocks: 0
; VGPRBlocks: 0
; NumSGPRsForWavesPerEU: 4
; NumVGPRsForWavesPerEU: 1
; Occupancy: 10
; WaveLimiterHint : 0
; COMPUTE_PGM_RSRC2:SCRATCH_EN: 0
; COMPUTE_PGM_RSRC2:USER_SGPR: 6
; COMPUTE_PGM_RSRC2:TRAP_HANDLER: 0
; COMPUTE_PGM_RSRC2:TGID_X_EN: 1
; COMPUTE_PGM_RSRC2:TGID_Y_EN: 0
; COMPUTE_PGM_RSRC2:TGID_Z_EN: 0
; COMPUTE_PGM_RSRC2:TIDIG_COMP_CNT: 0
	.section	.text._ZN7rocprim17ROCPRIM_400000_NS6detail17trampoline_kernelINS0_14default_configENS1_22reduce_config_selectorIlEEZNS1_11reduce_implILb1ES3_PlS7_lN6hipcub16HIPCUB_304000_NS6detail34convert_binary_result_type_wrapperINS9_3SumENS9_22TransformInputIteratorIb7NonZeroIfEPflEElEEEE10hipError_tPvRmT1_T2_T3_mT4_P12ihipStream_tbEUlT_E1_NS1_11comp_targetILNS1_3genE2ELNS1_11target_archE906ELNS1_3gpuE6ELNS1_3repE0EEENS1_30default_config_static_selectorELNS0_4arch9wavefront6targetE1EEEvSM_,"axG",@progbits,_ZN7rocprim17ROCPRIM_400000_NS6detail17trampoline_kernelINS0_14default_configENS1_22reduce_config_selectorIlEEZNS1_11reduce_implILb1ES3_PlS7_lN6hipcub16HIPCUB_304000_NS6detail34convert_binary_result_type_wrapperINS9_3SumENS9_22TransformInputIteratorIb7NonZeroIfEPflEElEEEE10hipError_tPvRmT1_T2_T3_mT4_P12ihipStream_tbEUlT_E1_NS1_11comp_targetILNS1_3genE2ELNS1_11target_archE906ELNS1_3gpuE6ELNS1_3repE0EEENS1_30default_config_static_selectorELNS0_4arch9wavefront6targetE1EEEvSM_,comdat
	.protected	_ZN7rocprim17ROCPRIM_400000_NS6detail17trampoline_kernelINS0_14default_configENS1_22reduce_config_selectorIlEEZNS1_11reduce_implILb1ES3_PlS7_lN6hipcub16HIPCUB_304000_NS6detail34convert_binary_result_type_wrapperINS9_3SumENS9_22TransformInputIteratorIb7NonZeroIfEPflEElEEEE10hipError_tPvRmT1_T2_T3_mT4_P12ihipStream_tbEUlT_E1_NS1_11comp_targetILNS1_3genE2ELNS1_11target_archE906ELNS1_3gpuE6ELNS1_3repE0EEENS1_30default_config_static_selectorELNS0_4arch9wavefront6targetE1EEEvSM_ ; -- Begin function _ZN7rocprim17ROCPRIM_400000_NS6detail17trampoline_kernelINS0_14default_configENS1_22reduce_config_selectorIlEEZNS1_11reduce_implILb1ES3_PlS7_lN6hipcub16HIPCUB_304000_NS6detail34convert_binary_result_type_wrapperINS9_3SumENS9_22TransformInputIteratorIb7NonZeroIfEPflEElEEEE10hipError_tPvRmT1_T2_T3_mT4_P12ihipStream_tbEUlT_E1_NS1_11comp_targetILNS1_3genE2ELNS1_11target_archE906ELNS1_3gpuE6ELNS1_3repE0EEENS1_30default_config_static_selectorELNS0_4arch9wavefront6targetE1EEEvSM_
	.globl	_ZN7rocprim17ROCPRIM_400000_NS6detail17trampoline_kernelINS0_14default_configENS1_22reduce_config_selectorIlEEZNS1_11reduce_implILb1ES3_PlS7_lN6hipcub16HIPCUB_304000_NS6detail34convert_binary_result_type_wrapperINS9_3SumENS9_22TransformInputIteratorIb7NonZeroIfEPflEElEEEE10hipError_tPvRmT1_T2_T3_mT4_P12ihipStream_tbEUlT_E1_NS1_11comp_targetILNS1_3genE2ELNS1_11target_archE906ELNS1_3gpuE6ELNS1_3repE0EEENS1_30default_config_static_selectorELNS0_4arch9wavefront6targetE1EEEvSM_
	.p2align	8
	.type	_ZN7rocprim17ROCPRIM_400000_NS6detail17trampoline_kernelINS0_14default_configENS1_22reduce_config_selectorIlEEZNS1_11reduce_implILb1ES3_PlS7_lN6hipcub16HIPCUB_304000_NS6detail34convert_binary_result_type_wrapperINS9_3SumENS9_22TransformInputIteratorIb7NonZeroIfEPflEElEEEE10hipError_tPvRmT1_T2_T3_mT4_P12ihipStream_tbEUlT_E1_NS1_11comp_targetILNS1_3genE2ELNS1_11target_archE906ELNS1_3gpuE6ELNS1_3repE0EEENS1_30default_config_static_selectorELNS0_4arch9wavefront6targetE1EEEvSM_,@function
_ZN7rocprim17ROCPRIM_400000_NS6detail17trampoline_kernelINS0_14default_configENS1_22reduce_config_selectorIlEEZNS1_11reduce_implILb1ES3_PlS7_lN6hipcub16HIPCUB_304000_NS6detail34convert_binary_result_type_wrapperINS9_3SumENS9_22TransformInputIteratorIb7NonZeroIfEPflEElEEEE10hipError_tPvRmT1_T2_T3_mT4_P12ihipStream_tbEUlT_E1_NS1_11comp_targetILNS1_3genE2ELNS1_11target_archE906ELNS1_3gpuE6ELNS1_3repE0EEENS1_30default_config_static_selectorELNS0_4arch9wavefront6targetE1EEEvSM_: ; @_ZN7rocprim17ROCPRIM_400000_NS6detail17trampoline_kernelINS0_14default_configENS1_22reduce_config_selectorIlEEZNS1_11reduce_implILb1ES3_PlS7_lN6hipcub16HIPCUB_304000_NS6detail34convert_binary_result_type_wrapperINS9_3SumENS9_22TransformInputIteratorIb7NonZeroIfEPflEElEEEE10hipError_tPvRmT1_T2_T3_mT4_P12ihipStream_tbEUlT_E1_NS1_11comp_targetILNS1_3genE2ELNS1_11target_archE906ELNS1_3gpuE6ELNS1_3repE0EEENS1_30default_config_static_selectorELNS0_4arch9wavefront6targetE1EEEvSM_
; %bb.0:
	s_load_dword s26, s[4:5], 0x4
	s_load_dwordx8 s[16:23], s[4:5], 0x8
	s_waitcnt lgkmcnt(0)
	s_cmp_lt_i32 s26, 4
	s_cbranch_scc1 .LBB230_10
; %bb.1:
	s_cmp_gt_i32 s26, 7
	s_cbranch_scc0 .LBB230_11
; %bb.2:
	s_cmp_gt_i32 s26, 15
	s_cbranch_scc0 .LBB230_12
; %bb.3:
	s_mov_b64 s[0:1], 0
	s_cmp_eq_u32 s26, 16
	s_mov_b64 s[2:3], 0
                                        ; implicit-def: $vgpr1_vgpr2
                                        ; implicit-def: $vgpr3_vgpr4
	s_cbranch_scc0 .LBB230_13
; %bb.4:
	s_mov_b32 s7, 0
	s_lshl_b32 s4, s6, 12
	s_mov_b32 s5, s7
	s_lshr_b64 s[8:9], s[18:19], 12
	s_lshl_b64 s[2:3], s[4:5], 3
	s_add_u32 s2, s16, s2
	s_addc_u32 s3, s17, s3
	s_cmp_lg_u64 s[8:9], s[6:7]
	s_cbranch_scc0 .LBB230_21
; %bb.5:
	v_lshlrev_b32_e32 v5, 3, v0
	global_load_dwordx2 v[1:2], v5, s[2:3]
	global_load_dwordx2 v[3:4], v5, s[2:3] offset:2048
	v_mov_b32_e32 v6, s3
	v_add_co_u32_e32 v29, vcc, s2, v5
	v_addc_co_u32_e32 v33, vcc, 0, v6, vcc
	v_add_co_u32_e32 v5, vcc, 0x1000, v29
	v_addc_co_u32_e32 v6, vcc, 0, v33, vcc
	;; [unrolled: 2-line block ×4, first 2 shown]
	global_load_dwordx2 v[7:8], v[5:6], off
	global_load_dwordx2 v[11:12], v[9:10], off
	;; [unrolled: 1-line block ×3, first 2 shown]
	v_add_co_u32_e32 v17, vcc, 0x4000, v29
	v_addc_co_u32_e32 v18, vcc, 0, v33, vcc
	global_load_dwordx2 v[19:20], v[17:18], off
	v_add_co_u32_e32 v21, vcc, 0x5000, v29
	global_load_dwordx2 v[5:6], v[5:6], off offset:2048
	v_addc_co_u32_e32 v22, vcc, 0, v33, vcc
	global_load_dwordx2 v[9:10], v[9:10], off offset:2048
	v_add_co_u32_e32 v23, vcc, 0x6000, v29
	global_load_dwordx2 v[13:14], v[13:14], off offset:2048
	v_addc_co_u32_e32 v24, vcc, 0, v33, vcc
	global_load_dwordx2 v[17:18], v[17:18], off offset:2048
	s_nop 0
	global_load_dwordx2 v[25:26], v[21:22], off
	global_load_dwordx2 v[27:28], v[21:22], off offset:2048
	v_add_co_u32_e32 v21, vcc, 0x7000, v29
	global_load_dwordx2 v[29:30], v[23:24], off
	global_load_dwordx2 v[31:32], v[23:24], off offset:2048
	v_addc_co_u32_e32 v22, vcc, 0, v33, vcc
	s_waitcnt vmcnt(12)
	v_add_co_u32_e32 v23, vcc, v3, v1
	v_addc_co_u32_e32 v24, vcc, v4, v2, vcc
	global_load_dwordx2 v[1:2], v[21:22], off
	global_load_dwordx2 v[3:4], v[21:22], off offset:2048
	s_waitcnt vmcnt(13)
	v_add_co_u32_e32 v7, vcc, v23, v7
	v_addc_co_u32_e32 v8, vcc, v24, v8, vcc
	s_waitcnt vmcnt(9)
	v_add_co_u32_e32 v5, vcc, v7, v5
	v_addc_co_u32_e32 v6, vcc, v8, v6, vcc
	v_add_co_u32_e32 v5, vcc, v5, v11
	v_addc_co_u32_e32 v6, vcc, v6, v12, vcc
	s_waitcnt vmcnt(8)
	v_add_co_u32_e32 v5, vcc, v5, v9
	v_addc_co_u32_e32 v6, vcc, v6, v10, vcc
	;; [unrolled: 5-line block ×4, first 2 shown]
	s_waitcnt vmcnt(5)
	v_add_co_u32_e32 v5, vcc, v5, v25
	v_addc_co_u32_e32 v6, vcc, v6, v26, vcc
	s_waitcnt vmcnt(4)
	v_add_co_u32_e32 v5, vcc, v5, v27
	v_addc_co_u32_e32 v6, vcc, v6, v28, vcc
	;; [unrolled: 3-line block ×6, first 2 shown]
	s_nop 0
	v_mov_b32_dpp v4, v1 quad_perm:[1,0,3,2] row_mask:0xf bank_mask:0xf bound_ctrl:1
	v_add_co_u32_e32 v1, vcc, v1, v4
	v_mov_b32_dpp v5, v2 quad_perm:[1,0,3,2] row_mask:0xf bank_mask:0xf bound_ctrl:1
	v_addc_co_u32_e32 v2, vcc, 0, v2, vcc
	v_add_co_u32_e32 v4, vcc, 0, v1
	v_addc_co_u32_e32 v2, vcc, v5, v2, vcc
	v_mov_b32_dpp v1, v1 quad_perm:[2,3,0,1] row_mask:0xf bank_mask:0xf bound_ctrl:1
	v_add_co_u32_e32 v1, vcc, v4, v1
	v_mov_b32_dpp v5, v2 quad_perm:[2,3,0,1] row_mask:0xf bank_mask:0xf bound_ctrl:1
	v_addc_co_u32_e32 v2, vcc, 0, v2, vcc
	v_add_co_u32_e32 v4, vcc, 0, v1
	v_addc_co_u32_e32 v2, vcc, v2, v5, vcc
	v_mov_b32_dpp v1, v1 row_ror:4 row_mask:0xf bank_mask:0xf bound_ctrl:1
	v_add_co_u32_e32 v1, vcc, v4, v1
	v_mov_b32_dpp v5, v2 row_ror:4 row_mask:0xf bank_mask:0xf bound_ctrl:1
	v_addc_co_u32_e32 v2, vcc, 0, v2, vcc
	v_add_co_u32_e32 v4, vcc, 0, v1
	v_addc_co_u32_e32 v2, vcc, v2, v5, vcc
	v_mov_b32_dpp v1, v1 row_ror:8 row_mask:0xf bank_mask:0xf bound_ctrl:1
	v_add_co_u32_e32 v1, vcc, v4, v1
	v_mov_b32_dpp v5, v2 row_ror:8 row_mask:0xf bank_mask:0xf bound_ctrl:1
	v_addc_co_u32_e32 v2, vcc, 0, v2, vcc
	v_add_co_u32_e32 v4, vcc, 0, v1
	v_addc_co_u32_e32 v2, vcc, v2, v5, vcc
	v_mov_b32_dpp v1, v1 row_bcast:15 row_mask:0xf bank_mask:0xf bound_ctrl:1
	v_add_co_u32_e32 v1, vcc, v4, v1
	v_mov_b32_dpp v5, v2 row_bcast:15 row_mask:0xf bank_mask:0xf bound_ctrl:1
	v_addc_co_u32_e32 v2, vcc, 0, v2, vcc
	v_add_co_u32_e32 v4, vcc, 0, v1
	v_addc_co_u32_e32 v2, vcc, v2, v5, vcc
	v_mov_b32_dpp v1, v1 row_bcast:31 row_mask:0xf bank_mask:0xf bound_ctrl:1
	v_mbcnt_lo_u32_b32 v3, -1, 0
	v_add_co_u32_e32 v1, vcc, v4, v1
	v_mbcnt_hi_u32_b32 v3, -1, v3
	v_addc_co_u32_e32 v4, vcc, 0, v2, vcc
	v_cmp_eq_u32_e32 vcc, 0, v3
	s_nop 0
	v_add_u32_dpp v2, v2, v4 row_bcast:31 row_mask:0xf bank_mask:0xf bound_ctrl:1
	v_lshlrev_b32_e32 v4, 2, v3
	v_or_b32_e32 v5, 0xfc, v4
	ds_bpermute_b32 v1, v5, v1
	ds_bpermute_b32 v2, v5, v2
	s_and_saveexec_b64 s[8:9], vcc
	s_cbranch_execz .LBB230_7
; %bb.6:
	v_lshrrev_b32_e32 v5, 3, v0
	v_and_b32_e32 v5, 24, v5
	s_waitcnt lgkmcnt(0)
	ds_write_b64 v5, v[1:2]
.LBB230_7:
	s_or_b64 exec, exec, s[8:9]
	v_cmp_gt_u32_e32 vcc, 64, v0
	s_waitcnt lgkmcnt(0)
	s_barrier
	s_and_saveexec_b64 s[8:9], vcc
	s_cbranch_execz .LBB230_9
; %bb.8:
	v_and_b32_e32 v5, 3, v3
	v_lshlrev_b32_e32 v1, 3, v5
	ds_read_b64 v[1:2], v1
	v_cmp_ne_u32_e32 vcc, 3, v5
	v_addc_co_u32_e32 v3, vcc, 0, v3, vcc
	v_lshlrev_b32_e32 v3, 2, v3
	s_waitcnt lgkmcnt(0)
	ds_bpermute_b32 v5, v3, v1
	ds_bpermute_b32 v3, v3, v2
	v_or_b32_e32 v4, 8, v4
	s_waitcnt lgkmcnt(1)
	v_add_co_u32_e32 v1, vcc, v1, v5
	v_addc_co_u32_e32 v2, vcc, 0, v2, vcc
	ds_bpermute_b32 v5, v4, v1
	v_add_co_u32_e32 v1, vcc, 0, v1
	s_waitcnt lgkmcnt(1)
	v_addc_co_u32_e32 v2, vcc, v3, v2, vcc
	ds_bpermute_b32 v3, v4, v2
	s_waitcnt lgkmcnt(1)
	v_add_co_u32_e32 v1, vcc, v1, v5
	v_addc_co_u32_e32 v2, vcc, 0, v2, vcc
	v_add_co_u32_e32 v1, vcc, 0, v1
	s_waitcnt lgkmcnt(0)
	v_addc_co_u32_e32 v2, vcc, v2, v3, vcc
.LBB230_9:
	s_or_b64 exec, exec, s[8:9]
	s_mov_b64 s[8:9], 0
	s_branch .LBB230_22
.LBB230_10:
	s_mov_b64 s[2:3], 0
                                        ; implicit-def: $vgpr1_vgpr2
                                        ; implicit-def: $vgpr3_vgpr4
	s_cbranch_execnz .LBB230_145
	s_branch .LBB230_206
.LBB230_11:
	s_mov_b64 s[2:3], 0
                                        ; implicit-def: $vgpr1_vgpr2
                                        ; implicit-def: $vgpr3_vgpr4
	s_cbranch_execnz .LBB230_110
	s_branch .LBB230_144
.LBB230_12:
	s_mov_b64 s[0:1], -1
	s_mov_b64 s[2:3], 0
                                        ; implicit-def: $vgpr1_vgpr2
                                        ; implicit-def: $vgpr3_vgpr4
.LBB230_13:
	s_and_b64 vcc, exec, s[0:1]
	s_cbranch_vccz .LBB230_109
.LBB230_14:
	s_cmp_eq_u32 s26, 8
                                        ; implicit-def: $vgpr1_vgpr2
                                        ; implicit-def: $vgpr3_vgpr4
	s_cbranch_scc0 .LBB230_109
; %bb.15:
	s_mov_b32 s7, 0
	s_lshl_b32 s0, s6, 11
	s_mov_b32 s1, s7
	s_lshr_b64 s[2:3], s[18:19], 11
	s_lshl_b64 s[4:5], s[0:1], 3
	s_add_u32 s14, s16, s4
	s_addc_u32 s15, s17, s5
	s_cmp_lg_u64 s[2:3], s[6:7]
	s_cbranch_scc0 .LBB230_73
; %bb.16:
	v_lshlrev_b32_e32 v3, 3, v0
	v_mov_b32_e32 v1, s15
	v_add_co_u32_e32 v16, vcc, s14, v3
	v_addc_co_u32_e32 v17, vcc, 0, v1, vcc
	global_load_dwordx2 v[1:2], v3, s[14:15]
	global_load_dwordx2 v[4:5], v3, s[14:15] offset:2048
	v_add_co_u32_e32 v6, vcc, 0x1000, v16
	v_addc_co_u32_e32 v7, vcc, 0, v17, vcc
	global_load_dwordx2 v[8:9], v[6:7], off
	global_load_dwordx2 v[10:11], v[6:7], off offset:2048
	v_add_co_u32_e32 v6, vcc, 0x2000, v16
	v_addc_co_u32_e32 v7, vcc, 0, v17, vcc
	global_load_dwordx2 v[12:13], v[6:7], off
	global_load_dwordx2 v[14:15], v[6:7], off offset:2048
	v_add_co_u32_e32 v6, vcc, 0x3000, v16
	v_addc_co_u32_e32 v7, vcc, 0, v17, vcc
	global_load_dwordx2 v[16:17], v[6:7], off
	global_load_dwordx2 v[18:19], v[6:7], off offset:2048
	v_mbcnt_lo_u32_b32 v3, -1, 0
	v_mbcnt_hi_u32_b32 v3, -1, v3
	s_waitcnt vmcnt(6)
	v_add_co_u32_e32 v1, vcc, v4, v1
	v_addc_co_u32_e32 v2, vcc, v5, v2, vcc
	s_waitcnt vmcnt(5)
	v_add_co_u32_e32 v1, vcc, v1, v8
	v_addc_co_u32_e32 v2, vcc, v2, v9, vcc
	;; [unrolled: 3-line block ×7, first 2 shown]
	s_nop 0
	v_mov_b32_dpp v4, v1 quad_perm:[1,0,3,2] row_mask:0xf bank_mask:0xf bound_ctrl:1
	v_add_co_u32_e32 v1, vcc, v1, v4
	v_mov_b32_dpp v5, v2 quad_perm:[1,0,3,2] row_mask:0xf bank_mask:0xf bound_ctrl:1
	v_addc_co_u32_e32 v2, vcc, 0, v2, vcc
	v_add_co_u32_e32 v4, vcc, 0, v1
	v_addc_co_u32_e32 v2, vcc, v5, v2, vcc
	v_mov_b32_dpp v1, v1 quad_perm:[2,3,0,1] row_mask:0xf bank_mask:0xf bound_ctrl:1
	v_add_co_u32_e32 v1, vcc, v4, v1
	v_mov_b32_dpp v5, v2 quad_perm:[2,3,0,1] row_mask:0xf bank_mask:0xf bound_ctrl:1
	v_addc_co_u32_e32 v2, vcc, 0, v2, vcc
	v_add_co_u32_e32 v4, vcc, 0, v1
	v_addc_co_u32_e32 v2, vcc, v2, v5, vcc
	v_mov_b32_dpp v1, v1 row_ror:4 row_mask:0xf bank_mask:0xf bound_ctrl:1
	v_add_co_u32_e32 v1, vcc, v4, v1
	v_mov_b32_dpp v5, v2 row_ror:4 row_mask:0xf bank_mask:0xf bound_ctrl:1
	v_addc_co_u32_e32 v2, vcc, 0, v2, vcc
	v_add_co_u32_e32 v4, vcc, 0, v1
	v_addc_co_u32_e32 v2, vcc, v2, v5, vcc
	v_mov_b32_dpp v1, v1 row_ror:8 row_mask:0xf bank_mask:0xf bound_ctrl:1
	v_add_co_u32_e32 v1, vcc, v4, v1
	v_mov_b32_dpp v5, v2 row_ror:8 row_mask:0xf bank_mask:0xf bound_ctrl:1
	v_addc_co_u32_e32 v2, vcc, 0, v2, vcc
	v_add_co_u32_e32 v4, vcc, 0, v1
	v_addc_co_u32_e32 v2, vcc, v2, v5, vcc
	v_mov_b32_dpp v1, v1 row_bcast:15 row_mask:0xf bank_mask:0xf bound_ctrl:1
	v_add_co_u32_e32 v1, vcc, v4, v1
	v_mov_b32_dpp v5, v2 row_bcast:15 row_mask:0xf bank_mask:0xf bound_ctrl:1
	v_addc_co_u32_e32 v2, vcc, 0, v2, vcc
	v_add_co_u32_e32 v4, vcc, 0, v1
	v_addc_co_u32_e32 v2, vcc, v2, v5, vcc
	v_mov_b32_dpp v1, v1 row_bcast:31 row_mask:0xf bank_mask:0xf bound_ctrl:1
	v_add_co_u32_e32 v1, vcc, v4, v1
	v_addc_co_u32_e32 v4, vcc, 0, v2, vcc
	v_cmp_eq_u32_e32 vcc, 0, v3
	s_nop 0
	v_add_u32_dpp v2, v2, v4 row_bcast:31 row_mask:0xf bank_mask:0xf bound_ctrl:1
	v_lshlrev_b32_e32 v4, 2, v3
	v_or_b32_e32 v5, 0xfc, v4
	ds_bpermute_b32 v1, v5, v1
	ds_bpermute_b32 v2, v5, v2
	s_and_saveexec_b64 s[2:3], vcc
	s_cbranch_execz .LBB230_18
; %bb.17:
	v_lshrrev_b32_e32 v5, 3, v0
	v_and_b32_e32 v5, 24, v5
	s_waitcnt lgkmcnt(0)
	ds_write_b64 v5, v[1:2] offset:128
.LBB230_18:
	s_or_b64 exec, exec, s[2:3]
	v_cmp_gt_u32_e32 vcc, 64, v0
	s_waitcnt lgkmcnt(0)
	s_barrier
	s_and_saveexec_b64 s[2:3], vcc
	s_cbranch_execz .LBB230_20
; %bb.19:
	v_and_b32_e32 v5, 3, v3
	v_lshlrev_b32_e32 v1, 3, v5
	ds_read_b64 v[1:2], v1 offset:128
	v_cmp_ne_u32_e32 vcc, 3, v5
	v_addc_co_u32_e32 v3, vcc, 0, v3, vcc
	v_lshlrev_b32_e32 v3, 2, v3
	s_waitcnt lgkmcnt(0)
	ds_bpermute_b32 v5, v3, v1
	ds_bpermute_b32 v3, v3, v2
	v_or_b32_e32 v4, 8, v4
	s_waitcnt lgkmcnt(1)
	v_add_co_u32_e32 v1, vcc, v1, v5
	v_addc_co_u32_e32 v2, vcc, 0, v2, vcc
	ds_bpermute_b32 v5, v4, v1
	v_add_co_u32_e32 v1, vcc, 0, v1
	s_waitcnt lgkmcnt(1)
	v_addc_co_u32_e32 v2, vcc, v3, v2, vcc
	ds_bpermute_b32 v3, v4, v2
	s_waitcnt lgkmcnt(1)
	v_add_co_u32_e32 v1, vcc, v1, v5
	v_addc_co_u32_e32 v2, vcc, 0, v2, vcc
	v_add_co_u32_e32 v1, vcc, 0, v1
	s_waitcnt lgkmcnt(0)
	v_addc_co_u32_e32 v2, vcc, v2, v3, vcc
.LBB230_20:
	s_or_b64 exec, exec, s[2:3]
	s_mov_b64 s[2:3], 0
	s_branch .LBB230_74
.LBB230_21:
	s_mov_b64 s[8:9], -1
                                        ; implicit-def: $vgpr1_vgpr2
.LBB230_22:
	s_and_b64 vcc, exec, s[8:9]
	s_cbranch_vccz .LBB230_72
; %bb.23:
	s_sub_i32 s8, s18, s4
	v_cmp_gt_u32_e32 vcc, s8, v0
                                        ; implicit-def: $vgpr1_vgpr2
	s_and_saveexec_b64 s[4:5], vcc
	s_cbranch_execz .LBB230_25
; %bb.24:
	v_lshlrev_b32_e32 v1, 3, v0
	global_load_dwordx2 v[1:2], v1, s[2:3]
.LBB230_25:
	s_or_b64 exec, exec, s[4:5]
	v_or_b32_e32 v7, 0x100, v0
	v_mov_b32_e32 v3, 0
	v_mov_b32_e32 v5, 0
	;; [unrolled: 1-line block ×4, first 2 shown]
	v_cmp_gt_u32_e32 vcc, s8, v7
	s_and_saveexec_b64 s[4:5], vcc
	s_cbranch_execz .LBB230_27
; %bb.26:
	v_lshlrev_b32_e32 v5, 3, v0
	global_load_dwordx2 v[5:6], v5, s[2:3] offset:2048
.LBB230_27:
	s_or_b64 exec, exec, s[4:5]
	v_or_b32_e32 v7, 0x200, v0
	v_cmp_gt_u32_e32 vcc, s8, v7
	s_and_saveexec_b64 s[4:5], vcc
	s_cbranch_execz .LBB230_29
; %bb.28:
	v_lshlrev_b32_e32 v3, 3, v7
	global_load_dwordx2 v[3:4], v3, s[2:3]
.LBB230_29:
	s_or_b64 exec, exec, s[4:5]
	v_or_b32_e32 v11, 0x300, v0
	v_mov_b32_e32 v7, 0
	v_mov_b32_e32 v9, 0
	v_mov_b32_e32 v8, 0
	v_mov_b32_e32 v10, 0
	v_cmp_gt_u32_e32 vcc, s8, v11
	s_and_saveexec_b64 s[4:5], vcc
	s_cbranch_execz .LBB230_31
; %bb.30:
	v_lshlrev_b32_e32 v9, 3, v11
	global_load_dwordx2 v[9:10], v9, s[2:3]
.LBB230_31:
	s_or_b64 exec, exec, s[4:5]
	v_or_b32_e32 v11, 0x400, v0
	v_cmp_gt_u32_e32 vcc, s8, v11
	s_and_saveexec_b64 s[4:5], vcc
	s_cbranch_execz .LBB230_33
; %bb.32:
	v_lshlrev_b32_e32 v7, 3, v11
	global_load_dwordx2 v[7:8], v7, s[2:3]
.LBB230_33:
	s_or_b64 exec, exec, s[4:5]
	v_or_b32_e32 v15, 0x500, v0
	v_mov_b32_e32 v11, 0
	v_mov_b32_e32 v13, 0
	v_mov_b32_e32 v12, 0
	v_mov_b32_e32 v14, 0
	v_cmp_gt_u32_e32 vcc, s8, v15
	s_and_saveexec_b64 s[4:5], vcc
	s_cbranch_execz .LBB230_35
; %bb.34:
	v_lshlrev_b32_e32 v13, 3, v15
	global_load_dwordx2 v[13:14], v13, s[2:3]
.LBB230_35:
	;; [unrolled: 22-line block ×6, first 2 shown]
	s_or_b64 exec, exec, s[4:5]
	v_or_b32_e32 v31, 0xe00, v0
	v_cmp_gt_u32_e32 vcc, s8, v31
	s_and_saveexec_b64 s[4:5], vcc
	s_cbranch_execz .LBB230_53
; %bb.52:
	v_lshlrev_b32_e32 v27, 3, v31
	global_load_dwordx2 v[27:28], v27, s[2:3]
.LBB230_53:
	s_or_b64 exec, exec, s[4:5]
	v_or_b32_e32 v33, 0xf00, v0
	v_mov_b32_e32 v31, 0
	v_mov_b32_e32 v32, 0
	v_cmp_gt_u32_e32 vcc, s8, v33
	s_and_saveexec_b64 s[4:5], vcc
	s_cbranch_execz .LBB230_55
; %bb.54:
	v_lshlrev_b32_e32 v31, 3, v33
	global_load_dwordx2 v[31:32], v31, s[2:3]
.LBB230_55:
	s_or_b64 exec, exec, s[4:5]
	s_waitcnt vmcnt(0)
	v_add_co_u32_e32 v1, vcc, v5, v1
	v_addc_co_u32_e32 v2, vcc, v6, v2, vcc
	v_add_co_u32_e32 v1, vcc, v1, v3
	v_addc_co_u32_e32 v2, vcc, v2, v4, vcc
	;; [unrolled: 2-line block ×14, first 2 shown]
	v_mbcnt_lo_u32_b32 v3, -1, 0
	v_add_co_u32_e32 v1, vcc, v1, v31
	v_mbcnt_hi_u32_b32 v3, -1, v3
	v_addc_co_u32_e32 v2, vcc, v2, v32, vcc
	v_and_b32_e32 v4, 63, v3
	v_cmp_ne_u32_e32 vcc, 63, v4
	v_addc_co_u32_e32 v6, vcc, 0, v3, vcc
	v_lshlrev_b32_e32 v6, 2, v6
	ds_bpermute_b32 v8, v6, v1
	ds_bpermute_b32 v7, v6, v2
	s_min_u32 s4, s8, 0x100
	v_and_b32_e32 v5, 0xc0, v0
	v_sub_u32_e64 v5, s4, v5 clamp
	v_add_u32_e32 v6, 1, v4
	v_cmp_lt_u32_e32 vcc, v6, v5
	v_mov_b32_e32 v6, v1
	s_and_saveexec_b64 s[2:3], vcc
	s_cbranch_execz .LBB230_57
; %bb.56:
	s_waitcnt lgkmcnt(1)
	v_add_co_u32_e32 v6, vcc, v1, v8
	v_addc_co_u32_e32 v2, vcc, 0, v2, vcc
	v_add_co_u32_e32 v1, vcc, 0, v6
	s_waitcnt lgkmcnt(0)
	v_addc_co_u32_e32 v2, vcc, v7, v2, vcc
.LBB230_57:
	s_or_b64 exec, exec, s[2:3]
	v_cmp_gt_u32_e32 vcc, 62, v4
	s_waitcnt lgkmcnt(0)
	v_cndmask_b32_e64 v7, 0, 2, vcc
	v_add_lshl_u32 v7, v7, v3, 2
	ds_bpermute_b32 v8, v7, v6
	ds_bpermute_b32 v7, v7, v2
	v_add_u32_e32 v9, 2, v4
	v_cmp_lt_u32_e32 vcc, v9, v5
	s_and_saveexec_b64 s[2:3], vcc
	s_cbranch_execz .LBB230_59
; %bb.58:
	s_waitcnt lgkmcnt(1)
	v_add_co_u32_e32 v6, vcc, v1, v8
	v_addc_co_u32_e32 v2, vcc, 0, v2, vcc
	v_add_co_u32_e32 v1, vcc, 0, v6
	s_waitcnt lgkmcnt(0)
	v_addc_co_u32_e32 v2, vcc, v7, v2, vcc
.LBB230_59:
	s_or_b64 exec, exec, s[2:3]
	v_cmp_gt_u32_e32 vcc, 60, v4
	s_waitcnt lgkmcnt(0)
	v_cndmask_b32_e64 v7, 0, 4, vcc
	v_add_lshl_u32 v7, v7, v3, 2
	ds_bpermute_b32 v8, v7, v6
	ds_bpermute_b32 v7, v7, v2
	v_add_u32_e32 v9, 4, v4
	v_cmp_lt_u32_e32 vcc, v9, v5
	s_and_saveexec_b64 s[2:3], vcc
	s_cbranch_execz .LBB230_61
; %bb.60:
	s_waitcnt lgkmcnt(1)
	v_add_co_u32_e32 v6, vcc, v1, v8
	v_addc_co_u32_e32 v2, vcc, 0, v2, vcc
	v_add_co_u32_e32 v1, vcc, 0, v6
	s_waitcnt lgkmcnt(0)
	v_addc_co_u32_e32 v2, vcc, v7, v2, vcc
.LBB230_61:
	s_or_b64 exec, exec, s[2:3]
	v_cmp_gt_u32_e32 vcc, 56, v4
	s_waitcnt lgkmcnt(0)
	v_cndmask_b32_e64 v7, 0, 8, vcc
	v_add_lshl_u32 v7, v7, v3, 2
	ds_bpermute_b32 v8, v7, v6
	ds_bpermute_b32 v7, v7, v2
	v_add_u32_e32 v9, 8, v4
	v_cmp_lt_u32_e32 vcc, v9, v5
	s_and_saveexec_b64 s[2:3], vcc
	s_cbranch_execz .LBB230_63
; %bb.62:
	s_waitcnt lgkmcnt(1)
	v_add_co_u32_e32 v6, vcc, v1, v8
	v_addc_co_u32_e32 v2, vcc, 0, v2, vcc
	v_add_co_u32_e32 v1, vcc, 0, v6
	s_waitcnt lgkmcnt(0)
	v_addc_co_u32_e32 v2, vcc, v7, v2, vcc
.LBB230_63:
	s_or_b64 exec, exec, s[2:3]
	v_cmp_gt_u32_e32 vcc, 48, v4
	s_waitcnt lgkmcnt(0)
	v_cndmask_b32_e64 v7, 0, 16, vcc
	v_add_lshl_u32 v7, v7, v3, 2
	ds_bpermute_b32 v8, v7, v6
	ds_bpermute_b32 v7, v7, v2
	v_add_u32_e32 v9, 16, v4
	v_cmp_lt_u32_e32 vcc, v9, v5
	s_and_saveexec_b64 s[2:3], vcc
	s_cbranch_execz .LBB230_65
; %bb.64:
	s_waitcnt lgkmcnt(1)
	v_add_co_u32_e32 v6, vcc, v1, v8
	v_addc_co_u32_e32 v2, vcc, 0, v2, vcc
	v_add_co_u32_e32 v1, vcc, 0, v6
	s_waitcnt lgkmcnt(0)
	v_addc_co_u32_e32 v2, vcc, v7, v2, vcc
.LBB230_65:
	s_or_b64 exec, exec, s[2:3]
	s_waitcnt lgkmcnt(0)
	v_lshlrev_b32_e32 v7, 2, v3
	v_or_b32_e32 v8, 0x80, v7
	ds_bpermute_b32 v6, v8, v6
	ds_bpermute_b32 v8, v8, v2
	v_add_u32_e32 v4, 32, v4
	s_waitcnt lgkmcnt(1)
	v_add_co_u32_e32 v6, vcc, v1, v6
	v_addc_co_u32_e32 v9, vcc, 0, v2, vcc
	v_add_co_u32_e32 v6, vcc, 0, v6
	s_waitcnt lgkmcnt(0)
	v_addc_co_u32_e32 v8, vcc, v9, v8, vcc
	v_cmp_lt_u32_e32 vcc, v4, v5
	v_cndmask_b32_e32 v2, v2, v8, vcc
	v_cndmask_b32_e32 v1, v1, v6, vcc
	v_cmp_eq_u32_e32 vcc, 0, v3
	s_and_saveexec_b64 s[2:3], vcc
; %bb.66:
	v_lshrrev_b32_e32 v4, 3, v0
	v_and_b32_e32 v4, 24, v4
	ds_write_b64 v4, v[1:2] offset:160
; %bb.67:
	s_or_b64 exec, exec, s[2:3]
	v_cmp_gt_u32_e32 vcc, 4, v0
	s_waitcnt lgkmcnt(0)
	s_barrier
	s_and_saveexec_b64 s[2:3], vcc
	s_cbranch_execz .LBB230_71
; %bb.68:
	v_lshlrev_b32_e32 v1, 3, v3
	ds_read_b64 v[1:2], v1 offset:160
	v_and_b32_e32 v4, 3, v3
	v_cmp_ne_u32_e32 vcc, 3, v4
	v_addc_co_u32_e32 v3, vcc, 0, v3, vcc
	v_lshlrev_b32_e32 v3, 2, v3
	s_waitcnt lgkmcnt(0)
	ds_bpermute_b32 v6, v3, v1
	ds_bpermute_b32 v5, v3, v2
	s_add_i32 s4, s4, 63
	s_lshr_b32 s8, s4, 6
	v_add_u32_e32 v3, 1, v4
	v_cmp_gt_u32_e32 vcc, s8, v3
	v_mov_b32_e32 v3, v1
	s_and_saveexec_b64 s[4:5], vcc
	s_cbranch_execz .LBB230_70
; %bb.69:
	s_waitcnt lgkmcnt(1)
	v_add_co_u32_e32 v3, vcc, v1, v6
	v_addc_co_u32_e32 v2, vcc, 0, v2, vcc
	v_add_co_u32_e32 v1, vcc, 0, v3
	s_waitcnt lgkmcnt(0)
	v_addc_co_u32_e32 v2, vcc, v5, v2, vcc
.LBB230_70:
	s_or_b64 exec, exec, s[4:5]
	s_waitcnt lgkmcnt(0)
	v_or_b32_e32 v5, 8, v7
	ds_bpermute_b32 v3, v5, v3
	ds_bpermute_b32 v5, v5, v2
	v_add_u32_e32 v4, 2, v4
	s_waitcnt lgkmcnt(1)
	v_add_co_u32_e32 v3, vcc, v1, v3
	v_addc_co_u32_e32 v6, vcc, 0, v2, vcc
	v_add_co_u32_e32 v3, vcc, 0, v3
	s_waitcnt lgkmcnt(0)
	v_addc_co_u32_e32 v5, vcc, v6, v5, vcc
	v_cmp_gt_u32_e32 vcc, s8, v4
	v_cndmask_b32_e32 v2, v2, v5, vcc
	v_cndmask_b32_e32 v1, v1, v3, vcc
.LBB230_71:
	s_or_b64 exec, exec, s[2:3]
.LBB230_72:
	v_mov_b32_e32 v3, s6
	v_cmp_eq_u32_e64 s[2:3], 0, v0
	v_mov_b32_e32 v4, s7
	s_and_b64 vcc, exec, s[0:1]
	s_cbranch_vccnz .LBB230_14
	s_branch .LBB230_109
.LBB230_73:
	s_mov_b64 s[2:3], -1
                                        ; implicit-def: $vgpr1_vgpr2
.LBB230_74:
	s_and_b64 vcc, exec, s[2:3]
	s_cbranch_vccz .LBB230_108
; %bb.75:
	s_sub_i32 s27, s18, s0
	v_mov_b32_e32 v1, 0
	v_cmp_gt_u32_e32 vcc, s27, v0
	v_mov_b32_e32 v2, v1
	v_mov_b32_e32 v3, v1
	;; [unrolled: 1-line block ×15, first 2 shown]
	s_and_saveexec_b64 s[0:1], vcc
	s_cbranch_execz .LBB230_77
; %bb.76:
	v_mov_b32_e32 v3, v1
	v_mov_b32_e32 v4, v1
	;; [unrolled: 1-line block ×14, first 2 shown]
	v_lshlrev_b32_e32 v1, 3, v0
	global_load_dwordx2 v[1:2], v1, s[14:15]
.LBB230_77:
	s_or_b64 exec, exec, s[0:1]
	v_or_b32_e32 v17, 0x100, v0
	v_cmp_gt_u32_e32 vcc, s27, v17
	s_and_saveexec_b64 s[0:1], vcc
	s_cbranch_execz .LBB230_79
; %bb.78:
	v_lshlrev_b32_e32 v3, 3, v0
	global_load_dwordx2 v[3:4], v3, s[14:15] offset:2048
.LBB230_79:
	s_or_b64 exec, exec, s[0:1]
	v_or_b32_e32 v17, 0x200, v0
	v_cmp_gt_u32_e64 s[0:1], s27, v17
	s_and_saveexec_b64 s[2:3], s[0:1]
	s_cbranch_execz .LBB230_81
; %bb.80:
	v_lshlrev_b32_e32 v5, 3, v17
	global_load_dwordx2 v[5:6], v5, s[14:15]
.LBB230_81:
	s_or_b64 exec, exec, s[2:3]
	v_or_b32_e32 v17, 0x300, v0
	v_cmp_gt_u32_e64 s[2:3], s27, v17
	s_and_saveexec_b64 s[4:5], s[2:3]
	s_cbranch_execz .LBB230_83
; %bb.82:
	v_lshlrev_b32_e32 v7, 3, v17
	global_load_dwordx2 v[7:8], v7, s[14:15]
.LBB230_83:
	s_or_b64 exec, exec, s[4:5]
	v_or_b32_e32 v17, 0x400, v0
	v_cmp_gt_u32_e64 s[4:5], s27, v17
	s_and_saveexec_b64 s[8:9], s[4:5]
	s_cbranch_execz .LBB230_85
; %bb.84:
	v_lshlrev_b32_e32 v9, 3, v17
	global_load_dwordx2 v[9:10], v9, s[14:15]
.LBB230_85:
	s_or_b64 exec, exec, s[8:9]
	v_or_b32_e32 v17, 0x500, v0
	v_cmp_gt_u32_e64 s[8:9], s27, v17
	s_and_saveexec_b64 s[10:11], s[8:9]
	s_cbranch_execz .LBB230_87
; %bb.86:
	v_lshlrev_b32_e32 v11, 3, v17
	global_load_dwordx2 v[11:12], v11, s[14:15]
.LBB230_87:
	s_or_b64 exec, exec, s[10:11]
	v_or_b32_e32 v17, 0x600, v0
	v_cmp_gt_u32_e64 s[10:11], s27, v17
	s_and_saveexec_b64 s[12:13], s[10:11]
	s_cbranch_execz .LBB230_89
; %bb.88:
	v_lshlrev_b32_e32 v13, 3, v17
	global_load_dwordx2 v[13:14], v13, s[14:15]
.LBB230_89:
	s_or_b64 exec, exec, s[12:13]
	v_or_b32_e32 v17, 0x700, v0
	v_cmp_gt_u32_e64 s[12:13], s27, v17
	s_and_saveexec_b64 s[24:25], s[12:13]
	s_cbranch_execz .LBB230_91
; %bb.90:
	v_lshlrev_b32_e32 v15, 3, v17
	global_load_dwordx2 v[15:16], v15, s[14:15]
.LBB230_91:
	s_or_b64 exec, exec, s[24:25]
	s_waitcnt vmcnt(0)
	v_cndmask_b32_e32 v3, 0, v3, vcc
	v_cndmask_b32_e32 v4, 0, v4, vcc
	v_add_co_u32_e32 v1, vcc, v3, v1
	v_addc_co_u32_e32 v2, vcc, v4, v2, vcc
	v_cndmask_b32_e64 v4, 0, v5, s[0:1]
	v_cndmask_b32_e64 v3, 0, v6, s[0:1]
	v_add_co_u32_e32 v1, vcc, v1, v4
	v_addc_co_u32_e32 v2, vcc, v2, v3, vcc
	v_cndmask_b32_e64 v4, 0, v7, s[2:3]
	v_cndmask_b32_e64 v3, 0, v8, s[2:3]
	;; [unrolled: 4-line block ×6, first 2 shown]
	v_add_co_u32_e32 v1, vcc, v1, v4
	v_addc_co_u32_e32 v2, vcc, v2, v3, vcc
	v_mbcnt_lo_u32_b32 v3, -1, 0
	v_mbcnt_hi_u32_b32 v3, -1, v3
	v_and_b32_e32 v4, 63, v3
	v_cmp_ne_u32_e32 vcc, 63, v4
	v_addc_co_u32_e32 v6, vcc, 0, v3, vcc
	v_lshlrev_b32_e32 v6, 2, v6
	ds_bpermute_b32 v8, v6, v1
	ds_bpermute_b32 v7, v6, v2
	s_min_u32 s2, s27, 0x100
	v_and_b32_e32 v5, 0xc0, v0
	v_sub_u32_e64 v5, s2, v5 clamp
	v_add_u32_e32 v6, 1, v4
	v_cmp_lt_u32_e32 vcc, v6, v5
	v_mov_b32_e32 v6, v1
	s_and_saveexec_b64 s[0:1], vcc
	s_cbranch_execz .LBB230_93
; %bb.92:
	s_waitcnt lgkmcnt(1)
	v_add_co_u32_e32 v6, vcc, v1, v8
	v_addc_co_u32_e32 v2, vcc, 0, v2, vcc
	v_add_co_u32_e32 v1, vcc, 0, v6
	s_waitcnt lgkmcnt(0)
	v_addc_co_u32_e32 v2, vcc, v2, v7, vcc
.LBB230_93:
	s_or_b64 exec, exec, s[0:1]
	v_cmp_gt_u32_e32 vcc, 62, v4
	s_waitcnt lgkmcnt(0)
	v_cndmask_b32_e64 v7, 0, 2, vcc
	v_add_lshl_u32 v7, v7, v3, 2
	ds_bpermute_b32 v8, v7, v6
	ds_bpermute_b32 v7, v7, v2
	v_add_u32_e32 v9, 2, v4
	v_cmp_lt_u32_e32 vcc, v9, v5
	s_and_saveexec_b64 s[0:1], vcc
	s_cbranch_execz .LBB230_95
; %bb.94:
	s_waitcnt lgkmcnt(1)
	v_add_co_u32_e32 v6, vcc, v1, v8
	v_addc_co_u32_e32 v2, vcc, 0, v2, vcc
	v_add_co_u32_e32 v1, vcc, 0, v6
	s_waitcnt lgkmcnt(0)
	v_addc_co_u32_e32 v2, vcc, v7, v2, vcc
.LBB230_95:
	s_or_b64 exec, exec, s[0:1]
	v_cmp_gt_u32_e32 vcc, 60, v4
	s_waitcnt lgkmcnt(0)
	v_cndmask_b32_e64 v7, 0, 4, vcc
	v_add_lshl_u32 v7, v7, v3, 2
	ds_bpermute_b32 v8, v7, v6
	ds_bpermute_b32 v7, v7, v2
	v_add_u32_e32 v9, 4, v4
	v_cmp_lt_u32_e32 vcc, v9, v5
	;; [unrolled: 19-line block ×4, first 2 shown]
	s_and_saveexec_b64 s[0:1], vcc
	s_cbranch_execz .LBB230_101
; %bb.100:
	s_waitcnt lgkmcnt(1)
	v_add_co_u32_e32 v6, vcc, v1, v8
	v_addc_co_u32_e32 v2, vcc, 0, v2, vcc
	v_add_co_u32_e32 v1, vcc, 0, v6
	s_waitcnt lgkmcnt(0)
	v_addc_co_u32_e32 v2, vcc, v7, v2, vcc
.LBB230_101:
	s_or_b64 exec, exec, s[0:1]
	s_waitcnt lgkmcnt(0)
	v_lshlrev_b32_e32 v7, 2, v3
	v_or_b32_e32 v8, 0x80, v7
	ds_bpermute_b32 v6, v8, v6
	ds_bpermute_b32 v8, v8, v2
	v_add_u32_e32 v4, 32, v4
	s_waitcnt lgkmcnt(1)
	v_add_co_u32_e32 v6, vcc, v1, v6
	v_addc_co_u32_e32 v9, vcc, 0, v2, vcc
	v_add_co_u32_e32 v6, vcc, 0, v6
	s_waitcnt lgkmcnt(0)
	v_addc_co_u32_e32 v8, vcc, v9, v8, vcc
	v_cmp_lt_u32_e32 vcc, v4, v5
	v_cndmask_b32_e32 v2, v2, v8, vcc
	v_cndmask_b32_e32 v1, v1, v6, vcc
	v_cmp_eq_u32_e32 vcc, 0, v3
	s_and_saveexec_b64 s[0:1], vcc
; %bb.102:
	v_lshrrev_b32_e32 v4, 3, v0
	v_and_b32_e32 v4, 24, v4
	ds_write_b64 v4, v[1:2] offset:160
; %bb.103:
	s_or_b64 exec, exec, s[0:1]
	v_cmp_gt_u32_e32 vcc, 4, v0
	s_waitcnt lgkmcnt(0)
	s_barrier
	s_and_saveexec_b64 s[0:1], vcc
	s_cbranch_execz .LBB230_107
; %bb.104:
	v_lshlrev_b32_e32 v1, 3, v3
	ds_read_b64 v[1:2], v1 offset:160
	v_and_b32_e32 v4, 3, v3
	v_cmp_ne_u32_e32 vcc, 3, v4
	v_addc_co_u32_e32 v3, vcc, 0, v3, vcc
	v_lshlrev_b32_e32 v3, 2, v3
	s_waitcnt lgkmcnt(0)
	ds_bpermute_b32 v6, v3, v1
	ds_bpermute_b32 v5, v3, v2
	s_add_i32 s2, s2, 63
	s_lshr_b32 s4, s2, 6
	v_add_u32_e32 v3, 1, v4
	v_cmp_gt_u32_e32 vcc, s4, v3
	v_mov_b32_e32 v3, v1
	s_and_saveexec_b64 s[2:3], vcc
	s_cbranch_execz .LBB230_106
; %bb.105:
	s_waitcnt lgkmcnt(1)
	v_add_co_u32_e32 v3, vcc, v1, v6
	v_addc_co_u32_e32 v2, vcc, 0, v2, vcc
	v_add_co_u32_e32 v1, vcc, 0, v3
	s_waitcnt lgkmcnt(0)
	v_addc_co_u32_e32 v2, vcc, v5, v2, vcc
.LBB230_106:
	s_or_b64 exec, exec, s[2:3]
	s_waitcnt lgkmcnt(0)
	v_or_b32_e32 v5, 8, v7
	ds_bpermute_b32 v3, v5, v3
	ds_bpermute_b32 v5, v5, v2
	v_add_u32_e32 v4, 2, v4
	s_waitcnt lgkmcnt(1)
	v_add_co_u32_e32 v3, vcc, v1, v3
	v_addc_co_u32_e32 v6, vcc, 0, v2, vcc
	v_add_co_u32_e32 v3, vcc, 0, v3
	s_waitcnt lgkmcnt(0)
	v_addc_co_u32_e32 v5, vcc, v6, v5, vcc
	v_cmp_gt_u32_e32 vcc, s4, v4
	v_cndmask_b32_e32 v2, v2, v5, vcc
	v_cndmask_b32_e32 v1, v1, v3, vcc
.LBB230_107:
	s_or_b64 exec, exec, s[0:1]
.LBB230_108:
	v_mov_b32_e32 v3, s6
	v_cmp_eq_u32_e64 s[2:3], 0, v0
	v_mov_b32_e32 v4, s7
.LBB230_109:
	s_branch .LBB230_144
.LBB230_110:
	s_cmp_eq_u32 s26, 4
                                        ; implicit-def: $vgpr1_vgpr2
                                        ; implicit-def: $vgpr3_vgpr4
	s_cbranch_scc0 .LBB230_144
; %bb.111:
	s_mov_b32 s7, 0
	s_lshl_b32 s0, s6, 10
	s_mov_b32 s1, s7
	s_lshr_b64 s[2:3], s[18:19], 10
	s_lshl_b64 s[4:5], s[0:1], 3
	s_add_u32 s4, s16, s4
	s_addc_u32 s5, s17, s5
	s_cmp_lg_u64 s[2:3], s[6:7]
	s_cbranch_scc0 .LBB230_117
; %bb.112:
	v_lshlrev_b32_e32 v3, 3, v0
	v_mov_b32_e32 v1, s5
	v_add_co_u32_e32 v4, vcc, s4, v3
	v_addc_co_u32_e32 v7, vcc, 0, v1, vcc
	global_load_dwordx2 v[1:2], v3, s[4:5]
	global_load_dwordx2 v[5:6], v3, s[4:5] offset:2048
	v_add_co_u32_e32 v3, vcc, 0x1000, v4
	v_addc_co_u32_e32 v4, vcc, 0, v7, vcc
	global_load_dwordx2 v[7:8], v[3:4], off
	global_load_dwordx2 v[9:10], v[3:4], off offset:2048
	v_mbcnt_lo_u32_b32 v3, -1, 0
	v_mbcnt_hi_u32_b32 v3, -1, v3
	v_lshlrev_b32_e32 v4, 2, v3
	v_or_b32_e32 v11, 0xfc, v4
	s_waitcnt vmcnt(2)
	v_add_co_u32_e32 v1, vcc, v5, v1
	v_addc_co_u32_e32 v2, vcc, v6, v2, vcc
	s_waitcnt vmcnt(1)
	v_add_co_u32_e32 v1, vcc, v1, v7
	v_addc_co_u32_e32 v2, vcc, v2, v8, vcc
	;; [unrolled: 3-line block ×3, first 2 shown]
	s_nop 0
	v_mov_b32_dpp v5, v1 quad_perm:[1,0,3,2] row_mask:0xf bank_mask:0xf bound_ctrl:1
	v_add_co_u32_e32 v1, vcc, v1, v5
	v_mov_b32_dpp v6, v2 quad_perm:[1,0,3,2] row_mask:0xf bank_mask:0xf bound_ctrl:1
	v_addc_co_u32_e32 v2, vcc, 0, v2, vcc
	v_add_co_u32_e32 v5, vcc, 0, v1
	v_addc_co_u32_e32 v2, vcc, v6, v2, vcc
	v_mov_b32_dpp v1, v1 quad_perm:[2,3,0,1] row_mask:0xf bank_mask:0xf bound_ctrl:1
	v_add_co_u32_e32 v1, vcc, v5, v1
	v_mov_b32_dpp v6, v2 quad_perm:[2,3,0,1] row_mask:0xf bank_mask:0xf bound_ctrl:1
	v_addc_co_u32_e32 v2, vcc, 0, v2, vcc
	v_add_co_u32_e32 v5, vcc, 0, v1
	v_addc_co_u32_e32 v2, vcc, v2, v6, vcc
	v_mov_b32_dpp v1, v1 row_ror:4 row_mask:0xf bank_mask:0xf bound_ctrl:1
	v_add_co_u32_e32 v1, vcc, v5, v1
	v_mov_b32_dpp v6, v2 row_ror:4 row_mask:0xf bank_mask:0xf bound_ctrl:1
	v_addc_co_u32_e32 v2, vcc, 0, v2, vcc
	v_add_co_u32_e32 v5, vcc, 0, v1
	v_addc_co_u32_e32 v2, vcc, v2, v6, vcc
	v_mov_b32_dpp v1, v1 row_ror:8 row_mask:0xf bank_mask:0xf bound_ctrl:1
	v_add_co_u32_e32 v1, vcc, v5, v1
	v_mov_b32_dpp v6, v2 row_ror:8 row_mask:0xf bank_mask:0xf bound_ctrl:1
	v_addc_co_u32_e32 v2, vcc, 0, v2, vcc
	v_add_co_u32_e32 v5, vcc, 0, v1
	v_addc_co_u32_e32 v2, vcc, v2, v6, vcc
	v_mov_b32_dpp v1, v1 row_bcast:15 row_mask:0xf bank_mask:0xf bound_ctrl:1
	v_add_co_u32_e32 v1, vcc, v5, v1
	v_mov_b32_dpp v6, v2 row_bcast:15 row_mask:0xf bank_mask:0xf bound_ctrl:1
	v_addc_co_u32_e32 v2, vcc, 0, v2, vcc
	v_add_co_u32_e32 v5, vcc, 0, v1
	v_addc_co_u32_e32 v2, vcc, v2, v6, vcc
	v_mov_b32_dpp v1, v1 row_bcast:31 row_mask:0xf bank_mask:0xf bound_ctrl:1
	v_add_co_u32_e32 v1, vcc, v5, v1
	v_addc_co_u32_e32 v5, vcc, 0, v2, vcc
	ds_bpermute_b32 v1, v11, v1
	s_nop 0
	v_add_u32_dpp v2, v2, v5 row_bcast:31 row_mask:0xf bank_mask:0xf bound_ctrl:1
	ds_bpermute_b32 v2, v11, v2
	v_cmp_eq_u32_e32 vcc, 0, v3
	s_and_saveexec_b64 s[2:3], vcc
	s_cbranch_execz .LBB230_114
; %bb.113:
	v_lshrrev_b32_e32 v5, 3, v0
	v_and_b32_e32 v5, 24, v5
	s_waitcnt lgkmcnt(0)
	ds_write_b64 v5, v[1:2] offset:96
.LBB230_114:
	s_or_b64 exec, exec, s[2:3]
	v_cmp_gt_u32_e32 vcc, 64, v0
	s_waitcnt lgkmcnt(0)
	s_barrier
	s_and_saveexec_b64 s[2:3], vcc
	s_cbranch_execz .LBB230_116
; %bb.115:
	v_and_b32_e32 v5, 3, v3
	v_lshlrev_b32_e32 v1, 3, v5
	ds_read_b64 v[1:2], v1 offset:96
	v_cmp_ne_u32_e32 vcc, 3, v5
	v_addc_co_u32_e32 v3, vcc, 0, v3, vcc
	v_lshlrev_b32_e32 v3, 2, v3
	s_waitcnt lgkmcnt(0)
	ds_bpermute_b32 v5, v3, v1
	ds_bpermute_b32 v3, v3, v2
	v_or_b32_e32 v4, 8, v4
	s_waitcnt lgkmcnt(1)
	v_add_co_u32_e32 v1, vcc, v1, v5
	v_addc_co_u32_e32 v2, vcc, 0, v2, vcc
	ds_bpermute_b32 v5, v4, v1
	v_add_co_u32_e32 v1, vcc, 0, v1
	s_waitcnt lgkmcnt(1)
	v_addc_co_u32_e32 v2, vcc, v3, v2, vcc
	ds_bpermute_b32 v3, v4, v2
	s_waitcnt lgkmcnt(1)
	v_add_co_u32_e32 v1, vcc, v1, v5
	v_addc_co_u32_e32 v2, vcc, 0, v2, vcc
	v_add_co_u32_e32 v1, vcc, 0, v1
	s_waitcnt lgkmcnt(0)
	v_addc_co_u32_e32 v2, vcc, v2, v3, vcc
.LBB230_116:
	s_or_b64 exec, exec, s[2:3]
	s_branch .LBB230_143
.LBB230_117:
                                        ; implicit-def: $vgpr1_vgpr2
	s_cbranch_execz .LBB230_143
; %bb.118:
	s_sub_i32 s10, s18, s0
	v_mov_b32_e32 v1, 0
	v_cmp_gt_u32_e32 vcc, s10, v0
	v_mov_b32_e32 v2, v1
	v_mov_b32_e32 v3, v1
	;; [unrolled: 1-line block ×7, first 2 shown]
	s_and_saveexec_b64 s[0:1], vcc
	s_cbranch_execz .LBB230_120
; %bb.119:
	v_lshlrev_b32_e32 v2, 3, v0
	global_load_dwordx2 v[2:3], v2, s[4:5]
	v_mov_b32_e32 v4, v1
	v_mov_b32_e32 v5, v1
	;; [unrolled: 1-line block ×6, first 2 shown]
	s_waitcnt vmcnt(0)
	v_mov_b32_e32 v1, v2
	v_mov_b32_e32 v2, v3
	;; [unrolled: 1-line block ×8, first 2 shown]
.LBB230_120:
	s_or_b64 exec, exec, s[0:1]
	v_or_b32_e32 v9, 0x100, v0
	v_cmp_gt_u32_e32 vcc, s10, v9
	s_and_saveexec_b64 s[0:1], vcc
	s_cbranch_execz .LBB230_122
; %bb.121:
	v_lshlrev_b32_e32 v3, 3, v0
	global_load_dwordx2 v[3:4], v3, s[4:5] offset:2048
.LBB230_122:
	s_or_b64 exec, exec, s[0:1]
	v_or_b32_e32 v9, 0x200, v0
	v_cmp_gt_u32_e64 s[0:1], s10, v9
	s_and_saveexec_b64 s[2:3], s[0:1]
	s_cbranch_execz .LBB230_124
; %bb.123:
	v_lshlrev_b32_e32 v5, 3, v9
	global_load_dwordx2 v[5:6], v5, s[4:5]
.LBB230_124:
	s_or_b64 exec, exec, s[2:3]
	v_or_b32_e32 v9, 0x300, v0
	v_cmp_gt_u32_e64 s[2:3], s10, v9
	s_and_saveexec_b64 s[8:9], s[2:3]
	s_cbranch_execz .LBB230_126
; %bb.125:
	v_lshlrev_b32_e32 v7, 3, v9
	global_load_dwordx2 v[7:8], v7, s[4:5]
.LBB230_126:
	s_or_b64 exec, exec, s[8:9]
	s_waitcnt vmcnt(0)
	v_cndmask_b32_e32 v3, 0, v3, vcc
	v_cndmask_b32_e32 v4, 0, v4, vcc
	v_add_co_u32_e32 v1, vcc, v3, v1
	v_addc_co_u32_e32 v2, vcc, v4, v2, vcc
	v_cndmask_b32_e64 v4, 0, v5, s[0:1]
	v_cndmask_b32_e64 v3, 0, v6, s[0:1]
	v_add_co_u32_e32 v1, vcc, v1, v4
	v_addc_co_u32_e32 v2, vcc, v2, v3, vcc
	v_cndmask_b32_e64 v4, 0, v7, s[2:3]
	v_cndmask_b32_e64 v3, 0, v8, s[2:3]
	v_add_co_u32_e32 v1, vcc, v1, v4
	v_addc_co_u32_e32 v2, vcc, v2, v3, vcc
	v_mbcnt_lo_u32_b32 v3, -1, 0
	v_mbcnt_hi_u32_b32 v3, -1, v3
	v_and_b32_e32 v4, 63, v3
	v_cmp_ne_u32_e32 vcc, 63, v4
	v_addc_co_u32_e32 v6, vcc, 0, v3, vcc
	v_lshlrev_b32_e32 v6, 2, v6
	ds_bpermute_b32 v8, v6, v1
	ds_bpermute_b32 v7, v6, v2
	s_min_u32 s2, s10, 0x100
	v_and_b32_e32 v5, 0xc0, v0
	v_sub_u32_e64 v5, s2, v5 clamp
	v_add_u32_e32 v6, 1, v4
	v_cmp_lt_u32_e32 vcc, v6, v5
	v_mov_b32_e32 v6, v1
	s_and_saveexec_b64 s[0:1], vcc
	s_cbranch_execz .LBB230_128
; %bb.127:
	s_waitcnt lgkmcnt(1)
	v_add_co_u32_e32 v6, vcc, v1, v8
	v_addc_co_u32_e32 v2, vcc, 0, v2, vcc
	v_add_co_u32_e32 v1, vcc, 0, v6
	s_waitcnt lgkmcnt(0)
	v_addc_co_u32_e32 v2, vcc, v7, v2, vcc
.LBB230_128:
	s_or_b64 exec, exec, s[0:1]
	v_cmp_gt_u32_e32 vcc, 62, v4
	s_waitcnt lgkmcnt(0)
	v_cndmask_b32_e64 v7, 0, 2, vcc
	v_add_lshl_u32 v7, v7, v3, 2
	ds_bpermute_b32 v8, v7, v6
	ds_bpermute_b32 v7, v7, v2
	v_add_u32_e32 v9, 2, v4
	v_cmp_lt_u32_e32 vcc, v9, v5
	s_and_saveexec_b64 s[0:1], vcc
	s_cbranch_execz .LBB230_130
; %bb.129:
	s_waitcnt lgkmcnt(1)
	v_add_co_u32_e32 v6, vcc, v1, v8
	v_addc_co_u32_e32 v2, vcc, 0, v2, vcc
	v_add_co_u32_e32 v1, vcc, 0, v6
	s_waitcnt lgkmcnt(0)
	v_addc_co_u32_e32 v2, vcc, v7, v2, vcc
.LBB230_130:
	s_or_b64 exec, exec, s[0:1]
	v_cmp_gt_u32_e32 vcc, 60, v4
	s_waitcnt lgkmcnt(0)
	v_cndmask_b32_e64 v7, 0, 4, vcc
	v_add_lshl_u32 v7, v7, v3, 2
	ds_bpermute_b32 v8, v7, v6
	ds_bpermute_b32 v7, v7, v2
	v_add_u32_e32 v9, 4, v4
	v_cmp_lt_u32_e32 vcc, v9, v5
	;; [unrolled: 19-line block ×4, first 2 shown]
	s_and_saveexec_b64 s[0:1], vcc
	s_cbranch_execz .LBB230_136
; %bb.135:
	s_waitcnt lgkmcnt(1)
	v_add_co_u32_e32 v6, vcc, v1, v8
	v_addc_co_u32_e32 v2, vcc, 0, v2, vcc
	v_add_co_u32_e32 v1, vcc, 0, v6
	s_waitcnt lgkmcnt(0)
	v_addc_co_u32_e32 v2, vcc, v7, v2, vcc
.LBB230_136:
	s_or_b64 exec, exec, s[0:1]
	s_waitcnt lgkmcnt(0)
	v_lshlrev_b32_e32 v7, 2, v3
	v_or_b32_e32 v8, 0x80, v7
	ds_bpermute_b32 v6, v8, v6
	ds_bpermute_b32 v8, v8, v2
	v_add_u32_e32 v4, 32, v4
	s_waitcnt lgkmcnt(1)
	v_add_co_u32_e32 v6, vcc, v1, v6
	v_addc_co_u32_e32 v9, vcc, 0, v2, vcc
	v_add_co_u32_e32 v6, vcc, 0, v6
	s_waitcnt lgkmcnt(0)
	v_addc_co_u32_e32 v8, vcc, v9, v8, vcc
	v_cmp_lt_u32_e32 vcc, v4, v5
	v_cndmask_b32_e32 v2, v2, v8, vcc
	v_cndmask_b32_e32 v1, v1, v6, vcc
	v_cmp_eq_u32_e32 vcc, 0, v3
	s_and_saveexec_b64 s[0:1], vcc
; %bb.137:
	v_lshrrev_b32_e32 v4, 3, v0
	v_and_b32_e32 v4, 24, v4
	ds_write_b64 v4, v[1:2] offset:160
; %bb.138:
	s_or_b64 exec, exec, s[0:1]
	v_cmp_gt_u32_e32 vcc, 4, v0
	s_waitcnt lgkmcnt(0)
	s_barrier
	s_and_saveexec_b64 s[0:1], vcc
	s_cbranch_execz .LBB230_142
; %bb.139:
	v_lshlrev_b32_e32 v1, 3, v3
	ds_read_b64 v[1:2], v1 offset:160
	v_and_b32_e32 v4, 3, v3
	v_cmp_ne_u32_e32 vcc, 3, v4
	v_addc_co_u32_e32 v3, vcc, 0, v3, vcc
	v_lshlrev_b32_e32 v3, 2, v3
	s_waitcnt lgkmcnt(0)
	ds_bpermute_b32 v6, v3, v1
	ds_bpermute_b32 v5, v3, v2
	s_add_i32 s2, s2, 63
	s_lshr_b32 s4, s2, 6
	v_add_u32_e32 v3, 1, v4
	v_cmp_gt_u32_e32 vcc, s4, v3
	v_mov_b32_e32 v3, v1
	s_and_saveexec_b64 s[2:3], vcc
	s_cbranch_execz .LBB230_141
; %bb.140:
	s_waitcnt lgkmcnt(1)
	v_add_co_u32_e32 v3, vcc, v1, v6
	v_addc_co_u32_e32 v2, vcc, 0, v2, vcc
	v_add_co_u32_e32 v1, vcc, 0, v3
	s_waitcnt lgkmcnt(0)
	v_addc_co_u32_e32 v2, vcc, v5, v2, vcc
.LBB230_141:
	s_or_b64 exec, exec, s[2:3]
	s_waitcnt lgkmcnt(0)
	v_or_b32_e32 v5, 8, v7
	ds_bpermute_b32 v3, v5, v3
	ds_bpermute_b32 v5, v5, v2
	v_add_u32_e32 v4, 2, v4
	s_waitcnt lgkmcnt(1)
	v_add_co_u32_e32 v3, vcc, v1, v3
	v_addc_co_u32_e32 v6, vcc, 0, v2, vcc
	v_add_co_u32_e32 v3, vcc, 0, v3
	s_waitcnt lgkmcnt(0)
	v_addc_co_u32_e32 v5, vcc, v6, v5, vcc
	v_cmp_gt_u32_e32 vcc, s4, v4
	v_cndmask_b32_e32 v2, v2, v5, vcc
	v_cndmask_b32_e32 v1, v1, v3, vcc
.LBB230_142:
	s_or_b64 exec, exec, s[0:1]
.LBB230_143:
	v_mov_b32_e32 v3, s6
	v_cmp_eq_u32_e64 s[2:3], 0, v0
	v_mov_b32_e32 v4, s7
.LBB230_144:
	s_branch .LBB230_206
.LBB230_145:
	s_cmp_gt_i32 s26, 1
	s_cbranch_scc0 .LBB230_153
; %bb.146:
	s_cmp_eq_u32 s26, 2
                                        ; implicit-def: $vgpr1_vgpr2
                                        ; implicit-def: $vgpr3_vgpr4
	s_cbranch_scc0 .LBB230_154
; %bb.147:
	s_mov_b32 s7, 0
	s_lshl_b32 s2, s6, 9
	s_mov_b32 s3, s7
	s_lshr_b64 s[4:5], s[18:19], 9
	s_lshl_b64 s[0:1], s[2:3], 3
	s_add_u32 s0, s16, s0
	s_addc_u32 s1, s17, s1
	s_cmp_lg_u64 s[4:5], s[6:7]
	s_cbranch_scc0 .LBB230_155
; %bb.148:
	v_lshlrev_b32_e32 v3, 3, v0
	global_load_dwordx2 v[1:2], v3, s[0:1]
	global_load_dwordx2 v[5:6], v3, s[0:1] offset:2048
	v_mbcnt_lo_u32_b32 v3, -1, 0
	v_mbcnt_hi_u32_b32 v3, -1, v3
	v_lshlrev_b32_e32 v4, 2, v3
	v_or_b32_e32 v7, 0xfc, v4
	s_waitcnt vmcnt(0)
	v_add_co_u32_e32 v1, vcc, v5, v1
	v_addc_co_u32_e32 v2, vcc, v6, v2, vcc
	s_nop 0
	v_mov_b32_dpp v5, v1 quad_perm:[1,0,3,2] row_mask:0xf bank_mask:0xf bound_ctrl:1
	v_add_co_u32_e32 v1, vcc, v1, v5
	v_mov_b32_dpp v6, v2 quad_perm:[1,0,3,2] row_mask:0xf bank_mask:0xf bound_ctrl:1
	v_addc_co_u32_e32 v2, vcc, 0, v2, vcc
	v_add_co_u32_e32 v5, vcc, 0, v1
	v_addc_co_u32_e32 v2, vcc, v6, v2, vcc
	v_mov_b32_dpp v1, v1 quad_perm:[2,3,0,1] row_mask:0xf bank_mask:0xf bound_ctrl:1
	v_add_co_u32_e32 v1, vcc, v5, v1
	v_mov_b32_dpp v6, v2 quad_perm:[2,3,0,1] row_mask:0xf bank_mask:0xf bound_ctrl:1
	v_addc_co_u32_e32 v2, vcc, 0, v2, vcc
	v_add_co_u32_e32 v5, vcc, 0, v1
	v_addc_co_u32_e32 v2, vcc, v2, v6, vcc
	v_mov_b32_dpp v1, v1 row_ror:4 row_mask:0xf bank_mask:0xf bound_ctrl:1
	v_add_co_u32_e32 v1, vcc, v5, v1
	v_mov_b32_dpp v6, v2 row_ror:4 row_mask:0xf bank_mask:0xf bound_ctrl:1
	v_addc_co_u32_e32 v2, vcc, 0, v2, vcc
	v_add_co_u32_e32 v5, vcc, 0, v1
	v_addc_co_u32_e32 v2, vcc, v2, v6, vcc
	v_mov_b32_dpp v1, v1 row_ror:8 row_mask:0xf bank_mask:0xf bound_ctrl:1
	v_add_co_u32_e32 v1, vcc, v5, v1
	v_mov_b32_dpp v6, v2 row_ror:8 row_mask:0xf bank_mask:0xf bound_ctrl:1
	v_addc_co_u32_e32 v2, vcc, 0, v2, vcc
	v_add_co_u32_e32 v5, vcc, 0, v1
	v_addc_co_u32_e32 v2, vcc, v2, v6, vcc
	v_mov_b32_dpp v1, v1 row_bcast:15 row_mask:0xf bank_mask:0xf bound_ctrl:1
	v_add_co_u32_e32 v1, vcc, v5, v1
	v_mov_b32_dpp v6, v2 row_bcast:15 row_mask:0xf bank_mask:0xf bound_ctrl:1
	v_addc_co_u32_e32 v2, vcc, 0, v2, vcc
	v_add_co_u32_e32 v5, vcc, 0, v1
	v_addc_co_u32_e32 v2, vcc, v2, v6, vcc
	v_mov_b32_dpp v1, v1 row_bcast:31 row_mask:0xf bank_mask:0xf bound_ctrl:1
	v_add_co_u32_e32 v1, vcc, v5, v1
	v_addc_co_u32_e32 v5, vcc, 0, v2, vcc
	ds_bpermute_b32 v1, v7, v1
	s_nop 0
	v_add_u32_dpp v2, v2, v5 row_bcast:31 row_mask:0xf bank_mask:0xf bound_ctrl:1
	ds_bpermute_b32 v2, v7, v2
	v_cmp_eq_u32_e32 vcc, 0, v3
	s_and_saveexec_b64 s[4:5], vcc
	s_cbranch_execz .LBB230_150
; %bb.149:
	v_lshrrev_b32_e32 v5, 3, v0
	v_and_b32_e32 v5, 24, v5
	s_waitcnt lgkmcnt(0)
	ds_write_b64 v5, v[1:2] offset:64
.LBB230_150:
	s_or_b64 exec, exec, s[4:5]
	v_cmp_gt_u32_e32 vcc, 64, v0
	s_waitcnt lgkmcnt(0)
	s_barrier
	s_and_saveexec_b64 s[4:5], vcc
	s_cbranch_execz .LBB230_152
; %bb.151:
	v_and_b32_e32 v5, 3, v3
	v_lshlrev_b32_e32 v1, 3, v5
	ds_read_b64 v[1:2], v1 offset:64
	v_cmp_ne_u32_e32 vcc, 3, v5
	v_addc_co_u32_e32 v3, vcc, 0, v3, vcc
	v_lshlrev_b32_e32 v3, 2, v3
	s_waitcnt lgkmcnt(0)
	ds_bpermute_b32 v5, v3, v1
	ds_bpermute_b32 v3, v3, v2
	v_or_b32_e32 v4, 8, v4
	s_waitcnt lgkmcnt(1)
	v_add_co_u32_e32 v1, vcc, v1, v5
	v_addc_co_u32_e32 v2, vcc, 0, v2, vcc
	ds_bpermute_b32 v5, v4, v1
	v_add_co_u32_e32 v1, vcc, 0, v1
	s_waitcnt lgkmcnt(1)
	v_addc_co_u32_e32 v2, vcc, v3, v2, vcc
	ds_bpermute_b32 v3, v4, v2
	s_waitcnt lgkmcnt(1)
	v_add_co_u32_e32 v1, vcc, v1, v5
	v_addc_co_u32_e32 v2, vcc, 0, v2, vcc
	v_add_co_u32_e32 v1, vcc, 0, v1
	s_waitcnt lgkmcnt(0)
	v_addc_co_u32_e32 v2, vcc, v2, v3, vcc
.LBB230_152:
	s_or_b64 exec, exec, s[4:5]
	s_branch .LBB230_177
.LBB230_153:
                                        ; implicit-def: $vgpr1_vgpr2
                                        ; implicit-def: $vgpr3_vgpr4
	s_cbranch_execnz .LBB230_178
	s_branch .LBB230_206
.LBB230_154:
	s_branch .LBB230_206
.LBB230_155:
                                        ; implicit-def: $vgpr1_vgpr2
	s_cbranch_execz .LBB230_177
; %bb.156:
	s_sub_i32 s4, s18, s2
	v_mov_b32_e32 v1, 0
	v_cmp_gt_u32_e32 vcc, s4, v0
	v_mov_b32_e32 v2, v1
	v_mov_b32_e32 v3, v1
	;; [unrolled: 1-line block ×3, first 2 shown]
	s_and_saveexec_b64 s[2:3], vcc
	s_cbranch_execz .LBB230_158
; %bb.157:
	v_lshlrev_b32_e32 v2, 3, v0
	global_load_dwordx2 v[2:3], v2, s[0:1]
	v_mov_b32_e32 v4, v1
	v_mov_b32_e32 v5, v1
	s_waitcnt vmcnt(0)
	v_mov_b32_e32 v1, v2
	v_mov_b32_e32 v2, v3
	;; [unrolled: 1-line block ×4, first 2 shown]
.LBB230_158:
	s_or_b64 exec, exec, s[2:3]
	v_or_b32_e32 v5, 0x100, v0
	v_cmp_gt_u32_e32 vcc, s4, v5
	s_and_saveexec_b64 s[2:3], vcc
	s_cbranch_execz .LBB230_160
; %bb.159:
	v_lshlrev_b32_e32 v3, 3, v0
	global_load_dwordx2 v[3:4], v3, s[0:1] offset:2048
.LBB230_160:
	s_or_b64 exec, exec, s[2:3]
	s_waitcnt vmcnt(0)
	v_cndmask_b32_e32 v3, 0, v3, vcc
	v_cndmask_b32_e32 v4, 0, v4, vcc
	v_add_co_u32_e32 v1, vcc, v3, v1
	v_mbcnt_lo_u32_b32 v3, -1, 0
	v_mbcnt_hi_u32_b32 v3, -1, v3
	v_addc_co_u32_e32 v2, vcc, v4, v2, vcc
	v_and_b32_e32 v4, 63, v3
	v_cmp_ne_u32_e32 vcc, 63, v4
	v_addc_co_u32_e32 v6, vcc, 0, v3, vcc
	v_lshlrev_b32_e32 v6, 2, v6
	ds_bpermute_b32 v8, v6, v1
	ds_bpermute_b32 v7, v6, v2
	s_min_u32 s2, s4, 0x100
	v_and_b32_e32 v5, 0xc0, v0
	v_sub_u32_e64 v5, s2, v5 clamp
	v_add_u32_e32 v6, 1, v4
	v_cmp_lt_u32_e32 vcc, v6, v5
	v_mov_b32_e32 v6, v1
	s_and_saveexec_b64 s[0:1], vcc
	s_cbranch_execz .LBB230_162
; %bb.161:
	s_waitcnt lgkmcnt(1)
	v_add_co_u32_e32 v6, vcc, v1, v8
	v_addc_co_u32_e32 v2, vcc, 0, v2, vcc
	v_add_co_u32_e32 v1, vcc, 0, v6
	s_waitcnt lgkmcnt(0)
	v_addc_co_u32_e32 v2, vcc, v7, v2, vcc
.LBB230_162:
	s_or_b64 exec, exec, s[0:1]
	v_cmp_gt_u32_e32 vcc, 62, v4
	s_waitcnt lgkmcnt(0)
	v_cndmask_b32_e64 v7, 0, 2, vcc
	v_add_lshl_u32 v7, v7, v3, 2
	ds_bpermute_b32 v8, v7, v6
	ds_bpermute_b32 v7, v7, v2
	v_add_u32_e32 v9, 2, v4
	v_cmp_lt_u32_e32 vcc, v9, v5
	s_and_saveexec_b64 s[0:1], vcc
	s_cbranch_execz .LBB230_164
; %bb.163:
	s_waitcnt lgkmcnt(1)
	v_add_co_u32_e32 v6, vcc, v1, v8
	v_addc_co_u32_e32 v2, vcc, 0, v2, vcc
	v_add_co_u32_e32 v1, vcc, 0, v6
	s_waitcnt lgkmcnt(0)
	v_addc_co_u32_e32 v2, vcc, v7, v2, vcc
.LBB230_164:
	s_or_b64 exec, exec, s[0:1]
	v_cmp_gt_u32_e32 vcc, 60, v4
	s_waitcnt lgkmcnt(0)
	v_cndmask_b32_e64 v7, 0, 4, vcc
	v_add_lshl_u32 v7, v7, v3, 2
	ds_bpermute_b32 v8, v7, v6
	ds_bpermute_b32 v7, v7, v2
	v_add_u32_e32 v9, 4, v4
	v_cmp_lt_u32_e32 vcc, v9, v5
	;; [unrolled: 19-line block ×4, first 2 shown]
	s_and_saveexec_b64 s[0:1], vcc
	s_cbranch_execz .LBB230_170
; %bb.169:
	s_waitcnt lgkmcnt(1)
	v_add_co_u32_e32 v6, vcc, v1, v8
	v_addc_co_u32_e32 v2, vcc, 0, v2, vcc
	v_add_co_u32_e32 v1, vcc, 0, v6
	s_waitcnt lgkmcnt(0)
	v_addc_co_u32_e32 v2, vcc, v7, v2, vcc
.LBB230_170:
	s_or_b64 exec, exec, s[0:1]
	s_waitcnt lgkmcnt(0)
	v_lshlrev_b32_e32 v7, 2, v3
	v_or_b32_e32 v8, 0x80, v7
	ds_bpermute_b32 v6, v8, v6
	ds_bpermute_b32 v8, v8, v2
	v_add_u32_e32 v4, 32, v4
	s_waitcnt lgkmcnt(1)
	v_add_co_u32_e32 v6, vcc, v1, v6
	v_addc_co_u32_e32 v9, vcc, 0, v2, vcc
	v_add_co_u32_e32 v6, vcc, 0, v6
	s_waitcnt lgkmcnt(0)
	v_addc_co_u32_e32 v8, vcc, v9, v8, vcc
	v_cmp_lt_u32_e32 vcc, v4, v5
	v_cndmask_b32_e32 v2, v2, v8, vcc
	v_cndmask_b32_e32 v1, v1, v6, vcc
	v_cmp_eq_u32_e32 vcc, 0, v3
	s_and_saveexec_b64 s[0:1], vcc
; %bb.171:
	v_lshrrev_b32_e32 v4, 3, v0
	v_and_b32_e32 v4, 24, v4
	ds_write_b64 v4, v[1:2] offset:160
; %bb.172:
	s_or_b64 exec, exec, s[0:1]
	v_cmp_gt_u32_e32 vcc, 4, v0
	s_waitcnt lgkmcnt(0)
	s_barrier
	s_and_saveexec_b64 s[0:1], vcc
	s_cbranch_execz .LBB230_176
; %bb.173:
	v_lshlrev_b32_e32 v1, 3, v3
	ds_read_b64 v[1:2], v1 offset:160
	v_and_b32_e32 v4, 3, v3
	v_cmp_ne_u32_e32 vcc, 3, v4
	v_addc_co_u32_e32 v3, vcc, 0, v3, vcc
	v_lshlrev_b32_e32 v3, 2, v3
	s_waitcnt lgkmcnt(0)
	ds_bpermute_b32 v6, v3, v1
	ds_bpermute_b32 v5, v3, v2
	s_add_i32 s2, s2, 63
	s_lshr_b32 s4, s2, 6
	v_add_u32_e32 v3, 1, v4
	v_cmp_gt_u32_e32 vcc, s4, v3
	v_mov_b32_e32 v3, v1
	s_and_saveexec_b64 s[2:3], vcc
	s_cbranch_execz .LBB230_175
; %bb.174:
	s_waitcnt lgkmcnt(1)
	v_add_co_u32_e32 v3, vcc, v1, v6
	v_addc_co_u32_e32 v2, vcc, 0, v2, vcc
	v_add_co_u32_e32 v1, vcc, 0, v3
	s_waitcnt lgkmcnt(0)
	v_addc_co_u32_e32 v2, vcc, v5, v2, vcc
.LBB230_175:
	s_or_b64 exec, exec, s[2:3]
	s_waitcnt lgkmcnt(0)
	v_or_b32_e32 v5, 8, v7
	ds_bpermute_b32 v3, v5, v3
	ds_bpermute_b32 v5, v5, v2
	v_add_u32_e32 v4, 2, v4
	s_waitcnt lgkmcnt(1)
	v_add_co_u32_e32 v3, vcc, v1, v3
	v_addc_co_u32_e32 v6, vcc, 0, v2, vcc
	v_add_co_u32_e32 v3, vcc, 0, v3
	s_waitcnt lgkmcnt(0)
	v_addc_co_u32_e32 v5, vcc, v6, v5, vcc
	v_cmp_gt_u32_e32 vcc, s4, v4
	v_cndmask_b32_e32 v2, v2, v5, vcc
	v_cndmask_b32_e32 v1, v1, v3, vcc
.LBB230_176:
	s_or_b64 exec, exec, s[0:1]
.LBB230_177:
	v_mov_b32_e32 v3, s6
	v_cmp_eq_u32_e64 s[2:3], 0, v0
	v_mov_b32_e32 v4, s7
	s_branch .LBB230_206
.LBB230_178:
	s_cmp_eq_u32 s26, 1
                                        ; implicit-def: $vgpr1_vgpr2
                                        ; implicit-def: $vgpr3_vgpr4
	s_cbranch_scc0 .LBB230_206
; %bb.179:
	s_mov_b32 s1, 0
	s_lshl_b32 s0, s6, 8
	s_mov_b32 s7, s1
	s_lshr_b64 s[2:3], s[18:19], 8
	s_cmp_lg_u64 s[2:3], s[6:7]
	v_mbcnt_lo_u32_b32 v3, -1, 0
	s_cbranch_scc0 .LBB230_185
; %bb.180:
	s_lshl_b64 s[2:3], s[0:1], 3
	s_add_u32 s2, s16, s2
	s_addc_u32 s3, s17, s3
	v_lshlrev_b32_e32 v1, 3, v0
	global_load_dwordx2 v[1:2], v1, s[2:3]
	v_mbcnt_hi_u32_b32 v4, -1, v3
	v_lshlrev_b32_e32 v5, 2, v4
	v_or_b32_e32 v6, 0xfc, v5
	s_waitcnt vmcnt(0)
	v_mov_b32_dpp v7, v1 quad_perm:[1,0,3,2] row_mask:0xf bank_mask:0xf bound_ctrl:1
	v_add_co_u32_e32 v1, vcc, v1, v7
	v_mov_b32_dpp v8, v2 quad_perm:[1,0,3,2] row_mask:0xf bank_mask:0xf bound_ctrl:1
	v_addc_co_u32_e32 v2, vcc, 0, v2, vcc
	v_add_co_u32_e32 v7, vcc, 0, v1
	v_addc_co_u32_e32 v2, vcc, v8, v2, vcc
	v_mov_b32_dpp v1, v1 quad_perm:[2,3,0,1] row_mask:0xf bank_mask:0xf bound_ctrl:1
	v_add_co_u32_e32 v1, vcc, v7, v1
	v_mov_b32_dpp v8, v2 quad_perm:[2,3,0,1] row_mask:0xf bank_mask:0xf bound_ctrl:1
	v_addc_co_u32_e32 v2, vcc, 0, v2, vcc
	v_add_co_u32_e32 v7, vcc, 0, v1
	v_addc_co_u32_e32 v2, vcc, v2, v8, vcc
	v_mov_b32_dpp v1, v1 row_ror:4 row_mask:0xf bank_mask:0xf bound_ctrl:1
	v_add_co_u32_e32 v1, vcc, v7, v1
	v_mov_b32_dpp v8, v2 row_ror:4 row_mask:0xf bank_mask:0xf bound_ctrl:1
	v_addc_co_u32_e32 v2, vcc, 0, v2, vcc
	v_add_co_u32_e32 v7, vcc, 0, v1
	v_addc_co_u32_e32 v2, vcc, v2, v8, vcc
	v_mov_b32_dpp v1, v1 row_ror:8 row_mask:0xf bank_mask:0xf bound_ctrl:1
	v_add_co_u32_e32 v1, vcc, v7, v1
	v_mov_b32_dpp v8, v2 row_ror:8 row_mask:0xf bank_mask:0xf bound_ctrl:1
	v_addc_co_u32_e32 v2, vcc, 0, v2, vcc
	v_add_co_u32_e32 v7, vcc, 0, v1
	v_addc_co_u32_e32 v2, vcc, v2, v8, vcc
	v_mov_b32_dpp v1, v1 row_bcast:15 row_mask:0xf bank_mask:0xf bound_ctrl:1
	v_add_co_u32_e32 v1, vcc, v7, v1
	v_mov_b32_dpp v8, v2 row_bcast:15 row_mask:0xf bank_mask:0xf bound_ctrl:1
	v_addc_co_u32_e32 v2, vcc, 0, v2, vcc
	v_add_co_u32_e32 v7, vcc, 0, v1
	v_addc_co_u32_e32 v2, vcc, v2, v8, vcc
	v_mov_b32_dpp v1, v1 row_bcast:31 row_mask:0xf bank_mask:0xf bound_ctrl:1
	v_add_co_u32_e32 v1, vcc, v7, v1
	v_addc_co_u32_e32 v7, vcc, 0, v2, vcc
	ds_bpermute_b32 v1, v6, v1
	s_nop 0
	v_add_u32_dpp v2, v2, v7 row_bcast:31 row_mask:0xf bank_mask:0xf bound_ctrl:1
	ds_bpermute_b32 v2, v6, v2
	v_cmp_eq_u32_e32 vcc, 0, v4
	s_and_saveexec_b64 s[2:3], vcc
	s_cbranch_execz .LBB230_182
; %bb.181:
	v_lshrrev_b32_e32 v6, 3, v0
	v_and_b32_e32 v6, 24, v6
	s_waitcnt lgkmcnt(0)
	ds_write_b64 v6, v[1:2] offset:32
.LBB230_182:
	s_or_b64 exec, exec, s[2:3]
	v_cmp_gt_u32_e32 vcc, 64, v0
	s_waitcnt lgkmcnt(0)
	s_barrier
	s_and_saveexec_b64 s[2:3], vcc
	s_cbranch_execz .LBB230_184
; %bb.183:
	v_and_b32_e32 v6, 3, v4
	v_lshlrev_b32_e32 v1, 3, v6
	ds_read_b64 v[1:2], v1 offset:32
	v_cmp_ne_u32_e32 vcc, 3, v6
	v_addc_co_u32_e32 v4, vcc, 0, v4, vcc
	v_lshlrev_b32_e32 v4, 2, v4
	s_waitcnt lgkmcnt(0)
	ds_bpermute_b32 v6, v4, v1
	ds_bpermute_b32 v4, v4, v2
	v_or_b32_e32 v5, 8, v5
	s_waitcnt lgkmcnt(1)
	v_add_co_u32_e32 v1, vcc, v1, v6
	v_addc_co_u32_e32 v2, vcc, 0, v2, vcc
	ds_bpermute_b32 v6, v5, v1
	v_add_co_u32_e32 v1, vcc, 0, v1
	s_waitcnt lgkmcnt(1)
	v_addc_co_u32_e32 v2, vcc, v4, v2, vcc
	ds_bpermute_b32 v4, v5, v2
	s_waitcnt lgkmcnt(1)
	v_add_co_u32_e32 v1, vcc, v1, v6
	v_addc_co_u32_e32 v2, vcc, 0, v2, vcc
	v_add_co_u32_e32 v1, vcc, 0, v1
	s_waitcnt lgkmcnt(0)
	v_addc_co_u32_e32 v2, vcc, v2, v4, vcc
.LBB230_184:
	s_or_b64 exec, exec, s[2:3]
	s_branch .LBB230_205
.LBB230_185:
                                        ; implicit-def: $vgpr1_vgpr2
	s_cbranch_execz .LBB230_205
; %bb.186:
	s_sub_i32 s4, s18, s0
	v_cmp_gt_u32_e32 vcc, s4, v0
                                        ; implicit-def: $vgpr1_vgpr2
	s_and_saveexec_b64 s[2:3], vcc
	s_cbranch_execz .LBB230_188
; %bb.187:
	s_lshl_b64 s[0:1], s[0:1], 3
	s_add_u32 s0, s16, s0
	s_addc_u32 s1, s17, s1
	v_lshlrev_b32_e32 v1, 3, v0
	global_load_dwordx2 v[1:2], v1, s[0:1]
.LBB230_188:
	s_or_b64 exec, exec, s[2:3]
	v_mbcnt_hi_u32_b32 v3, -1, v3
	v_and_b32_e32 v4, 63, v3
	v_cmp_ne_u32_e32 vcc, 63, v4
	v_addc_co_u32_e32 v6, vcc, 0, v3, vcc
	v_lshlrev_b32_e32 v6, 2, v6
	s_waitcnt vmcnt(0)
	ds_bpermute_b32 v8, v6, v1
	ds_bpermute_b32 v7, v6, v2
	s_min_u32 s2, s4, 0x100
	v_and_b32_e32 v5, 0xc0, v0
	v_sub_u32_e64 v5, s2, v5 clamp
	v_add_u32_e32 v6, 1, v4
	v_cmp_lt_u32_e32 vcc, v6, v5
	v_mov_b32_e32 v6, v1
	s_and_saveexec_b64 s[0:1], vcc
	s_cbranch_execz .LBB230_190
; %bb.189:
	s_waitcnt lgkmcnt(1)
	v_add_co_u32_e32 v6, vcc, v1, v8
	v_addc_co_u32_e32 v2, vcc, 0, v2, vcc
	v_add_co_u32_e32 v1, vcc, 0, v6
	s_waitcnt lgkmcnt(0)
	v_addc_co_u32_e32 v2, vcc, v7, v2, vcc
.LBB230_190:
	s_or_b64 exec, exec, s[0:1]
	v_cmp_gt_u32_e32 vcc, 62, v4
	s_waitcnt lgkmcnt(0)
	v_cndmask_b32_e64 v7, 0, 2, vcc
	v_add_lshl_u32 v7, v7, v3, 2
	ds_bpermute_b32 v8, v7, v6
	ds_bpermute_b32 v7, v7, v2
	v_add_u32_e32 v9, 2, v4
	v_cmp_lt_u32_e32 vcc, v9, v5
	s_and_saveexec_b64 s[0:1], vcc
	s_cbranch_execz .LBB230_192
; %bb.191:
	s_waitcnt lgkmcnt(1)
	v_add_co_u32_e32 v6, vcc, v1, v8
	v_addc_co_u32_e32 v2, vcc, 0, v2, vcc
	v_add_co_u32_e32 v1, vcc, 0, v6
	s_waitcnt lgkmcnt(0)
	v_addc_co_u32_e32 v2, vcc, v7, v2, vcc
.LBB230_192:
	s_or_b64 exec, exec, s[0:1]
	v_cmp_gt_u32_e32 vcc, 60, v4
	s_waitcnt lgkmcnt(0)
	v_cndmask_b32_e64 v7, 0, 4, vcc
	v_add_lshl_u32 v7, v7, v3, 2
	ds_bpermute_b32 v8, v7, v6
	ds_bpermute_b32 v7, v7, v2
	v_add_u32_e32 v9, 4, v4
	v_cmp_lt_u32_e32 vcc, v9, v5
	;; [unrolled: 19-line block ×4, first 2 shown]
	s_and_saveexec_b64 s[0:1], vcc
	s_cbranch_execz .LBB230_198
; %bb.197:
	s_waitcnt lgkmcnt(1)
	v_add_co_u32_e32 v6, vcc, v1, v8
	v_addc_co_u32_e32 v2, vcc, 0, v2, vcc
	v_add_co_u32_e32 v1, vcc, 0, v6
	s_waitcnt lgkmcnt(0)
	v_addc_co_u32_e32 v2, vcc, v7, v2, vcc
.LBB230_198:
	s_or_b64 exec, exec, s[0:1]
	s_waitcnt lgkmcnt(0)
	v_lshlrev_b32_e32 v7, 2, v3
	v_or_b32_e32 v8, 0x80, v7
	ds_bpermute_b32 v6, v8, v6
	ds_bpermute_b32 v8, v8, v2
	v_add_u32_e32 v4, 32, v4
	s_waitcnt lgkmcnt(1)
	v_add_co_u32_e32 v6, vcc, v1, v6
	v_addc_co_u32_e32 v9, vcc, 0, v2, vcc
	v_add_co_u32_e32 v6, vcc, 0, v6
	s_waitcnt lgkmcnt(0)
	v_addc_co_u32_e32 v8, vcc, v9, v8, vcc
	v_cmp_lt_u32_e32 vcc, v4, v5
	v_cndmask_b32_e32 v2, v2, v8, vcc
	v_cndmask_b32_e32 v1, v1, v6, vcc
	v_cmp_eq_u32_e32 vcc, 0, v3
	s_and_saveexec_b64 s[0:1], vcc
; %bb.199:
	v_lshrrev_b32_e32 v4, 3, v0
	v_and_b32_e32 v4, 24, v4
	ds_write_b64 v4, v[1:2] offset:160
; %bb.200:
	s_or_b64 exec, exec, s[0:1]
	v_cmp_gt_u32_e32 vcc, 4, v0
	s_waitcnt lgkmcnt(0)
	s_barrier
	s_and_saveexec_b64 s[0:1], vcc
	s_cbranch_execz .LBB230_204
; %bb.201:
	v_lshlrev_b32_e32 v1, 3, v3
	ds_read_b64 v[1:2], v1 offset:160
	v_and_b32_e32 v4, 3, v3
	v_cmp_ne_u32_e32 vcc, 3, v4
	v_addc_co_u32_e32 v3, vcc, 0, v3, vcc
	v_lshlrev_b32_e32 v3, 2, v3
	s_waitcnt lgkmcnt(0)
	ds_bpermute_b32 v6, v3, v1
	ds_bpermute_b32 v5, v3, v2
	s_add_i32 s2, s2, 63
	s_lshr_b32 s4, s2, 6
	v_add_u32_e32 v3, 1, v4
	v_cmp_gt_u32_e32 vcc, s4, v3
	v_mov_b32_e32 v3, v1
	s_and_saveexec_b64 s[2:3], vcc
	s_cbranch_execz .LBB230_203
; %bb.202:
	s_waitcnt lgkmcnt(1)
	v_add_co_u32_e32 v3, vcc, v1, v6
	v_addc_co_u32_e32 v2, vcc, 0, v2, vcc
	v_add_co_u32_e32 v1, vcc, 0, v3
	s_waitcnt lgkmcnt(0)
	v_addc_co_u32_e32 v2, vcc, v5, v2, vcc
.LBB230_203:
	s_or_b64 exec, exec, s[2:3]
	s_waitcnt lgkmcnt(0)
	v_or_b32_e32 v5, 8, v7
	ds_bpermute_b32 v3, v5, v3
	ds_bpermute_b32 v5, v5, v2
	v_add_u32_e32 v4, 2, v4
	s_waitcnt lgkmcnt(1)
	v_add_co_u32_e32 v3, vcc, v1, v3
	v_addc_co_u32_e32 v6, vcc, 0, v2, vcc
	v_add_co_u32_e32 v3, vcc, 0, v3
	s_waitcnt lgkmcnt(0)
	v_addc_co_u32_e32 v5, vcc, v6, v5, vcc
	v_cmp_gt_u32_e32 vcc, s4, v4
	v_cndmask_b32_e32 v2, v2, v5, vcc
	v_cndmask_b32_e32 v1, v1, v3, vcc
.LBB230_204:
	s_or_b64 exec, exec, s[0:1]
.LBB230_205:
	v_mov_b32_e32 v3, s6
	v_cmp_eq_u32_e64 s[2:3], 0, v0
	v_mov_b32_e32 v4, s7
.LBB230_206:
	s_and_saveexec_b64 s[0:1], s[2:3]
	s_cbranch_execz .LBB230_208
; %bb.207:
	v_lshlrev_b64 v[3:4], 3, v[3:4]
	v_mov_b32_e32 v0, s21
	v_add_co_u32_e32 v3, vcc, s20, v3
	v_addc_co_u32_e32 v4, vcc, v0, v4, vcc
	s_cmp_lg_u64 s[18:19], 0
	s_cselect_b64 vcc, -1, 0
	v_cndmask_b32_e32 v0, 0, v1, vcc
	v_cndmask_b32_e32 v2, 0, v2, vcc
	v_mov_b32_e32 v1, s23
	v_add_co_u32_e32 v0, vcc, s22, v0
	v_addc_co_u32_e32 v1, vcc, v2, v1, vcc
	global_store_dwordx2 v[3:4], v[0:1], off
.LBB230_208:
	s_endpgm
	.section	.rodata,"a",@progbits
	.p2align	6, 0x0
	.amdhsa_kernel _ZN7rocprim17ROCPRIM_400000_NS6detail17trampoline_kernelINS0_14default_configENS1_22reduce_config_selectorIlEEZNS1_11reduce_implILb1ES3_PlS7_lN6hipcub16HIPCUB_304000_NS6detail34convert_binary_result_type_wrapperINS9_3SumENS9_22TransformInputIteratorIb7NonZeroIfEPflEElEEEE10hipError_tPvRmT1_T2_T3_mT4_P12ihipStream_tbEUlT_E1_NS1_11comp_targetILNS1_3genE2ELNS1_11target_archE906ELNS1_3gpuE6ELNS1_3repE0EEENS1_30default_config_static_selectorELNS0_4arch9wavefront6targetE1EEEvSM_
		.amdhsa_group_segment_fixed_size 192
		.amdhsa_private_segment_fixed_size 0
		.amdhsa_kernarg_size 48
		.amdhsa_user_sgpr_count 6
		.amdhsa_user_sgpr_private_segment_buffer 1
		.amdhsa_user_sgpr_dispatch_ptr 0
		.amdhsa_user_sgpr_queue_ptr 0
		.amdhsa_user_sgpr_kernarg_segment_ptr 1
		.amdhsa_user_sgpr_dispatch_id 0
		.amdhsa_user_sgpr_flat_scratch_init 0
		.amdhsa_user_sgpr_private_segment_size 0
		.amdhsa_uses_dynamic_stack 0
		.amdhsa_system_sgpr_private_segment_wavefront_offset 0
		.amdhsa_system_sgpr_workgroup_id_x 1
		.amdhsa_system_sgpr_workgroup_id_y 0
		.amdhsa_system_sgpr_workgroup_id_z 0
		.amdhsa_system_sgpr_workgroup_info 0
		.amdhsa_system_vgpr_workitem_id 0
		.amdhsa_next_free_vgpr 34
		.amdhsa_next_free_sgpr 28
		.amdhsa_reserve_vcc 1
		.amdhsa_reserve_flat_scratch 0
		.amdhsa_float_round_mode_32 0
		.amdhsa_float_round_mode_16_64 0
		.amdhsa_float_denorm_mode_32 3
		.amdhsa_float_denorm_mode_16_64 3
		.amdhsa_dx10_clamp 1
		.amdhsa_ieee_mode 1
		.amdhsa_fp16_overflow 0
		.amdhsa_exception_fp_ieee_invalid_op 0
		.amdhsa_exception_fp_denorm_src 0
		.amdhsa_exception_fp_ieee_div_zero 0
		.amdhsa_exception_fp_ieee_overflow 0
		.amdhsa_exception_fp_ieee_underflow 0
		.amdhsa_exception_fp_ieee_inexact 0
		.amdhsa_exception_int_div_zero 0
	.end_amdhsa_kernel
	.section	.text._ZN7rocprim17ROCPRIM_400000_NS6detail17trampoline_kernelINS0_14default_configENS1_22reduce_config_selectorIlEEZNS1_11reduce_implILb1ES3_PlS7_lN6hipcub16HIPCUB_304000_NS6detail34convert_binary_result_type_wrapperINS9_3SumENS9_22TransformInputIteratorIb7NonZeroIfEPflEElEEEE10hipError_tPvRmT1_T2_T3_mT4_P12ihipStream_tbEUlT_E1_NS1_11comp_targetILNS1_3genE2ELNS1_11target_archE906ELNS1_3gpuE6ELNS1_3repE0EEENS1_30default_config_static_selectorELNS0_4arch9wavefront6targetE1EEEvSM_,"axG",@progbits,_ZN7rocprim17ROCPRIM_400000_NS6detail17trampoline_kernelINS0_14default_configENS1_22reduce_config_selectorIlEEZNS1_11reduce_implILb1ES3_PlS7_lN6hipcub16HIPCUB_304000_NS6detail34convert_binary_result_type_wrapperINS9_3SumENS9_22TransformInputIteratorIb7NonZeroIfEPflEElEEEE10hipError_tPvRmT1_T2_T3_mT4_P12ihipStream_tbEUlT_E1_NS1_11comp_targetILNS1_3genE2ELNS1_11target_archE906ELNS1_3gpuE6ELNS1_3repE0EEENS1_30default_config_static_selectorELNS0_4arch9wavefront6targetE1EEEvSM_,comdat
.Lfunc_end230:
	.size	_ZN7rocprim17ROCPRIM_400000_NS6detail17trampoline_kernelINS0_14default_configENS1_22reduce_config_selectorIlEEZNS1_11reduce_implILb1ES3_PlS7_lN6hipcub16HIPCUB_304000_NS6detail34convert_binary_result_type_wrapperINS9_3SumENS9_22TransformInputIteratorIb7NonZeroIfEPflEElEEEE10hipError_tPvRmT1_T2_T3_mT4_P12ihipStream_tbEUlT_E1_NS1_11comp_targetILNS1_3genE2ELNS1_11target_archE906ELNS1_3gpuE6ELNS1_3repE0EEENS1_30default_config_static_selectorELNS0_4arch9wavefront6targetE1EEEvSM_, .Lfunc_end230-_ZN7rocprim17ROCPRIM_400000_NS6detail17trampoline_kernelINS0_14default_configENS1_22reduce_config_selectorIlEEZNS1_11reduce_implILb1ES3_PlS7_lN6hipcub16HIPCUB_304000_NS6detail34convert_binary_result_type_wrapperINS9_3SumENS9_22TransformInputIteratorIb7NonZeroIfEPflEElEEEE10hipError_tPvRmT1_T2_T3_mT4_P12ihipStream_tbEUlT_E1_NS1_11comp_targetILNS1_3genE2ELNS1_11target_archE906ELNS1_3gpuE6ELNS1_3repE0EEENS1_30default_config_static_selectorELNS0_4arch9wavefront6targetE1EEEvSM_
                                        ; -- End function
	.set _ZN7rocprim17ROCPRIM_400000_NS6detail17trampoline_kernelINS0_14default_configENS1_22reduce_config_selectorIlEEZNS1_11reduce_implILb1ES3_PlS7_lN6hipcub16HIPCUB_304000_NS6detail34convert_binary_result_type_wrapperINS9_3SumENS9_22TransformInputIteratorIb7NonZeroIfEPflEElEEEE10hipError_tPvRmT1_T2_T3_mT4_P12ihipStream_tbEUlT_E1_NS1_11comp_targetILNS1_3genE2ELNS1_11target_archE906ELNS1_3gpuE6ELNS1_3repE0EEENS1_30default_config_static_selectorELNS0_4arch9wavefront6targetE1EEEvSM_.num_vgpr, 34
	.set _ZN7rocprim17ROCPRIM_400000_NS6detail17trampoline_kernelINS0_14default_configENS1_22reduce_config_selectorIlEEZNS1_11reduce_implILb1ES3_PlS7_lN6hipcub16HIPCUB_304000_NS6detail34convert_binary_result_type_wrapperINS9_3SumENS9_22TransformInputIteratorIb7NonZeroIfEPflEElEEEE10hipError_tPvRmT1_T2_T3_mT4_P12ihipStream_tbEUlT_E1_NS1_11comp_targetILNS1_3genE2ELNS1_11target_archE906ELNS1_3gpuE6ELNS1_3repE0EEENS1_30default_config_static_selectorELNS0_4arch9wavefront6targetE1EEEvSM_.num_agpr, 0
	.set _ZN7rocprim17ROCPRIM_400000_NS6detail17trampoline_kernelINS0_14default_configENS1_22reduce_config_selectorIlEEZNS1_11reduce_implILb1ES3_PlS7_lN6hipcub16HIPCUB_304000_NS6detail34convert_binary_result_type_wrapperINS9_3SumENS9_22TransformInputIteratorIb7NonZeroIfEPflEElEEEE10hipError_tPvRmT1_T2_T3_mT4_P12ihipStream_tbEUlT_E1_NS1_11comp_targetILNS1_3genE2ELNS1_11target_archE906ELNS1_3gpuE6ELNS1_3repE0EEENS1_30default_config_static_selectorELNS0_4arch9wavefront6targetE1EEEvSM_.numbered_sgpr, 28
	.set _ZN7rocprim17ROCPRIM_400000_NS6detail17trampoline_kernelINS0_14default_configENS1_22reduce_config_selectorIlEEZNS1_11reduce_implILb1ES3_PlS7_lN6hipcub16HIPCUB_304000_NS6detail34convert_binary_result_type_wrapperINS9_3SumENS9_22TransformInputIteratorIb7NonZeroIfEPflEElEEEE10hipError_tPvRmT1_T2_T3_mT4_P12ihipStream_tbEUlT_E1_NS1_11comp_targetILNS1_3genE2ELNS1_11target_archE906ELNS1_3gpuE6ELNS1_3repE0EEENS1_30default_config_static_selectorELNS0_4arch9wavefront6targetE1EEEvSM_.num_named_barrier, 0
	.set _ZN7rocprim17ROCPRIM_400000_NS6detail17trampoline_kernelINS0_14default_configENS1_22reduce_config_selectorIlEEZNS1_11reduce_implILb1ES3_PlS7_lN6hipcub16HIPCUB_304000_NS6detail34convert_binary_result_type_wrapperINS9_3SumENS9_22TransformInputIteratorIb7NonZeroIfEPflEElEEEE10hipError_tPvRmT1_T2_T3_mT4_P12ihipStream_tbEUlT_E1_NS1_11comp_targetILNS1_3genE2ELNS1_11target_archE906ELNS1_3gpuE6ELNS1_3repE0EEENS1_30default_config_static_selectorELNS0_4arch9wavefront6targetE1EEEvSM_.private_seg_size, 0
	.set _ZN7rocprim17ROCPRIM_400000_NS6detail17trampoline_kernelINS0_14default_configENS1_22reduce_config_selectorIlEEZNS1_11reduce_implILb1ES3_PlS7_lN6hipcub16HIPCUB_304000_NS6detail34convert_binary_result_type_wrapperINS9_3SumENS9_22TransformInputIteratorIb7NonZeroIfEPflEElEEEE10hipError_tPvRmT1_T2_T3_mT4_P12ihipStream_tbEUlT_E1_NS1_11comp_targetILNS1_3genE2ELNS1_11target_archE906ELNS1_3gpuE6ELNS1_3repE0EEENS1_30default_config_static_selectorELNS0_4arch9wavefront6targetE1EEEvSM_.uses_vcc, 1
	.set _ZN7rocprim17ROCPRIM_400000_NS6detail17trampoline_kernelINS0_14default_configENS1_22reduce_config_selectorIlEEZNS1_11reduce_implILb1ES3_PlS7_lN6hipcub16HIPCUB_304000_NS6detail34convert_binary_result_type_wrapperINS9_3SumENS9_22TransformInputIteratorIb7NonZeroIfEPflEElEEEE10hipError_tPvRmT1_T2_T3_mT4_P12ihipStream_tbEUlT_E1_NS1_11comp_targetILNS1_3genE2ELNS1_11target_archE906ELNS1_3gpuE6ELNS1_3repE0EEENS1_30default_config_static_selectorELNS0_4arch9wavefront6targetE1EEEvSM_.uses_flat_scratch, 0
	.set _ZN7rocprim17ROCPRIM_400000_NS6detail17trampoline_kernelINS0_14default_configENS1_22reduce_config_selectorIlEEZNS1_11reduce_implILb1ES3_PlS7_lN6hipcub16HIPCUB_304000_NS6detail34convert_binary_result_type_wrapperINS9_3SumENS9_22TransformInputIteratorIb7NonZeroIfEPflEElEEEE10hipError_tPvRmT1_T2_T3_mT4_P12ihipStream_tbEUlT_E1_NS1_11comp_targetILNS1_3genE2ELNS1_11target_archE906ELNS1_3gpuE6ELNS1_3repE0EEENS1_30default_config_static_selectorELNS0_4arch9wavefront6targetE1EEEvSM_.has_dyn_sized_stack, 0
	.set _ZN7rocprim17ROCPRIM_400000_NS6detail17trampoline_kernelINS0_14default_configENS1_22reduce_config_selectorIlEEZNS1_11reduce_implILb1ES3_PlS7_lN6hipcub16HIPCUB_304000_NS6detail34convert_binary_result_type_wrapperINS9_3SumENS9_22TransformInputIteratorIb7NonZeroIfEPflEElEEEE10hipError_tPvRmT1_T2_T3_mT4_P12ihipStream_tbEUlT_E1_NS1_11comp_targetILNS1_3genE2ELNS1_11target_archE906ELNS1_3gpuE6ELNS1_3repE0EEENS1_30default_config_static_selectorELNS0_4arch9wavefront6targetE1EEEvSM_.has_recursion, 0
	.set _ZN7rocprim17ROCPRIM_400000_NS6detail17trampoline_kernelINS0_14default_configENS1_22reduce_config_selectorIlEEZNS1_11reduce_implILb1ES3_PlS7_lN6hipcub16HIPCUB_304000_NS6detail34convert_binary_result_type_wrapperINS9_3SumENS9_22TransformInputIteratorIb7NonZeroIfEPflEElEEEE10hipError_tPvRmT1_T2_T3_mT4_P12ihipStream_tbEUlT_E1_NS1_11comp_targetILNS1_3genE2ELNS1_11target_archE906ELNS1_3gpuE6ELNS1_3repE0EEENS1_30default_config_static_selectorELNS0_4arch9wavefront6targetE1EEEvSM_.has_indirect_call, 0
	.section	.AMDGPU.csdata,"",@progbits
; Kernel info:
; codeLenInByte = 8996
; TotalNumSgprs: 32
; NumVgprs: 34
; ScratchSize: 0
; MemoryBound: 0
; FloatMode: 240
; IeeeMode: 1
; LDSByteSize: 192 bytes/workgroup (compile time only)
; SGPRBlocks: 3
; VGPRBlocks: 8
; NumSGPRsForWavesPerEU: 32
; NumVGPRsForWavesPerEU: 34
; Occupancy: 7
; WaveLimiterHint : 1
; COMPUTE_PGM_RSRC2:SCRATCH_EN: 0
; COMPUTE_PGM_RSRC2:USER_SGPR: 6
; COMPUTE_PGM_RSRC2:TRAP_HANDLER: 0
; COMPUTE_PGM_RSRC2:TGID_X_EN: 1
; COMPUTE_PGM_RSRC2:TGID_Y_EN: 0
; COMPUTE_PGM_RSRC2:TGID_Z_EN: 0
; COMPUTE_PGM_RSRC2:TIDIG_COMP_CNT: 0
	.section	.text._ZN7rocprim17ROCPRIM_400000_NS6detail17trampoline_kernelINS0_14default_configENS1_22reduce_config_selectorIlEEZNS1_11reduce_implILb1ES3_PlS7_lN6hipcub16HIPCUB_304000_NS6detail34convert_binary_result_type_wrapperINS9_3SumENS9_22TransformInputIteratorIb7NonZeroIfEPflEElEEEE10hipError_tPvRmT1_T2_T3_mT4_P12ihipStream_tbEUlT_E1_NS1_11comp_targetILNS1_3genE10ELNS1_11target_archE1201ELNS1_3gpuE5ELNS1_3repE0EEENS1_30default_config_static_selectorELNS0_4arch9wavefront6targetE1EEEvSM_,"axG",@progbits,_ZN7rocprim17ROCPRIM_400000_NS6detail17trampoline_kernelINS0_14default_configENS1_22reduce_config_selectorIlEEZNS1_11reduce_implILb1ES3_PlS7_lN6hipcub16HIPCUB_304000_NS6detail34convert_binary_result_type_wrapperINS9_3SumENS9_22TransformInputIteratorIb7NonZeroIfEPflEElEEEE10hipError_tPvRmT1_T2_T3_mT4_P12ihipStream_tbEUlT_E1_NS1_11comp_targetILNS1_3genE10ELNS1_11target_archE1201ELNS1_3gpuE5ELNS1_3repE0EEENS1_30default_config_static_selectorELNS0_4arch9wavefront6targetE1EEEvSM_,comdat
	.protected	_ZN7rocprim17ROCPRIM_400000_NS6detail17trampoline_kernelINS0_14default_configENS1_22reduce_config_selectorIlEEZNS1_11reduce_implILb1ES3_PlS7_lN6hipcub16HIPCUB_304000_NS6detail34convert_binary_result_type_wrapperINS9_3SumENS9_22TransformInputIteratorIb7NonZeroIfEPflEElEEEE10hipError_tPvRmT1_T2_T3_mT4_P12ihipStream_tbEUlT_E1_NS1_11comp_targetILNS1_3genE10ELNS1_11target_archE1201ELNS1_3gpuE5ELNS1_3repE0EEENS1_30default_config_static_selectorELNS0_4arch9wavefront6targetE1EEEvSM_ ; -- Begin function _ZN7rocprim17ROCPRIM_400000_NS6detail17trampoline_kernelINS0_14default_configENS1_22reduce_config_selectorIlEEZNS1_11reduce_implILb1ES3_PlS7_lN6hipcub16HIPCUB_304000_NS6detail34convert_binary_result_type_wrapperINS9_3SumENS9_22TransformInputIteratorIb7NonZeroIfEPflEElEEEE10hipError_tPvRmT1_T2_T3_mT4_P12ihipStream_tbEUlT_E1_NS1_11comp_targetILNS1_3genE10ELNS1_11target_archE1201ELNS1_3gpuE5ELNS1_3repE0EEENS1_30default_config_static_selectorELNS0_4arch9wavefront6targetE1EEEvSM_
	.globl	_ZN7rocprim17ROCPRIM_400000_NS6detail17trampoline_kernelINS0_14default_configENS1_22reduce_config_selectorIlEEZNS1_11reduce_implILb1ES3_PlS7_lN6hipcub16HIPCUB_304000_NS6detail34convert_binary_result_type_wrapperINS9_3SumENS9_22TransformInputIteratorIb7NonZeroIfEPflEElEEEE10hipError_tPvRmT1_T2_T3_mT4_P12ihipStream_tbEUlT_E1_NS1_11comp_targetILNS1_3genE10ELNS1_11target_archE1201ELNS1_3gpuE5ELNS1_3repE0EEENS1_30default_config_static_selectorELNS0_4arch9wavefront6targetE1EEEvSM_
	.p2align	8
	.type	_ZN7rocprim17ROCPRIM_400000_NS6detail17trampoline_kernelINS0_14default_configENS1_22reduce_config_selectorIlEEZNS1_11reduce_implILb1ES3_PlS7_lN6hipcub16HIPCUB_304000_NS6detail34convert_binary_result_type_wrapperINS9_3SumENS9_22TransformInputIteratorIb7NonZeroIfEPflEElEEEE10hipError_tPvRmT1_T2_T3_mT4_P12ihipStream_tbEUlT_E1_NS1_11comp_targetILNS1_3genE10ELNS1_11target_archE1201ELNS1_3gpuE5ELNS1_3repE0EEENS1_30default_config_static_selectorELNS0_4arch9wavefront6targetE1EEEvSM_,@function
_ZN7rocprim17ROCPRIM_400000_NS6detail17trampoline_kernelINS0_14default_configENS1_22reduce_config_selectorIlEEZNS1_11reduce_implILb1ES3_PlS7_lN6hipcub16HIPCUB_304000_NS6detail34convert_binary_result_type_wrapperINS9_3SumENS9_22TransformInputIteratorIb7NonZeroIfEPflEElEEEE10hipError_tPvRmT1_T2_T3_mT4_P12ihipStream_tbEUlT_E1_NS1_11comp_targetILNS1_3genE10ELNS1_11target_archE1201ELNS1_3gpuE5ELNS1_3repE0EEENS1_30default_config_static_selectorELNS0_4arch9wavefront6targetE1EEEvSM_: ; @_ZN7rocprim17ROCPRIM_400000_NS6detail17trampoline_kernelINS0_14default_configENS1_22reduce_config_selectorIlEEZNS1_11reduce_implILb1ES3_PlS7_lN6hipcub16HIPCUB_304000_NS6detail34convert_binary_result_type_wrapperINS9_3SumENS9_22TransformInputIteratorIb7NonZeroIfEPflEElEEEE10hipError_tPvRmT1_T2_T3_mT4_P12ihipStream_tbEUlT_E1_NS1_11comp_targetILNS1_3genE10ELNS1_11target_archE1201ELNS1_3gpuE5ELNS1_3repE0EEENS1_30default_config_static_selectorELNS0_4arch9wavefront6targetE1EEEvSM_
; %bb.0:
	.section	.rodata,"a",@progbits
	.p2align	6, 0x0
	.amdhsa_kernel _ZN7rocprim17ROCPRIM_400000_NS6detail17trampoline_kernelINS0_14default_configENS1_22reduce_config_selectorIlEEZNS1_11reduce_implILb1ES3_PlS7_lN6hipcub16HIPCUB_304000_NS6detail34convert_binary_result_type_wrapperINS9_3SumENS9_22TransformInputIteratorIb7NonZeroIfEPflEElEEEE10hipError_tPvRmT1_T2_T3_mT4_P12ihipStream_tbEUlT_E1_NS1_11comp_targetILNS1_3genE10ELNS1_11target_archE1201ELNS1_3gpuE5ELNS1_3repE0EEENS1_30default_config_static_selectorELNS0_4arch9wavefront6targetE1EEEvSM_
		.amdhsa_group_segment_fixed_size 0
		.amdhsa_private_segment_fixed_size 0
		.amdhsa_kernarg_size 48
		.amdhsa_user_sgpr_count 6
		.amdhsa_user_sgpr_private_segment_buffer 1
		.amdhsa_user_sgpr_dispatch_ptr 0
		.amdhsa_user_sgpr_queue_ptr 0
		.amdhsa_user_sgpr_kernarg_segment_ptr 1
		.amdhsa_user_sgpr_dispatch_id 0
		.amdhsa_user_sgpr_flat_scratch_init 0
		.amdhsa_user_sgpr_private_segment_size 0
		.amdhsa_uses_dynamic_stack 0
		.amdhsa_system_sgpr_private_segment_wavefront_offset 0
		.amdhsa_system_sgpr_workgroup_id_x 1
		.amdhsa_system_sgpr_workgroup_id_y 0
		.amdhsa_system_sgpr_workgroup_id_z 0
		.amdhsa_system_sgpr_workgroup_info 0
		.amdhsa_system_vgpr_workitem_id 0
		.amdhsa_next_free_vgpr 1
		.amdhsa_next_free_sgpr 0
		.amdhsa_reserve_vcc 0
		.amdhsa_reserve_flat_scratch 0
		.amdhsa_float_round_mode_32 0
		.amdhsa_float_round_mode_16_64 0
		.amdhsa_float_denorm_mode_32 3
		.amdhsa_float_denorm_mode_16_64 3
		.amdhsa_dx10_clamp 1
		.amdhsa_ieee_mode 1
		.amdhsa_fp16_overflow 0
		.amdhsa_exception_fp_ieee_invalid_op 0
		.amdhsa_exception_fp_denorm_src 0
		.amdhsa_exception_fp_ieee_div_zero 0
		.amdhsa_exception_fp_ieee_overflow 0
		.amdhsa_exception_fp_ieee_underflow 0
		.amdhsa_exception_fp_ieee_inexact 0
		.amdhsa_exception_int_div_zero 0
	.end_amdhsa_kernel
	.section	.text._ZN7rocprim17ROCPRIM_400000_NS6detail17trampoline_kernelINS0_14default_configENS1_22reduce_config_selectorIlEEZNS1_11reduce_implILb1ES3_PlS7_lN6hipcub16HIPCUB_304000_NS6detail34convert_binary_result_type_wrapperINS9_3SumENS9_22TransformInputIteratorIb7NonZeroIfEPflEElEEEE10hipError_tPvRmT1_T2_T3_mT4_P12ihipStream_tbEUlT_E1_NS1_11comp_targetILNS1_3genE10ELNS1_11target_archE1201ELNS1_3gpuE5ELNS1_3repE0EEENS1_30default_config_static_selectorELNS0_4arch9wavefront6targetE1EEEvSM_,"axG",@progbits,_ZN7rocprim17ROCPRIM_400000_NS6detail17trampoline_kernelINS0_14default_configENS1_22reduce_config_selectorIlEEZNS1_11reduce_implILb1ES3_PlS7_lN6hipcub16HIPCUB_304000_NS6detail34convert_binary_result_type_wrapperINS9_3SumENS9_22TransformInputIteratorIb7NonZeroIfEPflEElEEEE10hipError_tPvRmT1_T2_T3_mT4_P12ihipStream_tbEUlT_E1_NS1_11comp_targetILNS1_3genE10ELNS1_11target_archE1201ELNS1_3gpuE5ELNS1_3repE0EEENS1_30default_config_static_selectorELNS0_4arch9wavefront6targetE1EEEvSM_,comdat
.Lfunc_end231:
	.size	_ZN7rocprim17ROCPRIM_400000_NS6detail17trampoline_kernelINS0_14default_configENS1_22reduce_config_selectorIlEEZNS1_11reduce_implILb1ES3_PlS7_lN6hipcub16HIPCUB_304000_NS6detail34convert_binary_result_type_wrapperINS9_3SumENS9_22TransformInputIteratorIb7NonZeroIfEPflEElEEEE10hipError_tPvRmT1_T2_T3_mT4_P12ihipStream_tbEUlT_E1_NS1_11comp_targetILNS1_3genE10ELNS1_11target_archE1201ELNS1_3gpuE5ELNS1_3repE0EEENS1_30default_config_static_selectorELNS0_4arch9wavefront6targetE1EEEvSM_, .Lfunc_end231-_ZN7rocprim17ROCPRIM_400000_NS6detail17trampoline_kernelINS0_14default_configENS1_22reduce_config_selectorIlEEZNS1_11reduce_implILb1ES3_PlS7_lN6hipcub16HIPCUB_304000_NS6detail34convert_binary_result_type_wrapperINS9_3SumENS9_22TransformInputIteratorIb7NonZeroIfEPflEElEEEE10hipError_tPvRmT1_T2_T3_mT4_P12ihipStream_tbEUlT_E1_NS1_11comp_targetILNS1_3genE10ELNS1_11target_archE1201ELNS1_3gpuE5ELNS1_3repE0EEENS1_30default_config_static_selectorELNS0_4arch9wavefront6targetE1EEEvSM_
                                        ; -- End function
	.set _ZN7rocprim17ROCPRIM_400000_NS6detail17trampoline_kernelINS0_14default_configENS1_22reduce_config_selectorIlEEZNS1_11reduce_implILb1ES3_PlS7_lN6hipcub16HIPCUB_304000_NS6detail34convert_binary_result_type_wrapperINS9_3SumENS9_22TransformInputIteratorIb7NonZeroIfEPflEElEEEE10hipError_tPvRmT1_T2_T3_mT4_P12ihipStream_tbEUlT_E1_NS1_11comp_targetILNS1_3genE10ELNS1_11target_archE1201ELNS1_3gpuE5ELNS1_3repE0EEENS1_30default_config_static_selectorELNS0_4arch9wavefront6targetE1EEEvSM_.num_vgpr, 0
	.set _ZN7rocprim17ROCPRIM_400000_NS6detail17trampoline_kernelINS0_14default_configENS1_22reduce_config_selectorIlEEZNS1_11reduce_implILb1ES3_PlS7_lN6hipcub16HIPCUB_304000_NS6detail34convert_binary_result_type_wrapperINS9_3SumENS9_22TransformInputIteratorIb7NonZeroIfEPflEElEEEE10hipError_tPvRmT1_T2_T3_mT4_P12ihipStream_tbEUlT_E1_NS1_11comp_targetILNS1_3genE10ELNS1_11target_archE1201ELNS1_3gpuE5ELNS1_3repE0EEENS1_30default_config_static_selectorELNS0_4arch9wavefront6targetE1EEEvSM_.num_agpr, 0
	.set _ZN7rocprim17ROCPRIM_400000_NS6detail17trampoline_kernelINS0_14default_configENS1_22reduce_config_selectorIlEEZNS1_11reduce_implILb1ES3_PlS7_lN6hipcub16HIPCUB_304000_NS6detail34convert_binary_result_type_wrapperINS9_3SumENS9_22TransformInputIteratorIb7NonZeroIfEPflEElEEEE10hipError_tPvRmT1_T2_T3_mT4_P12ihipStream_tbEUlT_E1_NS1_11comp_targetILNS1_3genE10ELNS1_11target_archE1201ELNS1_3gpuE5ELNS1_3repE0EEENS1_30default_config_static_selectorELNS0_4arch9wavefront6targetE1EEEvSM_.numbered_sgpr, 0
	.set _ZN7rocprim17ROCPRIM_400000_NS6detail17trampoline_kernelINS0_14default_configENS1_22reduce_config_selectorIlEEZNS1_11reduce_implILb1ES3_PlS7_lN6hipcub16HIPCUB_304000_NS6detail34convert_binary_result_type_wrapperINS9_3SumENS9_22TransformInputIteratorIb7NonZeroIfEPflEElEEEE10hipError_tPvRmT1_T2_T3_mT4_P12ihipStream_tbEUlT_E1_NS1_11comp_targetILNS1_3genE10ELNS1_11target_archE1201ELNS1_3gpuE5ELNS1_3repE0EEENS1_30default_config_static_selectorELNS0_4arch9wavefront6targetE1EEEvSM_.num_named_barrier, 0
	.set _ZN7rocprim17ROCPRIM_400000_NS6detail17trampoline_kernelINS0_14default_configENS1_22reduce_config_selectorIlEEZNS1_11reduce_implILb1ES3_PlS7_lN6hipcub16HIPCUB_304000_NS6detail34convert_binary_result_type_wrapperINS9_3SumENS9_22TransformInputIteratorIb7NonZeroIfEPflEElEEEE10hipError_tPvRmT1_T2_T3_mT4_P12ihipStream_tbEUlT_E1_NS1_11comp_targetILNS1_3genE10ELNS1_11target_archE1201ELNS1_3gpuE5ELNS1_3repE0EEENS1_30default_config_static_selectorELNS0_4arch9wavefront6targetE1EEEvSM_.private_seg_size, 0
	.set _ZN7rocprim17ROCPRIM_400000_NS6detail17trampoline_kernelINS0_14default_configENS1_22reduce_config_selectorIlEEZNS1_11reduce_implILb1ES3_PlS7_lN6hipcub16HIPCUB_304000_NS6detail34convert_binary_result_type_wrapperINS9_3SumENS9_22TransformInputIteratorIb7NonZeroIfEPflEElEEEE10hipError_tPvRmT1_T2_T3_mT4_P12ihipStream_tbEUlT_E1_NS1_11comp_targetILNS1_3genE10ELNS1_11target_archE1201ELNS1_3gpuE5ELNS1_3repE0EEENS1_30default_config_static_selectorELNS0_4arch9wavefront6targetE1EEEvSM_.uses_vcc, 0
	.set _ZN7rocprim17ROCPRIM_400000_NS6detail17trampoline_kernelINS0_14default_configENS1_22reduce_config_selectorIlEEZNS1_11reduce_implILb1ES3_PlS7_lN6hipcub16HIPCUB_304000_NS6detail34convert_binary_result_type_wrapperINS9_3SumENS9_22TransformInputIteratorIb7NonZeroIfEPflEElEEEE10hipError_tPvRmT1_T2_T3_mT4_P12ihipStream_tbEUlT_E1_NS1_11comp_targetILNS1_3genE10ELNS1_11target_archE1201ELNS1_3gpuE5ELNS1_3repE0EEENS1_30default_config_static_selectorELNS0_4arch9wavefront6targetE1EEEvSM_.uses_flat_scratch, 0
	.set _ZN7rocprim17ROCPRIM_400000_NS6detail17trampoline_kernelINS0_14default_configENS1_22reduce_config_selectorIlEEZNS1_11reduce_implILb1ES3_PlS7_lN6hipcub16HIPCUB_304000_NS6detail34convert_binary_result_type_wrapperINS9_3SumENS9_22TransformInputIteratorIb7NonZeroIfEPflEElEEEE10hipError_tPvRmT1_T2_T3_mT4_P12ihipStream_tbEUlT_E1_NS1_11comp_targetILNS1_3genE10ELNS1_11target_archE1201ELNS1_3gpuE5ELNS1_3repE0EEENS1_30default_config_static_selectorELNS0_4arch9wavefront6targetE1EEEvSM_.has_dyn_sized_stack, 0
	.set _ZN7rocprim17ROCPRIM_400000_NS6detail17trampoline_kernelINS0_14default_configENS1_22reduce_config_selectorIlEEZNS1_11reduce_implILb1ES3_PlS7_lN6hipcub16HIPCUB_304000_NS6detail34convert_binary_result_type_wrapperINS9_3SumENS9_22TransformInputIteratorIb7NonZeroIfEPflEElEEEE10hipError_tPvRmT1_T2_T3_mT4_P12ihipStream_tbEUlT_E1_NS1_11comp_targetILNS1_3genE10ELNS1_11target_archE1201ELNS1_3gpuE5ELNS1_3repE0EEENS1_30default_config_static_selectorELNS0_4arch9wavefront6targetE1EEEvSM_.has_recursion, 0
	.set _ZN7rocprim17ROCPRIM_400000_NS6detail17trampoline_kernelINS0_14default_configENS1_22reduce_config_selectorIlEEZNS1_11reduce_implILb1ES3_PlS7_lN6hipcub16HIPCUB_304000_NS6detail34convert_binary_result_type_wrapperINS9_3SumENS9_22TransformInputIteratorIb7NonZeroIfEPflEElEEEE10hipError_tPvRmT1_T2_T3_mT4_P12ihipStream_tbEUlT_E1_NS1_11comp_targetILNS1_3genE10ELNS1_11target_archE1201ELNS1_3gpuE5ELNS1_3repE0EEENS1_30default_config_static_selectorELNS0_4arch9wavefront6targetE1EEEvSM_.has_indirect_call, 0
	.section	.AMDGPU.csdata,"",@progbits
; Kernel info:
; codeLenInByte = 0
; TotalNumSgprs: 4
; NumVgprs: 0
; ScratchSize: 0
; MemoryBound: 0
; FloatMode: 240
; IeeeMode: 1
; LDSByteSize: 0 bytes/workgroup (compile time only)
; SGPRBlocks: 0
; VGPRBlocks: 0
; NumSGPRsForWavesPerEU: 4
; NumVGPRsForWavesPerEU: 1
; Occupancy: 10
; WaveLimiterHint : 0
; COMPUTE_PGM_RSRC2:SCRATCH_EN: 0
; COMPUTE_PGM_RSRC2:USER_SGPR: 6
; COMPUTE_PGM_RSRC2:TRAP_HANDLER: 0
; COMPUTE_PGM_RSRC2:TGID_X_EN: 1
; COMPUTE_PGM_RSRC2:TGID_Y_EN: 0
; COMPUTE_PGM_RSRC2:TGID_Z_EN: 0
; COMPUTE_PGM_RSRC2:TIDIG_COMP_CNT: 0
	.section	.text._ZN7rocprim17ROCPRIM_400000_NS6detail17trampoline_kernelINS0_14default_configENS1_22reduce_config_selectorIlEEZNS1_11reduce_implILb1ES3_PlS7_lN6hipcub16HIPCUB_304000_NS6detail34convert_binary_result_type_wrapperINS9_3SumENS9_22TransformInputIteratorIb7NonZeroIfEPflEElEEEE10hipError_tPvRmT1_T2_T3_mT4_P12ihipStream_tbEUlT_E1_NS1_11comp_targetILNS1_3genE10ELNS1_11target_archE1200ELNS1_3gpuE4ELNS1_3repE0EEENS1_30default_config_static_selectorELNS0_4arch9wavefront6targetE1EEEvSM_,"axG",@progbits,_ZN7rocprim17ROCPRIM_400000_NS6detail17trampoline_kernelINS0_14default_configENS1_22reduce_config_selectorIlEEZNS1_11reduce_implILb1ES3_PlS7_lN6hipcub16HIPCUB_304000_NS6detail34convert_binary_result_type_wrapperINS9_3SumENS9_22TransformInputIteratorIb7NonZeroIfEPflEElEEEE10hipError_tPvRmT1_T2_T3_mT4_P12ihipStream_tbEUlT_E1_NS1_11comp_targetILNS1_3genE10ELNS1_11target_archE1200ELNS1_3gpuE4ELNS1_3repE0EEENS1_30default_config_static_selectorELNS0_4arch9wavefront6targetE1EEEvSM_,comdat
	.protected	_ZN7rocprim17ROCPRIM_400000_NS6detail17trampoline_kernelINS0_14default_configENS1_22reduce_config_selectorIlEEZNS1_11reduce_implILb1ES3_PlS7_lN6hipcub16HIPCUB_304000_NS6detail34convert_binary_result_type_wrapperINS9_3SumENS9_22TransformInputIteratorIb7NonZeroIfEPflEElEEEE10hipError_tPvRmT1_T2_T3_mT4_P12ihipStream_tbEUlT_E1_NS1_11comp_targetILNS1_3genE10ELNS1_11target_archE1200ELNS1_3gpuE4ELNS1_3repE0EEENS1_30default_config_static_selectorELNS0_4arch9wavefront6targetE1EEEvSM_ ; -- Begin function _ZN7rocprim17ROCPRIM_400000_NS6detail17trampoline_kernelINS0_14default_configENS1_22reduce_config_selectorIlEEZNS1_11reduce_implILb1ES3_PlS7_lN6hipcub16HIPCUB_304000_NS6detail34convert_binary_result_type_wrapperINS9_3SumENS9_22TransformInputIteratorIb7NonZeroIfEPflEElEEEE10hipError_tPvRmT1_T2_T3_mT4_P12ihipStream_tbEUlT_E1_NS1_11comp_targetILNS1_3genE10ELNS1_11target_archE1200ELNS1_3gpuE4ELNS1_3repE0EEENS1_30default_config_static_selectorELNS0_4arch9wavefront6targetE1EEEvSM_
	.globl	_ZN7rocprim17ROCPRIM_400000_NS6detail17trampoline_kernelINS0_14default_configENS1_22reduce_config_selectorIlEEZNS1_11reduce_implILb1ES3_PlS7_lN6hipcub16HIPCUB_304000_NS6detail34convert_binary_result_type_wrapperINS9_3SumENS9_22TransformInputIteratorIb7NonZeroIfEPflEElEEEE10hipError_tPvRmT1_T2_T3_mT4_P12ihipStream_tbEUlT_E1_NS1_11comp_targetILNS1_3genE10ELNS1_11target_archE1200ELNS1_3gpuE4ELNS1_3repE0EEENS1_30default_config_static_selectorELNS0_4arch9wavefront6targetE1EEEvSM_
	.p2align	8
	.type	_ZN7rocprim17ROCPRIM_400000_NS6detail17trampoline_kernelINS0_14default_configENS1_22reduce_config_selectorIlEEZNS1_11reduce_implILb1ES3_PlS7_lN6hipcub16HIPCUB_304000_NS6detail34convert_binary_result_type_wrapperINS9_3SumENS9_22TransformInputIteratorIb7NonZeroIfEPflEElEEEE10hipError_tPvRmT1_T2_T3_mT4_P12ihipStream_tbEUlT_E1_NS1_11comp_targetILNS1_3genE10ELNS1_11target_archE1200ELNS1_3gpuE4ELNS1_3repE0EEENS1_30default_config_static_selectorELNS0_4arch9wavefront6targetE1EEEvSM_,@function
_ZN7rocprim17ROCPRIM_400000_NS6detail17trampoline_kernelINS0_14default_configENS1_22reduce_config_selectorIlEEZNS1_11reduce_implILb1ES3_PlS7_lN6hipcub16HIPCUB_304000_NS6detail34convert_binary_result_type_wrapperINS9_3SumENS9_22TransformInputIteratorIb7NonZeroIfEPflEElEEEE10hipError_tPvRmT1_T2_T3_mT4_P12ihipStream_tbEUlT_E1_NS1_11comp_targetILNS1_3genE10ELNS1_11target_archE1200ELNS1_3gpuE4ELNS1_3repE0EEENS1_30default_config_static_selectorELNS0_4arch9wavefront6targetE1EEEvSM_: ; @_ZN7rocprim17ROCPRIM_400000_NS6detail17trampoline_kernelINS0_14default_configENS1_22reduce_config_selectorIlEEZNS1_11reduce_implILb1ES3_PlS7_lN6hipcub16HIPCUB_304000_NS6detail34convert_binary_result_type_wrapperINS9_3SumENS9_22TransformInputIteratorIb7NonZeroIfEPflEElEEEE10hipError_tPvRmT1_T2_T3_mT4_P12ihipStream_tbEUlT_E1_NS1_11comp_targetILNS1_3genE10ELNS1_11target_archE1200ELNS1_3gpuE4ELNS1_3repE0EEENS1_30default_config_static_selectorELNS0_4arch9wavefront6targetE1EEEvSM_
; %bb.0:
	.section	.rodata,"a",@progbits
	.p2align	6, 0x0
	.amdhsa_kernel _ZN7rocprim17ROCPRIM_400000_NS6detail17trampoline_kernelINS0_14default_configENS1_22reduce_config_selectorIlEEZNS1_11reduce_implILb1ES3_PlS7_lN6hipcub16HIPCUB_304000_NS6detail34convert_binary_result_type_wrapperINS9_3SumENS9_22TransformInputIteratorIb7NonZeroIfEPflEElEEEE10hipError_tPvRmT1_T2_T3_mT4_P12ihipStream_tbEUlT_E1_NS1_11comp_targetILNS1_3genE10ELNS1_11target_archE1200ELNS1_3gpuE4ELNS1_3repE0EEENS1_30default_config_static_selectorELNS0_4arch9wavefront6targetE1EEEvSM_
		.amdhsa_group_segment_fixed_size 0
		.amdhsa_private_segment_fixed_size 0
		.amdhsa_kernarg_size 48
		.amdhsa_user_sgpr_count 6
		.amdhsa_user_sgpr_private_segment_buffer 1
		.amdhsa_user_sgpr_dispatch_ptr 0
		.amdhsa_user_sgpr_queue_ptr 0
		.amdhsa_user_sgpr_kernarg_segment_ptr 1
		.amdhsa_user_sgpr_dispatch_id 0
		.amdhsa_user_sgpr_flat_scratch_init 0
		.amdhsa_user_sgpr_private_segment_size 0
		.amdhsa_uses_dynamic_stack 0
		.amdhsa_system_sgpr_private_segment_wavefront_offset 0
		.amdhsa_system_sgpr_workgroup_id_x 1
		.amdhsa_system_sgpr_workgroup_id_y 0
		.amdhsa_system_sgpr_workgroup_id_z 0
		.amdhsa_system_sgpr_workgroup_info 0
		.amdhsa_system_vgpr_workitem_id 0
		.amdhsa_next_free_vgpr 1
		.amdhsa_next_free_sgpr 0
		.amdhsa_reserve_vcc 0
		.amdhsa_reserve_flat_scratch 0
		.amdhsa_float_round_mode_32 0
		.amdhsa_float_round_mode_16_64 0
		.amdhsa_float_denorm_mode_32 3
		.amdhsa_float_denorm_mode_16_64 3
		.amdhsa_dx10_clamp 1
		.amdhsa_ieee_mode 1
		.amdhsa_fp16_overflow 0
		.amdhsa_exception_fp_ieee_invalid_op 0
		.amdhsa_exception_fp_denorm_src 0
		.amdhsa_exception_fp_ieee_div_zero 0
		.amdhsa_exception_fp_ieee_overflow 0
		.amdhsa_exception_fp_ieee_underflow 0
		.amdhsa_exception_fp_ieee_inexact 0
		.amdhsa_exception_int_div_zero 0
	.end_amdhsa_kernel
	.section	.text._ZN7rocprim17ROCPRIM_400000_NS6detail17trampoline_kernelINS0_14default_configENS1_22reduce_config_selectorIlEEZNS1_11reduce_implILb1ES3_PlS7_lN6hipcub16HIPCUB_304000_NS6detail34convert_binary_result_type_wrapperINS9_3SumENS9_22TransformInputIteratorIb7NonZeroIfEPflEElEEEE10hipError_tPvRmT1_T2_T3_mT4_P12ihipStream_tbEUlT_E1_NS1_11comp_targetILNS1_3genE10ELNS1_11target_archE1200ELNS1_3gpuE4ELNS1_3repE0EEENS1_30default_config_static_selectorELNS0_4arch9wavefront6targetE1EEEvSM_,"axG",@progbits,_ZN7rocprim17ROCPRIM_400000_NS6detail17trampoline_kernelINS0_14default_configENS1_22reduce_config_selectorIlEEZNS1_11reduce_implILb1ES3_PlS7_lN6hipcub16HIPCUB_304000_NS6detail34convert_binary_result_type_wrapperINS9_3SumENS9_22TransformInputIteratorIb7NonZeroIfEPflEElEEEE10hipError_tPvRmT1_T2_T3_mT4_P12ihipStream_tbEUlT_E1_NS1_11comp_targetILNS1_3genE10ELNS1_11target_archE1200ELNS1_3gpuE4ELNS1_3repE0EEENS1_30default_config_static_selectorELNS0_4arch9wavefront6targetE1EEEvSM_,comdat
.Lfunc_end232:
	.size	_ZN7rocprim17ROCPRIM_400000_NS6detail17trampoline_kernelINS0_14default_configENS1_22reduce_config_selectorIlEEZNS1_11reduce_implILb1ES3_PlS7_lN6hipcub16HIPCUB_304000_NS6detail34convert_binary_result_type_wrapperINS9_3SumENS9_22TransformInputIteratorIb7NonZeroIfEPflEElEEEE10hipError_tPvRmT1_T2_T3_mT4_P12ihipStream_tbEUlT_E1_NS1_11comp_targetILNS1_3genE10ELNS1_11target_archE1200ELNS1_3gpuE4ELNS1_3repE0EEENS1_30default_config_static_selectorELNS0_4arch9wavefront6targetE1EEEvSM_, .Lfunc_end232-_ZN7rocprim17ROCPRIM_400000_NS6detail17trampoline_kernelINS0_14default_configENS1_22reduce_config_selectorIlEEZNS1_11reduce_implILb1ES3_PlS7_lN6hipcub16HIPCUB_304000_NS6detail34convert_binary_result_type_wrapperINS9_3SumENS9_22TransformInputIteratorIb7NonZeroIfEPflEElEEEE10hipError_tPvRmT1_T2_T3_mT4_P12ihipStream_tbEUlT_E1_NS1_11comp_targetILNS1_3genE10ELNS1_11target_archE1200ELNS1_3gpuE4ELNS1_3repE0EEENS1_30default_config_static_selectorELNS0_4arch9wavefront6targetE1EEEvSM_
                                        ; -- End function
	.set _ZN7rocprim17ROCPRIM_400000_NS6detail17trampoline_kernelINS0_14default_configENS1_22reduce_config_selectorIlEEZNS1_11reduce_implILb1ES3_PlS7_lN6hipcub16HIPCUB_304000_NS6detail34convert_binary_result_type_wrapperINS9_3SumENS9_22TransformInputIteratorIb7NonZeroIfEPflEElEEEE10hipError_tPvRmT1_T2_T3_mT4_P12ihipStream_tbEUlT_E1_NS1_11comp_targetILNS1_3genE10ELNS1_11target_archE1200ELNS1_3gpuE4ELNS1_3repE0EEENS1_30default_config_static_selectorELNS0_4arch9wavefront6targetE1EEEvSM_.num_vgpr, 0
	.set _ZN7rocprim17ROCPRIM_400000_NS6detail17trampoline_kernelINS0_14default_configENS1_22reduce_config_selectorIlEEZNS1_11reduce_implILb1ES3_PlS7_lN6hipcub16HIPCUB_304000_NS6detail34convert_binary_result_type_wrapperINS9_3SumENS9_22TransformInputIteratorIb7NonZeroIfEPflEElEEEE10hipError_tPvRmT1_T2_T3_mT4_P12ihipStream_tbEUlT_E1_NS1_11comp_targetILNS1_3genE10ELNS1_11target_archE1200ELNS1_3gpuE4ELNS1_3repE0EEENS1_30default_config_static_selectorELNS0_4arch9wavefront6targetE1EEEvSM_.num_agpr, 0
	.set _ZN7rocprim17ROCPRIM_400000_NS6detail17trampoline_kernelINS0_14default_configENS1_22reduce_config_selectorIlEEZNS1_11reduce_implILb1ES3_PlS7_lN6hipcub16HIPCUB_304000_NS6detail34convert_binary_result_type_wrapperINS9_3SumENS9_22TransformInputIteratorIb7NonZeroIfEPflEElEEEE10hipError_tPvRmT1_T2_T3_mT4_P12ihipStream_tbEUlT_E1_NS1_11comp_targetILNS1_3genE10ELNS1_11target_archE1200ELNS1_3gpuE4ELNS1_3repE0EEENS1_30default_config_static_selectorELNS0_4arch9wavefront6targetE1EEEvSM_.numbered_sgpr, 0
	.set _ZN7rocprim17ROCPRIM_400000_NS6detail17trampoline_kernelINS0_14default_configENS1_22reduce_config_selectorIlEEZNS1_11reduce_implILb1ES3_PlS7_lN6hipcub16HIPCUB_304000_NS6detail34convert_binary_result_type_wrapperINS9_3SumENS9_22TransformInputIteratorIb7NonZeroIfEPflEElEEEE10hipError_tPvRmT1_T2_T3_mT4_P12ihipStream_tbEUlT_E1_NS1_11comp_targetILNS1_3genE10ELNS1_11target_archE1200ELNS1_3gpuE4ELNS1_3repE0EEENS1_30default_config_static_selectorELNS0_4arch9wavefront6targetE1EEEvSM_.num_named_barrier, 0
	.set _ZN7rocprim17ROCPRIM_400000_NS6detail17trampoline_kernelINS0_14default_configENS1_22reduce_config_selectorIlEEZNS1_11reduce_implILb1ES3_PlS7_lN6hipcub16HIPCUB_304000_NS6detail34convert_binary_result_type_wrapperINS9_3SumENS9_22TransformInputIteratorIb7NonZeroIfEPflEElEEEE10hipError_tPvRmT1_T2_T3_mT4_P12ihipStream_tbEUlT_E1_NS1_11comp_targetILNS1_3genE10ELNS1_11target_archE1200ELNS1_3gpuE4ELNS1_3repE0EEENS1_30default_config_static_selectorELNS0_4arch9wavefront6targetE1EEEvSM_.private_seg_size, 0
	.set _ZN7rocprim17ROCPRIM_400000_NS6detail17trampoline_kernelINS0_14default_configENS1_22reduce_config_selectorIlEEZNS1_11reduce_implILb1ES3_PlS7_lN6hipcub16HIPCUB_304000_NS6detail34convert_binary_result_type_wrapperINS9_3SumENS9_22TransformInputIteratorIb7NonZeroIfEPflEElEEEE10hipError_tPvRmT1_T2_T3_mT4_P12ihipStream_tbEUlT_E1_NS1_11comp_targetILNS1_3genE10ELNS1_11target_archE1200ELNS1_3gpuE4ELNS1_3repE0EEENS1_30default_config_static_selectorELNS0_4arch9wavefront6targetE1EEEvSM_.uses_vcc, 0
	.set _ZN7rocprim17ROCPRIM_400000_NS6detail17trampoline_kernelINS0_14default_configENS1_22reduce_config_selectorIlEEZNS1_11reduce_implILb1ES3_PlS7_lN6hipcub16HIPCUB_304000_NS6detail34convert_binary_result_type_wrapperINS9_3SumENS9_22TransformInputIteratorIb7NonZeroIfEPflEElEEEE10hipError_tPvRmT1_T2_T3_mT4_P12ihipStream_tbEUlT_E1_NS1_11comp_targetILNS1_3genE10ELNS1_11target_archE1200ELNS1_3gpuE4ELNS1_3repE0EEENS1_30default_config_static_selectorELNS0_4arch9wavefront6targetE1EEEvSM_.uses_flat_scratch, 0
	.set _ZN7rocprim17ROCPRIM_400000_NS6detail17trampoline_kernelINS0_14default_configENS1_22reduce_config_selectorIlEEZNS1_11reduce_implILb1ES3_PlS7_lN6hipcub16HIPCUB_304000_NS6detail34convert_binary_result_type_wrapperINS9_3SumENS9_22TransformInputIteratorIb7NonZeroIfEPflEElEEEE10hipError_tPvRmT1_T2_T3_mT4_P12ihipStream_tbEUlT_E1_NS1_11comp_targetILNS1_3genE10ELNS1_11target_archE1200ELNS1_3gpuE4ELNS1_3repE0EEENS1_30default_config_static_selectorELNS0_4arch9wavefront6targetE1EEEvSM_.has_dyn_sized_stack, 0
	.set _ZN7rocprim17ROCPRIM_400000_NS6detail17trampoline_kernelINS0_14default_configENS1_22reduce_config_selectorIlEEZNS1_11reduce_implILb1ES3_PlS7_lN6hipcub16HIPCUB_304000_NS6detail34convert_binary_result_type_wrapperINS9_3SumENS9_22TransformInputIteratorIb7NonZeroIfEPflEElEEEE10hipError_tPvRmT1_T2_T3_mT4_P12ihipStream_tbEUlT_E1_NS1_11comp_targetILNS1_3genE10ELNS1_11target_archE1200ELNS1_3gpuE4ELNS1_3repE0EEENS1_30default_config_static_selectorELNS0_4arch9wavefront6targetE1EEEvSM_.has_recursion, 0
	.set _ZN7rocprim17ROCPRIM_400000_NS6detail17trampoline_kernelINS0_14default_configENS1_22reduce_config_selectorIlEEZNS1_11reduce_implILb1ES3_PlS7_lN6hipcub16HIPCUB_304000_NS6detail34convert_binary_result_type_wrapperINS9_3SumENS9_22TransformInputIteratorIb7NonZeroIfEPflEElEEEE10hipError_tPvRmT1_T2_T3_mT4_P12ihipStream_tbEUlT_E1_NS1_11comp_targetILNS1_3genE10ELNS1_11target_archE1200ELNS1_3gpuE4ELNS1_3repE0EEENS1_30default_config_static_selectorELNS0_4arch9wavefront6targetE1EEEvSM_.has_indirect_call, 0
	.section	.AMDGPU.csdata,"",@progbits
; Kernel info:
; codeLenInByte = 0
; TotalNumSgprs: 4
; NumVgprs: 0
; ScratchSize: 0
; MemoryBound: 0
; FloatMode: 240
; IeeeMode: 1
; LDSByteSize: 0 bytes/workgroup (compile time only)
; SGPRBlocks: 0
; VGPRBlocks: 0
; NumSGPRsForWavesPerEU: 4
; NumVGPRsForWavesPerEU: 1
; Occupancy: 10
; WaveLimiterHint : 0
; COMPUTE_PGM_RSRC2:SCRATCH_EN: 0
; COMPUTE_PGM_RSRC2:USER_SGPR: 6
; COMPUTE_PGM_RSRC2:TRAP_HANDLER: 0
; COMPUTE_PGM_RSRC2:TGID_X_EN: 1
; COMPUTE_PGM_RSRC2:TGID_Y_EN: 0
; COMPUTE_PGM_RSRC2:TGID_Z_EN: 0
; COMPUTE_PGM_RSRC2:TIDIG_COMP_CNT: 0
	.section	.text._ZN7rocprim17ROCPRIM_400000_NS6detail17trampoline_kernelINS0_14default_configENS1_22reduce_config_selectorIlEEZNS1_11reduce_implILb1ES3_PlS7_lN6hipcub16HIPCUB_304000_NS6detail34convert_binary_result_type_wrapperINS9_3SumENS9_22TransformInputIteratorIb7NonZeroIfEPflEElEEEE10hipError_tPvRmT1_T2_T3_mT4_P12ihipStream_tbEUlT_E1_NS1_11comp_targetILNS1_3genE9ELNS1_11target_archE1100ELNS1_3gpuE3ELNS1_3repE0EEENS1_30default_config_static_selectorELNS0_4arch9wavefront6targetE1EEEvSM_,"axG",@progbits,_ZN7rocprim17ROCPRIM_400000_NS6detail17trampoline_kernelINS0_14default_configENS1_22reduce_config_selectorIlEEZNS1_11reduce_implILb1ES3_PlS7_lN6hipcub16HIPCUB_304000_NS6detail34convert_binary_result_type_wrapperINS9_3SumENS9_22TransformInputIteratorIb7NonZeroIfEPflEElEEEE10hipError_tPvRmT1_T2_T3_mT4_P12ihipStream_tbEUlT_E1_NS1_11comp_targetILNS1_3genE9ELNS1_11target_archE1100ELNS1_3gpuE3ELNS1_3repE0EEENS1_30default_config_static_selectorELNS0_4arch9wavefront6targetE1EEEvSM_,comdat
	.protected	_ZN7rocprim17ROCPRIM_400000_NS6detail17trampoline_kernelINS0_14default_configENS1_22reduce_config_selectorIlEEZNS1_11reduce_implILb1ES3_PlS7_lN6hipcub16HIPCUB_304000_NS6detail34convert_binary_result_type_wrapperINS9_3SumENS9_22TransformInputIteratorIb7NonZeroIfEPflEElEEEE10hipError_tPvRmT1_T2_T3_mT4_P12ihipStream_tbEUlT_E1_NS1_11comp_targetILNS1_3genE9ELNS1_11target_archE1100ELNS1_3gpuE3ELNS1_3repE0EEENS1_30default_config_static_selectorELNS0_4arch9wavefront6targetE1EEEvSM_ ; -- Begin function _ZN7rocprim17ROCPRIM_400000_NS6detail17trampoline_kernelINS0_14default_configENS1_22reduce_config_selectorIlEEZNS1_11reduce_implILb1ES3_PlS7_lN6hipcub16HIPCUB_304000_NS6detail34convert_binary_result_type_wrapperINS9_3SumENS9_22TransformInputIteratorIb7NonZeroIfEPflEElEEEE10hipError_tPvRmT1_T2_T3_mT4_P12ihipStream_tbEUlT_E1_NS1_11comp_targetILNS1_3genE9ELNS1_11target_archE1100ELNS1_3gpuE3ELNS1_3repE0EEENS1_30default_config_static_selectorELNS0_4arch9wavefront6targetE1EEEvSM_
	.globl	_ZN7rocprim17ROCPRIM_400000_NS6detail17trampoline_kernelINS0_14default_configENS1_22reduce_config_selectorIlEEZNS1_11reduce_implILb1ES3_PlS7_lN6hipcub16HIPCUB_304000_NS6detail34convert_binary_result_type_wrapperINS9_3SumENS9_22TransformInputIteratorIb7NonZeroIfEPflEElEEEE10hipError_tPvRmT1_T2_T3_mT4_P12ihipStream_tbEUlT_E1_NS1_11comp_targetILNS1_3genE9ELNS1_11target_archE1100ELNS1_3gpuE3ELNS1_3repE0EEENS1_30default_config_static_selectorELNS0_4arch9wavefront6targetE1EEEvSM_
	.p2align	8
	.type	_ZN7rocprim17ROCPRIM_400000_NS6detail17trampoline_kernelINS0_14default_configENS1_22reduce_config_selectorIlEEZNS1_11reduce_implILb1ES3_PlS7_lN6hipcub16HIPCUB_304000_NS6detail34convert_binary_result_type_wrapperINS9_3SumENS9_22TransformInputIteratorIb7NonZeroIfEPflEElEEEE10hipError_tPvRmT1_T2_T3_mT4_P12ihipStream_tbEUlT_E1_NS1_11comp_targetILNS1_3genE9ELNS1_11target_archE1100ELNS1_3gpuE3ELNS1_3repE0EEENS1_30default_config_static_selectorELNS0_4arch9wavefront6targetE1EEEvSM_,@function
_ZN7rocprim17ROCPRIM_400000_NS6detail17trampoline_kernelINS0_14default_configENS1_22reduce_config_selectorIlEEZNS1_11reduce_implILb1ES3_PlS7_lN6hipcub16HIPCUB_304000_NS6detail34convert_binary_result_type_wrapperINS9_3SumENS9_22TransformInputIteratorIb7NonZeroIfEPflEElEEEE10hipError_tPvRmT1_T2_T3_mT4_P12ihipStream_tbEUlT_E1_NS1_11comp_targetILNS1_3genE9ELNS1_11target_archE1100ELNS1_3gpuE3ELNS1_3repE0EEENS1_30default_config_static_selectorELNS0_4arch9wavefront6targetE1EEEvSM_: ; @_ZN7rocprim17ROCPRIM_400000_NS6detail17trampoline_kernelINS0_14default_configENS1_22reduce_config_selectorIlEEZNS1_11reduce_implILb1ES3_PlS7_lN6hipcub16HIPCUB_304000_NS6detail34convert_binary_result_type_wrapperINS9_3SumENS9_22TransformInputIteratorIb7NonZeroIfEPflEElEEEE10hipError_tPvRmT1_T2_T3_mT4_P12ihipStream_tbEUlT_E1_NS1_11comp_targetILNS1_3genE9ELNS1_11target_archE1100ELNS1_3gpuE3ELNS1_3repE0EEENS1_30default_config_static_selectorELNS0_4arch9wavefront6targetE1EEEvSM_
; %bb.0:
	.section	.rodata,"a",@progbits
	.p2align	6, 0x0
	.amdhsa_kernel _ZN7rocprim17ROCPRIM_400000_NS6detail17trampoline_kernelINS0_14default_configENS1_22reduce_config_selectorIlEEZNS1_11reduce_implILb1ES3_PlS7_lN6hipcub16HIPCUB_304000_NS6detail34convert_binary_result_type_wrapperINS9_3SumENS9_22TransformInputIteratorIb7NonZeroIfEPflEElEEEE10hipError_tPvRmT1_T2_T3_mT4_P12ihipStream_tbEUlT_E1_NS1_11comp_targetILNS1_3genE9ELNS1_11target_archE1100ELNS1_3gpuE3ELNS1_3repE0EEENS1_30default_config_static_selectorELNS0_4arch9wavefront6targetE1EEEvSM_
		.amdhsa_group_segment_fixed_size 0
		.amdhsa_private_segment_fixed_size 0
		.amdhsa_kernarg_size 48
		.amdhsa_user_sgpr_count 6
		.amdhsa_user_sgpr_private_segment_buffer 1
		.amdhsa_user_sgpr_dispatch_ptr 0
		.amdhsa_user_sgpr_queue_ptr 0
		.amdhsa_user_sgpr_kernarg_segment_ptr 1
		.amdhsa_user_sgpr_dispatch_id 0
		.amdhsa_user_sgpr_flat_scratch_init 0
		.amdhsa_user_sgpr_private_segment_size 0
		.amdhsa_uses_dynamic_stack 0
		.amdhsa_system_sgpr_private_segment_wavefront_offset 0
		.amdhsa_system_sgpr_workgroup_id_x 1
		.amdhsa_system_sgpr_workgroup_id_y 0
		.amdhsa_system_sgpr_workgroup_id_z 0
		.amdhsa_system_sgpr_workgroup_info 0
		.amdhsa_system_vgpr_workitem_id 0
		.amdhsa_next_free_vgpr 1
		.amdhsa_next_free_sgpr 0
		.amdhsa_reserve_vcc 0
		.amdhsa_reserve_flat_scratch 0
		.amdhsa_float_round_mode_32 0
		.amdhsa_float_round_mode_16_64 0
		.amdhsa_float_denorm_mode_32 3
		.amdhsa_float_denorm_mode_16_64 3
		.amdhsa_dx10_clamp 1
		.amdhsa_ieee_mode 1
		.amdhsa_fp16_overflow 0
		.amdhsa_exception_fp_ieee_invalid_op 0
		.amdhsa_exception_fp_denorm_src 0
		.amdhsa_exception_fp_ieee_div_zero 0
		.amdhsa_exception_fp_ieee_overflow 0
		.amdhsa_exception_fp_ieee_underflow 0
		.amdhsa_exception_fp_ieee_inexact 0
		.amdhsa_exception_int_div_zero 0
	.end_amdhsa_kernel
	.section	.text._ZN7rocprim17ROCPRIM_400000_NS6detail17trampoline_kernelINS0_14default_configENS1_22reduce_config_selectorIlEEZNS1_11reduce_implILb1ES3_PlS7_lN6hipcub16HIPCUB_304000_NS6detail34convert_binary_result_type_wrapperINS9_3SumENS9_22TransformInputIteratorIb7NonZeroIfEPflEElEEEE10hipError_tPvRmT1_T2_T3_mT4_P12ihipStream_tbEUlT_E1_NS1_11comp_targetILNS1_3genE9ELNS1_11target_archE1100ELNS1_3gpuE3ELNS1_3repE0EEENS1_30default_config_static_selectorELNS0_4arch9wavefront6targetE1EEEvSM_,"axG",@progbits,_ZN7rocprim17ROCPRIM_400000_NS6detail17trampoline_kernelINS0_14default_configENS1_22reduce_config_selectorIlEEZNS1_11reduce_implILb1ES3_PlS7_lN6hipcub16HIPCUB_304000_NS6detail34convert_binary_result_type_wrapperINS9_3SumENS9_22TransformInputIteratorIb7NonZeroIfEPflEElEEEE10hipError_tPvRmT1_T2_T3_mT4_P12ihipStream_tbEUlT_E1_NS1_11comp_targetILNS1_3genE9ELNS1_11target_archE1100ELNS1_3gpuE3ELNS1_3repE0EEENS1_30default_config_static_selectorELNS0_4arch9wavefront6targetE1EEEvSM_,comdat
.Lfunc_end233:
	.size	_ZN7rocprim17ROCPRIM_400000_NS6detail17trampoline_kernelINS0_14default_configENS1_22reduce_config_selectorIlEEZNS1_11reduce_implILb1ES3_PlS7_lN6hipcub16HIPCUB_304000_NS6detail34convert_binary_result_type_wrapperINS9_3SumENS9_22TransformInputIteratorIb7NonZeroIfEPflEElEEEE10hipError_tPvRmT1_T2_T3_mT4_P12ihipStream_tbEUlT_E1_NS1_11comp_targetILNS1_3genE9ELNS1_11target_archE1100ELNS1_3gpuE3ELNS1_3repE0EEENS1_30default_config_static_selectorELNS0_4arch9wavefront6targetE1EEEvSM_, .Lfunc_end233-_ZN7rocprim17ROCPRIM_400000_NS6detail17trampoline_kernelINS0_14default_configENS1_22reduce_config_selectorIlEEZNS1_11reduce_implILb1ES3_PlS7_lN6hipcub16HIPCUB_304000_NS6detail34convert_binary_result_type_wrapperINS9_3SumENS9_22TransformInputIteratorIb7NonZeroIfEPflEElEEEE10hipError_tPvRmT1_T2_T3_mT4_P12ihipStream_tbEUlT_E1_NS1_11comp_targetILNS1_3genE9ELNS1_11target_archE1100ELNS1_3gpuE3ELNS1_3repE0EEENS1_30default_config_static_selectorELNS0_4arch9wavefront6targetE1EEEvSM_
                                        ; -- End function
	.set _ZN7rocprim17ROCPRIM_400000_NS6detail17trampoline_kernelINS0_14default_configENS1_22reduce_config_selectorIlEEZNS1_11reduce_implILb1ES3_PlS7_lN6hipcub16HIPCUB_304000_NS6detail34convert_binary_result_type_wrapperINS9_3SumENS9_22TransformInputIteratorIb7NonZeroIfEPflEElEEEE10hipError_tPvRmT1_T2_T3_mT4_P12ihipStream_tbEUlT_E1_NS1_11comp_targetILNS1_3genE9ELNS1_11target_archE1100ELNS1_3gpuE3ELNS1_3repE0EEENS1_30default_config_static_selectorELNS0_4arch9wavefront6targetE1EEEvSM_.num_vgpr, 0
	.set _ZN7rocprim17ROCPRIM_400000_NS6detail17trampoline_kernelINS0_14default_configENS1_22reduce_config_selectorIlEEZNS1_11reduce_implILb1ES3_PlS7_lN6hipcub16HIPCUB_304000_NS6detail34convert_binary_result_type_wrapperINS9_3SumENS9_22TransformInputIteratorIb7NonZeroIfEPflEElEEEE10hipError_tPvRmT1_T2_T3_mT4_P12ihipStream_tbEUlT_E1_NS1_11comp_targetILNS1_3genE9ELNS1_11target_archE1100ELNS1_3gpuE3ELNS1_3repE0EEENS1_30default_config_static_selectorELNS0_4arch9wavefront6targetE1EEEvSM_.num_agpr, 0
	.set _ZN7rocprim17ROCPRIM_400000_NS6detail17trampoline_kernelINS0_14default_configENS1_22reduce_config_selectorIlEEZNS1_11reduce_implILb1ES3_PlS7_lN6hipcub16HIPCUB_304000_NS6detail34convert_binary_result_type_wrapperINS9_3SumENS9_22TransformInputIteratorIb7NonZeroIfEPflEElEEEE10hipError_tPvRmT1_T2_T3_mT4_P12ihipStream_tbEUlT_E1_NS1_11comp_targetILNS1_3genE9ELNS1_11target_archE1100ELNS1_3gpuE3ELNS1_3repE0EEENS1_30default_config_static_selectorELNS0_4arch9wavefront6targetE1EEEvSM_.numbered_sgpr, 0
	.set _ZN7rocprim17ROCPRIM_400000_NS6detail17trampoline_kernelINS0_14default_configENS1_22reduce_config_selectorIlEEZNS1_11reduce_implILb1ES3_PlS7_lN6hipcub16HIPCUB_304000_NS6detail34convert_binary_result_type_wrapperINS9_3SumENS9_22TransformInputIteratorIb7NonZeroIfEPflEElEEEE10hipError_tPvRmT1_T2_T3_mT4_P12ihipStream_tbEUlT_E1_NS1_11comp_targetILNS1_3genE9ELNS1_11target_archE1100ELNS1_3gpuE3ELNS1_3repE0EEENS1_30default_config_static_selectorELNS0_4arch9wavefront6targetE1EEEvSM_.num_named_barrier, 0
	.set _ZN7rocprim17ROCPRIM_400000_NS6detail17trampoline_kernelINS0_14default_configENS1_22reduce_config_selectorIlEEZNS1_11reduce_implILb1ES3_PlS7_lN6hipcub16HIPCUB_304000_NS6detail34convert_binary_result_type_wrapperINS9_3SumENS9_22TransformInputIteratorIb7NonZeroIfEPflEElEEEE10hipError_tPvRmT1_T2_T3_mT4_P12ihipStream_tbEUlT_E1_NS1_11comp_targetILNS1_3genE9ELNS1_11target_archE1100ELNS1_3gpuE3ELNS1_3repE0EEENS1_30default_config_static_selectorELNS0_4arch9wavefront6targetE1EEEvSM_.private_seg_size, 0
	.set _ZN7rocprim17ROCPRIM_400000_NS6detail17trampoline_kernelINS0_14default_configENS1_22reduce_config_selectorIlEEZNS1_11reduce_implILb1ES3_PlS7_lN6hipcub16HIPCUB_304000_NS6detail34convert_binary_result_type_wrapperINS9_3SumENS9_22TransformInputIteratorIb7NonZeroIfEPflEElEEEE10hipError_tPvRmT1_T2_T3_mT4_P12ihipStream_tbEUlT_E1_NS1_11comp_targetILNS1_3genE9ELNS1_11target_archE1100ELNS1_3gpuE3ELNS1_3repE0EEENS1_30default_config_static_selectorELNS0_4arch9wavefront6targetE1EEEvSM_.uses_vcc, 0
	.set _ZN7rocprim17ROCPRIM_400000_NS6detail17trampoline_kernelINS0_14default_configENS1_22reduce_config_selectorIlEEZNS1_11reduce_implILb1ES3_PlS7_lN6hipcub16HIPCUB_304000_NS6detail34convert_binary_result_type_wrapperINS9_3SumENS9_22TransformInputIteratorIb7NonZeroIfEPflEElEEEE10hipError_tPvRmT1_T2_T3_mT4_P12ihipStream_tbEUlT_E1_NS1_11comp_targetILNS1_3genE9ELNS1_11target_archE1100ELNS1_3gpuE3ELNS1_3repE0EEENS1_30default_config_static_selectorELNS0_4arch9wavefront6targetE1EEEvSM_.uses_flat_scratch, 0
	.set _ZN7rocprim17ROCPRIM_400000_NS6detail17trampoline_kernelINS0_14default_configENS1_22reduce_config_selectorIlEEZNS1_11reduce_implILb1ES3_PlS7_lN6hipcub16HIPCUB_304000_NS6detail34convert_binary_result_type_wrapperINS9_3SumENS9_22TransformInputIteratorIb7NonZeroIfEPflEElEEEE10hipError_tPvRmT1_T2_T3_mT4_P12ihipStream_tbEUlT_E1_NS1_11comp_targetILNS1_3genE9ELNS1_11target_archE1100ELNS1_3gpuE3ELNS1_3repE0EEENS1_30default_config_static_selectorELNS0_4arch9wavefront6targetE1EEEvSM_.has_dyn_sized_stack, 0
	.set _ZN7rocprim17ROCPRIM_400000_NS6detail17trampoline_kernelINS0_14default_configENS1_22reduce_config_selectorIlEEZNS1_11reduce_implILb1ES3_PlS7_lN6hipcub16HIPCUB_304000_NS6detail34convert_binary_result_type_wrapperINS9_3SumENS9_22TransformInputIteratorIb7NonZeroIfEPflEElEEEE10hipError_tPvRmT1_T2_T3_mT4_P12ihipStream_tbEUlT_E1_NS1_11comp_targetILNS1_3genE9ELNS1_11target_archE1100ELNS1_3gpuE3ELNS1_3repE0EEENS1_30default_config_static_selectorELNS0_4arch9wavefront6targetE1EEEvSM_.has_recursion, 0
	.set _ZN7rocprim17ROCPRIM_400000_NS6detail17trampoline_kernelINS0_14default_configENS1_22reduce_config_selectorIlEEZNS1_11reduce_implILb1ES3_PlS7_lN6hipcub16HIPCUB_304000_NS6detail34convert_binary_result_type_wrapperINS9_3SumENS9_22TransformInputIteratorIb7NonZeroIfEPflEElEEEE10hipError_tPvRmT1_T2_T3_mT4_P12ihipStream_tbEUlT_E1_NS1_11comp_targetILNS1_3genE9ELNS1_11target_archE1100ELNS1_3gpuE3ELNS1_3repE0EEENS1_30default_config_static_selectorELNS0_4arch9wavefront6targetE1EEEvSM_.has_indirect_call, 0
	.section	.AMDGPU.csdata,"",@progbits
; Kernel info:
; codeLenInByte = 0
; TotalNumSgprs: 4
; NumVgprs: 0
; ScratchSize: 0
; MemoryBound: 0
; FloatMode: 240
; IeeeMode: 1
; LDSByteSize: 0 bytes/workgroup (compile time only)
; SGPRBlocks: 0
; VGPRBlocks: 0
; NumSGPRsForWavesPerEU: 4
; NumVGPRsForWavesPerEU: 1
; Occupancy: 10
; WaveLimiterHint : 0
; COMPUTE_PGM_RSRC2:SCRATCH_EN: 0
; COMPUTE_PGM_RSRC2:USER_SGPR: 6
; COMPUTE_PGM_RSRC2:TRAP_HANDLER: 0
; COMPUTE_PGM_RSRC2:TGID_X_EN: 1
; COMPUTE_PGM_RSRC2:TGID_Y_EN: 0
; COMPUTE_PGM_RSRC2:TGID_Z_EN: 0
; COMPUTE_PGM_RSRC2:TIDIG_COMP_CNT: 0
	.section	.text._ZN7rocprim17ROCPRIM_400000_NS6detail17trampoline_kernelINS0_14default_configENS1_22reduce_config_selectorIlEEZNS1_11reduce_implILb1ES3_PlS7_lN6hipcub16HIPCUB_304000_NS6detail34convert_binary_result_type_wrapperINS9_3SumENS9_22TransformInputIteratorIb7NonZeroIfEPflEElEEEE10hipError_tPvRmT1_T2_T3_mT4_P12ihipStream_tbEUlT_E1_NS1_11comp_targetILNS1_3genE8ELNS1_11target_archE1030ELNS1_3gpuE2ELNS1_3repE0EEENS1_30default_config_static_selectorELNS0_4arch9wavefront6targetE1EEEvSM_,"axG",@progbits,_ZN7rocprim17ROCPRIM_400000_NS6detail17trampoline_kernelINS0_14default_configENS1_22reduce_config_selectorIlEEZNS1_11reduce_implILb1ES3_PlS7_lN6hipcub16HIPCUB_304000_NS6detail34convert_binary_result_type_wrapperINS9_3SumENS9_22TransformInputIteratorIb7NonZeroIfEPflEElEEEE10hipError_tPvRmT1_T2_T3_mT4_P12ihipStream_tbEUlT_E1_NS1_11comp_targetILNS1_3genE8ELNS1_11target_archE1030ELNS1_3gpuE2ELNS1_3repE0EEENS1_30default_config_static_selectorELNS0_4arch9wavefront6targetE1EEEvSM_,comdat
	.protected	_ZN7rocprim17ROCPRIM_400000_NS6detail17trampoline_kernelINS0_14default_configENS1_22reduce_config_selectorIlEEZNS1_11reduce_implILb1ES3_PlS7_lN6hipcub16HIPCUB_304000_NS6detail34convert_binary_result_type_wrapperINS9_3SumENS9_22TransformInputIteratorIb7NonZeroIfEPflEElEEEE10hipError_tPvRmT1_T2_T3_mT4_P12ihipStream_tbEUlT_E1_NS1_11comp_targetILNS1_3genE8ELNS1_11target_archE1030ELNS1_3gpuE2ELNS1_3repE0EEENS1_30default_config_static_selectorELNS0_4arch9wavefront6targetE1EEEvSM_ ; -- Begin function _ZN7rocprim17ROCPRIM_400000_NS6detail17trampoline_kernelINS0_14default_configENS1_22reduce_config_selectorIlEEZNS1_11reduce_implILb1ES3_PlS7_lN6hipcub16HIPCUB_304000_NS6detail34convert_binary_result_type_wrapperINS9_3SumENS9_22TransformInputIteratorIb7NonZeroIfEPflEElEEEE10hipError_tPvRmT1_T2_T3_mT4_P12ihipStream_tbEUlT_E1_NS1_11comp_targetILNS1_3genE8ELNS1_11target_archE1030ELNS1_3gpuE2ELNS1_3repE0EEENS1_30default_config_static_selectorELNS0_4arch9wavefront6targetE1EEEvSM_
	.globl	_ZN7rocprim17ROCPRIM_400000_NS6detail17trampoline_kernelINS0_14default_configENS1_22reduce_config_selectorIlEEZNS1_11reduce_implILb1ES3_PlS7_lN6hipcub16HIPCUB_304000_NS6detail34convert_binary_result_type_wrapperINS9_3SumENS9_22TransformInputIteratorIb7NonZeroIfEPflEElEEEE10hipError_tPvRmT1_T2_T3_mT4_P12ihipStream_tbEUlT_E1_NS1_11comp_targetILNS1_3genE8ELNS1_11target_archE1030ELNS1_3gpuE2ELNS1_3repE0EEENS1_30default_config_static_selectorELNS0_4arch9wavefront6targetE1EEEvSM_
	.p2align	8
	.type	_ZN7rocprim17ROCPRIM_400000_NS6detail17trampoline_kernelINS0_14default_configENS1_22reduce_config_selectorIlEEZNS1_11reduce_implILb1ES3_PlS7_lN6hipcub16HIPCUB_304000_NS6detail34convert_binary_result_type_wrapperINS9_3SumENS9_22TransformInputIteratorIb7NonZeroIfEPflEElEEEE10hipError_tPvRmT1_T2_T3_mT4_P12ihipStream_tbEUlT_E1_NS1_11comp_targetILNS1_3genE8ELNS1_11target_archE1030ELNS1_3gpuE2ELNS1_3repE0EEENS1_30default_config_static_selectorELNS0_4arch9wavefront6targetE1EEEvSM_,@function
_ZN7rocprim17ROCPRIM_400000_NS6detail17trampoline_kernelINS0_14default_configENS1_22reduce_config_selectorIlEEZNS1_11reduce_implILb1ES3_PlS7_lN6hipcub16HIPCUB_304000_NS6detail34convert_binary_result_type_wrapperINS9_3SumENS9_22TransformInputIteratorIb7NonZeroIfEPflEElEEEE10hipError_tPvRmT1_T2_T3_mT4_P12ihipStream_tbEUlT_E1_NS1_11comp_targetILNS1_3genE8ELNS1_11target_archE1030ELNS1_3gpuE2ELNS1_3repE0EEENS1_30default_config_static_selectorELNS0_4arch9wavefront6targetE1EEEvSM_: ; @_ZN7rocprim17ROCPRIM_400000_NS6detail17trampoline_kernelINS0_14default_configENS1_22reduce_config_selectorIlEEZNS1_11reduce_implILb1ES3_PlS7_lN6hipcub16HIPCUB_304000_NS6detail34convert_binary_result_type_wrapperINS9_3SumENS9_22TransformInputIteratorIb7NonZeroIfEPflEElEEEE10hipError_tPvRmT1_T2_T3_mT4_P12ihipStream_tbEUlT_E1_NS1_11comp_targetILNS1_3genE8ELNS1_11target_archE1030ELNS1_3gpuE2ELNS1_3repE0EEENS1_30default_config_static_selectorELNS0_4arch9wavefront6targetE1EEEvSM_
; %bb.0:
	.section	.rodata,"a",@progbits
	.p2align	6, 0x0
	.amdhsa_kernel _ZN7rocprim17ROCPRIM_400000_NS6detail17trampoline_kernelINS0_14default_configENS1_22reduce_config_selectorIlEEZNS1_11reduce_implILb1ES3_PlS7_lN6hipcub16HIPCUB_304000_NS6detail34convert_binary_result_type_wrapperINS9_3SumENS9_22TransformInputIteratorIb7NonZeroIfEPflEElEEEE10hipError_tPvRmT1_T2_T3_mT4_P12ihipStream_tbEUlT_E1_NS1_11comp_targetILNS1_3genE8ELNS1_11target_archE1030ELNS1_3gpuE2ELNS1_3repE0EEENS1_30default_config_static_selectorELNS0_4arch9wavefront6targetE1EEEvSM_
		.amdhsa_group_segment_fixed_size 0
		.amdhsa_private_segment_fixed_size 0
		.amdhsa_kernarg_size 48
		.amdhsa_user_sgpr_count 6
		.amdhsa_user_sgpr_private_segment_buffer 1
		.amdhsa_user_sgpr_dispatch_ptr 0
		.amdhsa_user_sgpr_queue_ptr 0
		.amdhsa_user_sgpr_kernarg_segment_ptr 1
		.amdhsa_user_sgpr_dispatch_id 0
		.amdhsa_user_sgpr_flat_scratch_init 0
		.amdhsa_user_sgpr_private_segment_size 0
		.amdhsa_uses_dynamic_stack 0
		.amdhsa_system_sgpr_private_segment_wavefront_offset 0
		.amdhsa_system_sgpr_workgroup_id_x 1
		.amdhsa_system_sgpr_workgroup_id_y 0
		.amdhsa_system_sgpr_workgroup_id_z 0
		.amdhsa_system_sgpr_workgroup_info 0
		.amdhsa_system_vgpr_workitem_id 0
		.amdhsa_next_free_vgpr 1
		.amdhsa_next_free_sgpr 0
		.amdhsa_reserve_vcc 0
		.amdhsa_reserve_flat_scratch 0
		.amdhsa_float_round_mode_32 0
		.amdhsa_float_round_mode_16_64 0
		.amdhsa_float_denorm_mode_32 3
		.amdhsa_float_denorm_mode_16_64 3
		.amdhsa_dx10_clamp 1
		.amdhsa_ieee_mode 1
		.amdhsa_fp16_overflow 0
		.amdhsa_exception_fp_ieee_invalid_op 0
		.amdhsa_exception_fp_denorm_src 0
		.amdhsa_exception_fp_ieee_div_zero 0
		.amdhsa_exception_fp_ieee_overflow 0
		.amdhsa_exception_fp_ieee_underflow 0
		.amdhsa_exception_fp_ieee_inexact 0
		.amdhsa_exception_int_div_zero 0
	.end_amdhsa_kernel
	.section	.text._ZN7rocprim17ROCPRIM_400000_NS6detail17trampoline_kernelINS0_14default_configENS1_22reduce_config_selectorIlEEZNS1_11reduce_implILb1ES3_PlS7_lN6hipcub16HIPCUB_304000_NS6detail34convert_binary_result_type_wrapperINS9_3SumENS9_22TransformInputIteratorIb7NonZeroIfEPflEElEEEE10hipError_tPvRmT1_T2_T3_mT4_P12ihipStream_tbEUlT_E1_NS1_11comp_targetILNS1_3genE8ELNS1_11target_archE1030ELNS1_3gpuE2ELNS1_3repE0EEENS1_30default_config_static_selectorELNS0_4arch9wavefront6targetE1EEEvSM_,"axG",@progbits,_ZN7rocprim17ROCPRIM_400000_NS6detail17trampoline_kernelINS0_14default_configENS1_22reduce_config_selectorIlEEZNS1_11reduce_implILb1ES3_PlS7_lN6hipcub16HIPCUB_304000_NS6detail34convert_binary_result_type_wrapperINS9_3SumENS9_22TransformInputIteratorIb7NonZeroIfEPflEElEEEE10hipError_tPvRmT1_T2_T3_mT4_P12ihipStream_tbEUlT_E1_NS1_11comp_targetILNS1_3genE8ELNS1_11target_archE1030ELNS1_3gpuE2ELNS1_3repE0EEENS1_30default_config_static_selectorELNS0_4arch9wavefront6targetE1EEEvSM_,comdat
.Lfunc_end234:
	.size	_ZN7rocprim17ROCPRIM_400000_NS6detail17trampoline_kernelINS0_14default_configENS1_22reduce_config_selectorIlEEZNS1_11reduce_implILb1ES3_PlS7_lN6hipcub16HIPCUB_304000_NS6detail34convert_binary_result_type_wrapperINS9_3SumENS9_22TransformInputIteratorIb7NonZeroIfEPflEElEEEE10hipError_tPvRmT1_T2_T3_mT4_P12ihipStream_tbEUlT_E1_NS1_11comp_targetILNS1_3genE8ELNS1_11target_archE1030ELNS1_3gpuE2ELNS1_3repE0EEENS1_30default_config_static_selectorELNS0_4arch9wavefront6targetE1EEEvSM_, .Lfunc_end234-_ZN7rocprim17ROCPRIM_400000_NS6detail17trampoline_kernelINS0_14default_configENS1_22reduce_config_selectorIlEEZNS1_11reduce_implILb1ES3_PlS7_lN6hipcub16HIPCUB_304000_NS6detail34convert_binary_result_type_wrapperINS9_3SumENS9_22TransformInputIteratorIb7NonZeroIfEPflEElEEEE10hipError_tPvRmT1_T2_T3_mT4_P12ihipStream_tbEUlT_E1_NS1_11comp_targetILNS1_3genE8ELNS1_11target_archE1030ELNS1_3gpuE2ELNS1_3repE0EEENS1_30default_config_static_selectorELNS0_4arch9wavefront6targetE1EEEvSM_
                                        ; -- End function
	.set _ZN7rocprim17ROCPRIM_400000_NS6detail17trampoline_kernelINS0_14default_configENS1_22reduce_config_selectorIlEEZNS1_11reduce_implILb1ES3_PlS7_lN6hipcub16HIPCUB_304000_NS6detail34convert_binary_result_type_wrapperINS9_3SumENS9_22TransformInputIteratorIb7NonZeroIfEPflEElEEEE10hipError_tPvRmT1_T2_T3_mT4_P12ihipStream_tbEUlT_E1_NS1_11comp_targetILNS1_3genE8ELNS1_11target_archE1030ELNS1_3gpuE2ELNS1_3repE0EEENS1_30default_config_static_selectorELNS0_4arch9wavefront6targetE1EEEvSM_.num_vgpr, 0
	.set _ZN7rocprim17ROCPRIM_400000_NS6detail17trampoline_kernelINS0_14default_configENS1_22reduce_config_selectorIlEEZNS1_11reduce_implILb1ES3_PlS7_lN6hipcub16HIPCUB_304000_NS6detail34convert_binary_result_type_wrapperINS9_3SumENS9_22TransformInputIteratorIb7NonZeroIfEPflEElEEEE10hipError_tPvRmT1_T2_T3_mT4_P12ihipStream_tbEUlT_E1_NS1_11comp_targetILNS1_3genE8ELNS1_11target_archE1030ELNS1_3gpuE2ELNS1_3repE0EEENS1_30default_config_static_selectorELNS0_4arch9wavefront6targetE1EEEvSM_.num_agpr, 0
	.set _ZN7rocprim17ROCPRIM_400000_NS6detail17trampoline_kernelINS0_14default_configENS1_22reduce_config_selectorIlEEZNS1_11reduce_implILb1ES3_PlS7_lN6hipcub16HIPCUB_304000_NS6detail34convert_binary_result_type_wrapperINS9_3SumENS9_22TransformInputIteratorIb7NonZeroIfEPflEElEEEE10hipError_tPvRmT1_T2_T3_mT4_P12ihipStream_tbEUlT_E1_NS1_11comp_targetILNS1_3genE8ELNS1_11target_archE1030ELNS1_3gpuE2ELNS1_3repE0EEENS1_30default_config_static_selectorELNS0_4arch9wavefront6targetE1EEEvSM_.numbered_sgpr, 0
	.set _ZN7rocprim17ROCPRIM_400000_NS6detail17trampoline_kernelINS0_14default_configENS1_22reduce_config_selectorIlEEZNS1_11reduce_implILb1ES3_PlS7_lN6hipcub16HIPCUB_304000_NS6detail34convert_binary_result_type_wrapperINS9_3SumENS9_22TransformInputIteratorIb7NonZeroIfEPflEElEEEE10hipError_tPvRmT1_T2_T3_mT4_P12ihipStream_tbEUlT_E1_NS1_11comp_targetILNS1_3genE8ELNS1_11target_archE1030ELNS1_3gpuE2ELNS1_3repE0EEENS1_30default_config_static_selectorELNS0_4arch9wavefront6targetE1EEEvSM_.num_named_barrier, 0
	.set _ZN7rocprim17ROCPRIM_400000_NS6detail17trampoline_kernelINS0_14default_configENS1_22reduce_config_selectorIlEEZNS1_11reduce_implILb1ES3_PlS7_lN6hipcub16HIPCUB_304000_NS6detail34convert_binary_result_type_wrapperINS9_3SumENS9_22TransformInputIteratorIb7NonZeroIfEPflEElEEEE10hipError_tPvRmT1_T2_T3_mT4_P12ihipStream_tbEUlT_E1_NS1_11comp_targetILNS1_3genE8ELNS1_11target_archE1030ELNS1_3gpuE2ELNS1_3repE0EEENS1_30default_config_static_selectorELNS0_4arch9wavefront6targetE1EEEvSM_.private_seg_size, 0
	.set _ZN7rocprim17ROCPRIM_400000_NS6detail17trampoline_kernelINS0_14default_configENS1_22reduce_config_selectorIlEEZNS1_11reduce_implILb1ES3_PlS7_lN6hipcub16HIPCUB_304000_NS6detail34convert_binary_result_type_wrapperINS9_3SumENS9_22TransformInputIteratorIb7NonZeroIfEPflEElEEEE10hipError_tPvRmT1_T2_T3_mT4_P12ihipStream_tbEUlT_E1_NS1_11comp_targetILNS1_3genE8ELNS1_11target_archE1030ELNS1_3gpuE2ELNS1_3repE0EEENS1_30default_config_static_selectorELNS0_4arch9wavefront6targetE1EEEvSM_.uses_vcc, 0
	.set _ZN7rocprim17ROCPRIM_400000_NS6detail17trampoline_kernelINS0_14default_configENS1_22reduce_config_selectorIlEEZNS1_11reduce_implILb1ES3_PlS7_lN6hipcub16HIPCUB_304000_NS6detail34convert_binary_result_type_wrapperINS9_3SumENS9_22TransformInputIteratorIb7NonZeroIfEPflEElEEEE10hipError_tPvRmT1_T2_T3_mT4_P12ihipStream_tbEUlT_E1_NS1_11comp_targetILNS1_3genE8ELNS1_11target_archE1030ELNS1_3gpuE2ELNS1_3repE0EEENS1_30default_config_static_selectorELNS0_4arch9wavefront6targetE1EEEvSM_.uses_flat_scratch, 0
	.set _ZN7rocprim17ROCPRIM_400000_NS6detail17trampoline_kernelINS0_14default_configENS1_22reduce_config_selectorIlEEZNS1_11reduce_implILb1ES3_PlS7_lN6hipcub16HIPCUB_304000_NS6detail34convert_binary_result_type_wrapperINS9_3SumENS9_22TransformInputIteratorIb7NonZeroIfEPflEElEEEE10hipError_tPvRmT1_T2_T3_mT4_P12ihipStream_tbEUlT_E1_NS1_11comp_targetILNS1_3genE8ELNS1_11target_archE1030ELNS1_3gpuE2ELNS1_3repE0EEENS1_30default_config_static_selectorELNS0_4arch9wavefront6targetE1EEEvSM_.has_dyn_sized_stack, 0
	.set _ZN7rocprim17ROCPRIM_400000_NS6detail17trampoline_kernelINS0_14default_configENS1_22reduce_config_selectorIlEEZNS1_11reduce_implILb1ES3_PlS7_lN6hipcub16HIPCUB_304000_NS6detail34convert_binary_result_type_wrapperINS9_3SumENS9_22TransformInputIteratorIb7NonZeroIfEPflEElEEEE10hipError_tPvRmT1_T2_T3_mT4_P12ihipStream_tbEUlT_E1_NS1_11comp_targetILNS1_3genE8ELNS1_11target_archE1030ELNS1_3gpuE2ELNS1_3repE0EEENS1_30default_config_static_selectorELNS0_4arch9wavefront6targetE1EEEvSM_.has_recursion, 0
	.set _ZN7rocprim17ROCPRIM_400000_NS6detail17trampoline_kernelINS0_14default_configENS1_22reduce_config_selectorIlEEZNS1_11reduce_implILb1ES3_PlS7_lN6hipcub16HIPCUB_304000_NS6detail34convert_binary_result_type_wrapperINS9_3SumENS9_22TransformInputIteratorIb7NonZeroIfEPflEElEEEE10hipError_tPvRmT1_T2_T3_mT4_P12ihipStream_tbEUlT_E1_NS1_11comp_targetILNS1_3genE8ELNS1_11target_archE1030ELNS1_3gpuE2ELNS1_3repE0EEENS1_30default_config_static_selectorELNS0_4arch9wavefront6targetE1EEEvSM_.has_indirect_call, 0
	.section	.AMDGPU.csdata,"",@progbits
; Kernel info:
; codeLenInByte = 0
; TotalNumSgprs: 4
; NumVgprs: 0
; ScratchSize: 0
; MemoryBound: 0
; FloatMode: 240
; IeeeMode: 1
; LDSByteSize: 0 bytes/workgroup (compile time only)
; SGPRBlocks: 0
; VGPRBlocks: 0
; NumSGPRsForWavesPerEU: 4
; NumVGPRsForWavesPerEU: 1
; Occupancy: 10
; WaveLimiterHint : 0
; COMPUTE_PGM_RSRC2:SCRATCH_EN: 0
; COMPUTE_PGM_RSRC2:USER_SGPR: 6
; COMPUTE_PGM_RSRC2:TRAP_HANDLER: 0
; COMPUTE_PGM_RSRC2:TGID_X_EN: 1
; COMPUTE_PGM_RSRC2:TGID_Y_EN: 0
; COMPUTE_PGM_RSRC2:TGID_Z_EN: 0
; COMPUTE_PGM_RSRC2:TIDIG_COMP_CNT: 0
	.section	.text._ZN7rocprim17ROCPRIM_400000_NS6detail17trampoline_kernelINS0_14default_configENS1_22reduce_config_selectorIbEEZNS1_11reduce_implILb1ES3_N6hipcub16HIPCUB_304000_NS22TransformInputIteratorIb7NonZeroIfEPflEEPllNS8_6detail34convert_binary_result_type_wrapperINS8_3SumESD_lEEEE10hipError_tPvRmT1_T2_T3_mT4_P12ihipStream_tbEUlT_E0_NS1_11comp_targetILNS1_3genE0ELNS1_11target_archE4294967295ELNS1_3gpuE0ELNS1_3repE0EEENS1_30default_config_static_selectorELNS0_4arch9wavefront6targetE1EEEvSM_,"axG",@progbits,_ZN7rocprim17ROCPRIM_400000_NS6detail17trampoline_kernelINS0_14default_configENS1_22reduce_config_selectorIbEEZNS1_11reduce_implILb1ES3_N6hipcub16HIPCUB_304000_NS22TransformInputIteratorIb7NonZeroIfEPflEEPllNS8_6detail34convert_binary_result_type_wrapperINS8_3SumESD_lEEEE10hipError_tPvRmT1_T2_T3_mT4_P12ihipStream_tbEUlT_E0_NS1_11comp_targetILNS1_3genE0ELNS1_11target_archE4294967295ELNS1_3gpuE0ELNS1_3repE0EEENS1_30default_config_static_selectorELNS0_4arch9wavefront6targetE1EEEvSM_,comdat
	.protected	_ZN7rocprim17ROCPRIM_400000_NS6detail17trampoline_kernelINS0_14default_configENS1_22reduce_config_selectorIbEEZNS1_11reduce_implILb1ES3_N6hipcub16HIPCUB_304000_NS22TransformInputIteratorIb7NonZeroIfEPflEEPllNS8_6detail34convert_binary_result_type_wrapperINS8_3SumESD_lEEEE10hipError_tPvRmT1_T2_T3_mT4_P12ihipStream_tbEUlT_E0_NS1_11comp_targetILNS1_3genE0ELNS1_11target_archE4294967295ELNS1_3gpuE0ELNS1_3repE0EEENS1_30default_config_static_selectorELNS0_4arch9wavefront6targetE1EEEvSM_ ; -- Begin function _ZN7rocprim17ROCPRIM_400000_NS6detail17trampoline_kernelINS0_14default_configENS1_22reduce_config_selectorIbEEZNS1_11reduce_implILb1ES3_N6hipcub16HIPCUB_304000_NS22TransformInputIteratorIb7NonZeroIfEPflEEPllNS8_6detail34convert_binary_result_type_wrapperINS8_3SumESD_lEEEE10hipError_tPvRmT1_T2_T3_mT4_P12ihipStream_tbEUlT_E0_NS1_11comp_targetILNS1_3genE0ELNS1_11target_archE4294967295ELNS1_3gpuE0ELNS1_3repE0EEENS1_30default_config_static_selectorELNS0_4arch9wavefront6targetE1EEEvSM_
	.globl	_ZN7rocprim17ROCPRIM_400000_NS6detail17trampoline_kernelINS0_14default_configENS1_22reduce_config_selectorIbEEZNS1_11reduce_implILb1ES3_N6hipcub16HIPCUB_304000_NS22TransformInputIteratorIb7NonZeroIfEPflEEPllNS8_6detail34convert_binary_result_type_wrapperINS8_3SumESD_lEEEE10hipError_tPvRmT1_T2_T3_mT4_P12ihipStream_tbEUlT_E0_NS1_11comp_targetILNS1_3genE0ELNS1_11target_archE4294967295ELNS1_3gpuE0ELNS1_3repE0EEENS1_30default_config_static_selectorELNS0_4arch9wavefront6targetE1EEEvSM_
	.p2align	8
	.type	_ZN7rocprim17ROCPRIM_400000_NS6detail17trampoline_kernelINS0_14default_configENS1_22reduce_config_selectorIbEEZNS1_11reduce_implILb1ES3_N6hipcub16HIPCUB_304000_NS22TransformInputIteratorIb7NonZeroIfEPflEEPllNS8_6detail34convert_binary_result_type_wrapperINS8_3SumESD_lEEEE10hipError_tPvRmT1_T2_T3_mT4_P12ihipStream_tbEUlT_E0_NS1_11comp_targetILNS1_3genE0ELNS1_11target_archE4294967295ELNS1_3gpuE0ELNS1_3repE0EEENS1_30default_config_static_selectorELNS0_4arch9wavefront6targetE1EEEvSM_,@function
_ZN7rocprim17ROCPRIM_400000_NS6detail17trampoline_kernelINS0_14default_configENS1_22reduce_config_selectorIbEEZNS1_11reduce_implILb1ES3_N6hipcub16HIPCUB_304000_NS22TransformInputIteratorIb7NonZeroIfEPflEEPllNS8_6detail34convert_binary_result_type_wrapperINS8_3SumESD_lEEEE10hipError_tPvRmT1_T2_T3_mT4_P12ihipStream_tbEUlT_E0_NS1_11comp_targetILNS1_3genE0ELNS1_11target_archE4294967295ELNS1_3gpuE0ELNS1_3repE0EEENS1_30default_config_static_selectorELNS0_4arch9wavefront6targetE1EEEvSM_: ; @_ZN7rocprim17ROCPRIM_400000_NS6detail17trampoline_kernelINS0_14default_configENS1_22reduce_config_selectorIbEEZNS1_11reduce_implILb1ES3_N6hipcub16HIPCUB_304000_NS22TransformInputIteratorIb7NonZeroIfEPflEEPllNS8_6detail34convert_binary_result_type_wrapperINS8_3SumESD_lEEEE10hipError_tPvRmT1_T2_T3_mT4_P12ihipStream_tbEUlT_E0_NS1_11comp_targetILNS1_3genE0ELNS1_11target_archE4294967295ELNS1_3gpuE0ELNS1_3repE0EEENS1_30default_config_static_selectorELNS0_4arch9wavefront6targetE1EEEvSM_
; %bb.0:
	.section	.rodata,"a",@progbits
	.p2align	6, 0x0
	.amdhsa_kernel _ZN7rocprim17ROCPRIM_400000_NS6detail17trampoline_kernelINS0_14default_configENS1_22reduce_config_selectorIbEEZNS1_11reduce_implILb1ES3_N6hipcub16HIPCUB_304000_NS22TransformInputIteratorIb7NonZeroIfEPflEEPllNS8_6detail34convert_binary_result_type_wrapperINS8_3SumESD_lEEEE10hipError_tPvRmT1_T2_T3_mT4_P12ihipStream_tbEUlT_E0_NS1_11comp_targetILNS1_3genE0ELNS1_11target_archE4294967295ELNS1_3gpuE0ELNS1_3repE0EEENS1_30default_config_static_selectorELNS0_4arch9wavefront6targetE1EEEvSM_
		.amdhsa_group_segment_fixed_size 0
		.amdhsa_private_segment_fixed_size 0
		.amdhsa_kernarg_size 72
		.amdhsa_user_sgpr_count 6
		.amdhsa_user_sgpr_private_segment_buffer 1
		.amdhsa_user_sgpr_dispatch_ptr 0
		.amdhsa_user_sgpr_queue_ptr 0
		.amdhsa_user_sgpr_kernarg_segment_ptr 1
		.amdhsa_user_sgpr_dispatch_id 0
		.amdhsa_user_sgpr_flat_scratch_init 0
		.amdhsa_user_sgpr_private_segment_size 0
		.amdhsa_uses_dynamic_stack 0
		.amdhsa_system_sgpr_private_segment_wavefront_offset 0
		.amdhsa_system_sgpr_workgroup_id_x 1
		.amdhsa_system_sgpr_workgroup_id_y 0
		.amdhsa_system_sgpr_workgroup_id_z 0
		.amdhsa_system_sgpr_workgroup_info 0
		.amdhsa_system_vgpr_workitem_id 0
		.amdhsa_next_free_vgpr 1
		.amdhsa_next_free_sgpr 0
		.amdhsa_reserve_vcc 0
		.amdhsa_reserve_flat_scratch 0
		.amdhsa_float_round_mode_32 0
		.amdhsa_float_round_mode_16_64 0
		.amdhsa_float_denorm_mode_32 3
		.amdhsa_float_denorm_mode_16_64 3
		.amdhsa_dx10_clamp 1
		.amdhsa_ieee_mode 1
		.amdhsa_fp16_overflow 0
		.amdhsa_exception_fp_ieee_invalid_op 0
		.amdhsa_exception_fp_denorm_src 0
		.amdhsa_exception_fp_ieee_div_zero 0
		.amdhsa_exception_fp_ieee_overflow 0
		.amdhsa_exception_fp_ieee_underflow 0
		.amdhsa_exception_fp_ieee_inexact 0
		.amdhsa_exception_int_div_zero 0
	.end_amdhsa_kernel
	.section	.text._ZN7rocprim17ROCPRIM_400000_NS6detail17trampoline_kernelINS0_14default_configENS1_22reduce_config_selectorIbEEZNS1_11reduce_implILb1ES3_N6hipcub16HIPCUB_304000_NS22TransformInputIteratorIb7NonZeroIfEPflEEPllNS8_6detail34convert_binary_result_type_wrapperINS8_3SumESD_lEEEE10hipError_tPvRmT1_T2_T3_mT4_P12ihipStream_tbEUlT_E0_NS1_11comp_targetILNS1_3genE0ELNS1_11target_archE4294967295ELNS1_3gpuE0ELNS1_3repE0EEENS1_30default_config_static_selectorELNS0_4arch9wavefront6targetE1EEEvSM_,"axG",@progbits,_ZN7rocprim17ROCPRIM_400000_NS6detail17trampoline_kernelINS0_14default_configENS1_22reduce_config_selectorIbEEZNS1_11reduce_implILb1ES3_N6hipcub16HIPCUB_304000_NS22TransformInputIteratorIb7NonZeroIfEPflEEPllNS8_6detail34convert_binary_result_type_wrapperINS8_3SumESD_lEEEE10hipError_tPvRmT1_T2_T3_mT4_P12ihipStream_tbEUlT_E0_NS1_11comp_targetILNS1_3genE0ELNS1_11target_archE4294967295ELNS1_3gpuE0ELNS1_3repE0EEENS1_30default_config_static_selectorELNS0_4arch9wavefront6targetE1EEEvSM_,comdat
.Lfunc_end235:
	.size	_ZN7rocprim17ROCPRIM_400000_NS6detail17trampoline_kernelINS0_14default_configENS1_22reduce_config_selectorIbEEZNS1_11reduce_implILb1ES3_N6hipcub16HIPCUB_304000_NS22TransformInputIteratorIb7NonZeroIfEPflEEPllNS8_6detail34convert_binary_result_type_wrapperINS8_3SumESD_lEEEE10hipError_tPvRmT1_T2_T3_mT4_P12ihipStream_tbEUlT_E0_NS1_11comp_targetILNS1_3genE0ELNS1_11target_archE4294967295ELNS1_3gpuE0ELNS1_3repE0EEENS1_30default_config_static_selectorELNS0_4arch9wavefront6targetE1EEEvSM_, .Lfunc_end235-_ZN7rocprim17ROCPRIM_400000_NS6detail17trampoline_kernelINS0_14default_configENS1_22reduce_config_selectorIbEEZNS1_11reduce_implILb1ES3_N6hipcub16HIPCUB_304000_NS22TransformInputIteratorIb7NonZeroIfEPflEEPllNS8_6detail34convert_binary_result_type_wrapperINS8_3SumESD_lEEEE10hipError_tPvRmT1_T2_T3_mT4_P12ihipStream_tbEUlT_E0_NS1_11comp_targetILNS1_3genE0ELNS1_11target_archE4294967295ELNS1_3gpuE0ELNS1_3repE0EEENS1_30default_config_static_selectorELNS0_4arch9wavefront6targetE1EEEvSM_
                                        ; -- End function
	.set _ZN7rocprim17ROCPRIM_400000_NS6detail17trampoline_kernelINS0_14default_configENS1_22reduce_config_selectorIbEEZNS1_11reduce_implILb1ES3_N6hipcub16HIPCUB_304000_NS22TransformInputIteratorIb7NonZeroIfEPflEEPllNS8_6detail34convert_binary_result_type_wrapperINS8_3SumESD_lEEEE10hipError_tPvRmT1_T2_T3_mT4_P12ihipStream_tbEUlT_E0_NS1_11comp_targetILNS1_3genE0ELNS1_11target_archE4294967295ELNS1_3gpuE0ELNS1_3repE0EEENS1_30default_config_static_selectorELNS0_4arch9wavefront6targetE1EEEvSM_.num_vgpr, 0
	.set _ZN7rocprim17ROCPRIM_400000_NS6detail17trampoline_kernelINS0_14default_configENS1_22reduce_config_selectorIbEEZNS1_11reduce_implILb1ES3_N6hipcub16HIPCUB_304000_NS22TransformInputIteratorIb7NonZeroIfEPflEEPllNS8_6detail34convert_binary_result_type_wrapperINS8_3SumESD_lEEEE10hipError_tPvRmT1_T2_T3_mT4_P12ihipStream_tbEUlT_E0_NS1_11comp_targetILNS1_3genE0ELNS1_11target_archE4294967295ELNS1_3gpuE0ELNS1_3repE0EEENS1_30default_config_static_selectorELNS0_4arch9wavefront6targetE1EEEvSM_.num_agpr, 0
	.set _ZN7rocprim17ROCPRIM_400000_NS6detail17trampoline_kernelINS0_14default_configENS1_22reduce_config_selectorIbEEZNS1_11reduce_implILb1ES3_N6hipcub16HIPCUB_304000_NS22TransformInputIteratorIb7NonZeroIfEPflEEPllNS8_6detail34convert_binary_result_type_wrapperINS8_3SumESD_lEEEE10hipError_tPvRmT1_T2_T3_mT4_P12ihipStream_tbEUlT_E0_NS1_11comp_targetILNS1_3genE0ELNS1_11target_archE4294967295ELNS1_3gpuE0ELNS1_3repE0EEENS1_30default_config_static_selectorELNS0_4arch9wavefront6targetE1EEEvSM_.numbered_sgpr, 0
	.set _ZN7rocprim17ROCPRIM_400000_NS6detail17trampoline_kernelINS0_14default_configENS1_22reduce_config_selectorIbEEZNS1_11reduce_implILb1ES3_N6hipcub16HIPCUB_304000_NS22TransformInputIteratorIb7NonZeroIfEPflEEPllNS8_6detail34convert_binary_result_type_wrapperINS8_3SumESD_lEEEE10hipError_tPvRmT1_T2_T3_mT4_P12ihipStream_tbEUlT_E0_NS1_11comp_targetILNS1_3genE0ELNS1_11target_archE4294967295ELNS1_3gpuE0ELNS1_3repE0EEENS1_30default_config_static_selectorELNS0_4arch9wavefront6targetE1EEEvSM_.num_named_barrier, 0
	.set _ZN7rocprim17ROCPRIM_400000_NS6detail17trampoline_kernelINS0_14default_configENS1_22reduce_config_selectorIbEEZNS1_11reduce_implILb1ES3_N6hipcub16HIPCUB_304000_NS22TransformInputIteratorIb7NonZeroIfEPflEEPllNS8_6detail34convert_binary_result_type_wrapperINS8_3SumESD_lEEEE10hipError_tPvRmT1_T2_T3_mT4_P12ihipStream_tbEUlT_E0_NS1_11comp_targetILNS1_3genE0ELNS1_11target_archE4294967295ELNS1_3gpuE0ELNS1_3repE0EEENS1_30default_config_static_selectorELNS0_4arch9wavefront6targetE1EEEvSM_.private_seg_size, 0
	.set _ZN7rocprim17ROCPRIM_400000_NS6detail17trampoline_kernelINS0_14default_configENS1_22reduce_config_selectorIbEEZNS1_11reduce_implILb1ES3_N6hipcub16HIPCUB_304000_NS22TransformInputIteratorIb7NonZeroIfEPflEEPllNS8_6detail34convert_binary_result_type_wrapperINS8_3SumESD_lEEEE10hipError_tPvRmT1_T2_T3_mT4_P12ihipStream_tbEUlT_E0_NS1_11comp_targetILNS1_3genE0ELNS1_11target_archE4294967295ELNS1_3gpuE0ELNS1_3repE0EEENS1_30default_config_static_selectorELNS0_4arch9wavefront6targetE1EEEvSM_.uses_vcc, 0
	.set _ZN7rocprim17ROCPRIM_400000_NS6detail17trampoline_kernelINS0_14default_configENS1_22reduce_config_selectorIbEEZNS1_11reduce_implILb1ES3_N6hipcub16HIPCUB_304000_NS22TransformInputIteratorIb7NonZeroIfEPflEEPllNS8_6detail34convert_binary_result_type_wrapperINS8_3SumESD_lEEEE10hipError_tPvRmT1_T2_T3_mT4_P12ihipStream_tbEUlT_E0_NS1_11comp_targetILNS1_3genE0ELNS1_11target_archE4294967295ELNS1_3gpuE0ELNS1_3repE0EEENS1_30default_config_static_selectorELNS0_4arch9wavefront6targetE1EEEvSM_.uses_flat_scratch, 0
	.set _ZN7rocprim17ROCPRIM_400000_NS6detail17trampoline_kernelINS0_14default_configENS1_22reduce_config_selectorIbEEZNS1_11reduce_implILb1ES3_N6hipcub16HIPCUB_304000_NS22TransformInputIteratorIb7NonZeroIfEPflEEPllNS8_6detail34convert_binary_result_type_wrapperINS8_3SumESD_lEEEE10hipError_tPvRmT1_T2_T3_mT4_P12ihipStream_tbEUlT_E0_NS1_11comp_targetILNS1_3genE0ELNS1_11target_archE4294967295ELNS1_3gpuE0ELNS1_3repE0EEENS1_30default_config_static_selectorELNS0_4arch9wavefront6targetE1EEEvSM_.has_dyn_sized_stack, 0
	.set _ZN7rocprim17ROCPRIM_400000_NS6detail17trampoline_kernelINS0_14default_configENS1_22reduce_config_selectorIbEEZNS1_11reduce_implILb1ES3_N6hipcub16HIPCUB_304000_NS22TransformInputIteratorIb7NonZeroIfEPflEEPllNS8_6detail34convert_binary_result_type_wrapperINS8_3SumESD_lEEEE10hipError_tPvRmT1_T2_T3_mT4_P12ihipStream_tbEUlT_E0_NS1_11comp_targetILNS1_3genE0ELNS1_11target_archE4294967295ELNS1_3gpuE0ELNS1_3repE0EEENS1_30default_config_static_selectorELNS0_4arch9wavefront6targetE1EEEvSM_.has_recursion, 0
	.set _ZN7rocprim17ROCPRIM_400000_NS6detail17trampoline_kernelINS0_14default_configENS1_22reduce_config_selectorIbEEZNS1_11reduce_implILb1ES3_N6hipcub16HIPCUB_304000_NS22TransformInputIteratorIb7NonZeroIfEPflEEPllNS8_6detail34convert_binary_result_type_wrapperINS8_3SumESD_lEEEE10hipError_tPvRmT1_T2_T3_mT4_P12ihipStream_tbEUlT_E0_NS1_11comp_targetILNS1_3genE0ELNS1_11target_archE4294967295ELNS1_3gpuE0ELNS1_3repE0EEENS1_30default_config_static_selectorELNS0_4arch9wavefront6targetE1EEEvSM_.has_indirect_call, 0
	.section	.AMDGPU.csdata,"",@progbits
; Kernel info:
; codeLenInByte = 0
; TotalNumSgprs: 4
; NumVgprs: 0
; ScratchSize: 0
; MemoryBound: 0
; FloatMode: 240
; IeeeMode: 1
; LDSByteSize: 0 bytes/workgroup (compile time only)
; SGPRBlocks: 0
; VGPRBlocks: 0
; NumSGPRsForWavesPerEU: 4
; NumVGPRsForWavesPerEU: 1
; Occupancy: 10
; WaveLimiterHint : 0
; COMPUTE_PGM_RSRC2:SCRATCH_EN: 0
; COMPUTE_PGM_RSRC2:USER_SGPR: 6
; COMPUTE_PGM_RSRC2:TRAP_HANDLER: 0
; COMPUTE_PGM_RSRC2:TGID_X_EN: 1
; COMPUTE_PGM_RSRC2:TGID_Y_EN: 0
; COMPUTE_PGM_RSRC2:TGID_Z_EN: 0
; COMPUTE_PGM_RSRC2:TIDIG_COMP_CNT: 0
	.section	.text._ZN7rocprim17ROCPRIM_400000_NS6detail17trampoline_kernelINS0_14default_configENS1_22reduce_config_selectorIbEEZNS1_11reduce_implILb1ES3_N6hipcub16HIPCUB_304000_NS22TransformInputIteratorIb7NonZeroIfEPflEEPllNS8_6detail34convert_binary_result_type_wrapperINS8_3SumESD_lEEEE10hipError_tPvRmT1_T2_T3_mT4_P12ihipStream_tbEUlT_E0_NS1_11comp_targetILNS1_3genE5ELNS1_11target_archE942ELNS1_3gpuE9ELNS1_3repE0EEENS1_30default_config_static_selectorELNS0_4arch9wavefront6targetE1EEEvSM_,"axG",@progbits,_ZN7rocprim17ROCPRIM_400000_NS6detail17trampoline_kernelINS0_14default_configENS1_22reduce_config_selectorIbEEZNS1_11reduce_implILb1ES3_N6hipcub16HIPCUB_304000_NS22TransformInputIteratorIb7NonZeroIfEPflEEPllNS8_6detail34convert_binary_result_type_wrapperINS8_3SumESD_lEEEE10hipError_tPvRmT1_T2_T3_mT4_P12ihipStream_tbEUlT_E0_NS1_11comp_targetILNS1_3genE5ELNS1_11target_archE942ELNS1_3gpuE9ELNS1_3repE0EEENS1_30default_config_static_selectorELNS0_4arch9wavefront6targetE1EEEvSM_,comdat
	.protected	_ZN7rocprim17ROCPRIM_400000_NS6detail17trampoline_kernelINS0_14default_configENS1_22reduce_config_selectorIbEEZNS1_11reduce_implILb1ES3_N6hipcub16HIPCUB_304000_NS22TransformInputIteratorIb7NonZeroIfEPflEEPllNS8_6detail34convert_binary_result_type_wrapperINS8_3SumESD_lEEEE10hipError_tPvRmT1_T2_T3_mT4_P12ihipStream_tbEUlT_E0_NS1_11comp_targetILNS1_3genE5ELNS1_11target_archE942ELNS1_3gpuE9ELNS1_3repE0EEENS1_30default_config_static_selectorELNS0_4arch9wavefront6targetE1EEEvSM_ ; -- Begin function _ZN7rocprim17ROCPRIM_400000_NS6detail17trampoline_kernelINS0_14default_configENS1_22reduce_config_selectorIbEEZNS1_11reduce_implILb1ES3_N6hipcub16HIPCUB_304000_NS22TransformInputIteratorIb7NonZeroIfEPflEEPllNS8_6detail34convert_binary_result_type_wrapperINS8_3SumESD_lEEEE10hipError_tPvRmT1_T2_T3_mT4_P12ihipStream_tbEUlT_E0_NS1_11comp_targetILNS1_3genE5ELNS1_11target_archE942ELNS1_3gpuE9ELNS1_3repE0EEENS1_30default_config_static_selectorELNS0_4arch9wavefront6targetE1EEEvSM_
	.globl	_ZN7rocprim17ROCPRIM_400000_NS6detail17trampoline_kernelINS0_14default_configENS1_22reduce_config_selectorIbEEZNS1_11reduce_implILb1ES3_N6hipcub16HIPCUB_304000_NS22TransformInputIteratorIb7NonZeroIfEPflEEPllNS8_6detail34convert_binary_result_type_wrapperINS8_3SumESD_lEEEE10hipError_tPvRmT1_T2_T3_mT4_P12ihipStream_tbEUlT_E0_NS1_11comp_targetILNS1_3genE5ELNS1_11target_archE942ELNS1_3gpuE9ELNS1_3repE0EEENS1_30default_config_static_selectorELNS0_4arch9wavefront6targetE1EEEvSM_
	.p2align	8
	.type	_ZN7rocprim17ROCPRIM_400000_NS6detail17trampoline_kernelINS0_14default_configENS1_22reduce_config_selectorIbEEZNS1_11reduce_implILb1ES3_N6hipcub16HIPCUB_304000_NS22TransformInputIteratorIb7NonZeroIfEPflEEPllNS8_6detail34convert_binary_result_type_wrapperINS8_3SumESD_lEEEE10hipError_tPvRmT1_T2_T3_mT4_P12ihipStream_tbEUlT_E0_NS1_11comp_targetILNS1_3genE5ELNS1_11target_archE942ELNS1_3gpuE9ELNS1_3repE0EEENS1_30default_config_static_selectorELNS0_4arch9wavefront6targetE1EEEvSM_,@function
_ZN7rocprim17ROCPRIM_400000_NS6detail17trampoline_kernelINS0_14default_configENS1_22reduce_config_selectorIbEEZNS1_11reduce_implILb1ES3_N6hipcub16HIPCUB_304000_NS22TransformInputIteratorIb7NonZeroIfEPflEEPllNS8_6detail34convert_binary_result_type_wrapperINS8_3SumESD_lEEEE10hipError_tPvRmT1_T2_T3_mT4_P12ihipStream_tbEUlT_E0_NS1_11comp_targetILNS1_3genE5ELNS1_11target_archE942ELNS1_3gpuE9ELNS1_3repE0EEENS1_30default_config_static_selectorELNS0_4arch9wavefront6targetE1EEEvSM_: ; @_ZN7rocprim17ROCPRIM_400000_NS6detail17trampoline_kernelINS0_14default_configENS1_22reduce_config_selectorIbEEZNS1_11reduce_implILb1ES3_N6hipcub16HIPCUB_304000_NS22TransformInputIteratorIb7NonZeroIfEPflEEPllNS8_6detail34convert_binary_result_type_wrapperINS8_3SumESD_lEEEE10hipError_tPvRmT1_T2_T3_mT4_P12ihipStream_tbEUlT_E0_NS1_11comp_targetILNS1_3genE5ELNS1_11target_archE942ELNS1_3gpuE9ELNS1_3repE0EEENS1_30default_config_static_selectorELNS0_4arch9wavefront6targetE1EEEvSM_
; %bb.0:
	.section	.rodata,"a",@progbits
	.p2align	6, 0x0
	.amdhsa_kernel _ZN7rocprim17ROCPRIM_400000_NS6detail17trampoline_kernelINS0_14default_configENS1_22reduce_config_selectorIbEEZNS1_11reduce_implILb1ES3_N6hipcub16HIPCUB_304000_NS22TransformInputIteratorIb7NonZeroIfEPflEEPllNS8_6detail34convert_binary_result_type_wrapperINS8_3SumESD_lEEEE10hipError_tPvRmT1_T2_T3_mT4_P12ihipStream_tbEUlT_E0_NS1_11comp_targetILNS1_3genE5ELNS1_11target_archE942ELNS1_3gpuE9ELNS1_3repE0EEENS1_30default_config_static_selectorELNS0_4arch9wavefront6targetE1EEEvSM_
		.amdhsa_group_segment_fixed_size 0
		.amdhsa_private_segment_fixed_size 0
		.amdhsa_kernarg_size 72
		.amdhsa_user_sgpr_count 6
		.amdhsa_user_sgpr_private_segment_buffer 1
		.amdhsa_user_sgpr_dispatch_ptr 0
		.amdhsa_user_sgpr_queue_ptr 0
		.amdhsa_user_sgpr_kernarg_segment_ptr 1
		.amdhsa_user_sgpr_dispatch_id 0
		.amdhsa_user_sgpr_flat_scratch_init 0
		.amdhsa_user_sgpr_private_segment_size 0
		.amdhsa_uses_dynamic_stack 0
		.amdhsa_system_sgpr_private_segment_wavefront_offset 0
		.amdhsa_system_sgpr_workgroup_id_x 1
		.amdhsa_system_sgpr_workgroup_id_y 0
		.amdhsa_system_sgpr_workgroup_id_z 0
		.amdhsa_system_sgpr_workgroup_info 0
		.amdhsa_system_vgpr_workitem_id 0
		.amdhsa_next_free_vgpr 1
		.amdhsa_next_free_sgpr 0
		.amdhsa_reserve_vcc 0
		.amdhsa_reserve_flat_scratch 0
		.amdhsa_float_round_mode_32 0
		.amdhsa_float_round_mode_16_64 0
		.amdhsa_float_denorm_mode_32 3
		.amdhsa_float_denorm_mode_16_64 3
		.amdhsa_dx10_clamp 1
		.amdhsa_ieee_mode 1
		.amdhsa_fp16_overflow 0
		.amdhsa_exception_fp_ieee_invalid_op 0
		.amdhsa_exception_fp_denorm_src 0
		.amdhsa_exception_fp_ieee_div_zero 0
		.amdhsa_exception_fp_ieee_overflow 0
		.amdhsa_exception_fp_ieee_underflow 0
		.amdhsa_exception_fp_ieee_inexact 0
		.amdhsa_exception_int_div_zero 0
	.end_amdhsa_kernel
	.section	.text._ZN7rocprim17ROCPRIM_400000_NS6detail17trampoline_kernelINS0_14default_configENS1_22reduce_config_selectorIbEEZNS1_11reduce_implILb1ES3_N6hipcub16HIPCUB_304000_NS22TransformInputIteratorIb7NonZeroIfEPflEEPllNS8_6detail34convert_binary_result_type_wrapperINS8_3SumESD_lEEEE10hipError_tPvRmT1_T2_T3_mT4_P12ihipStream_tbEUlT_E0_NS1_11comp_targetILNS1_3genE5ELNS1_11target_archE942ELNS1_3gpuE9ELNS1_3repE0EEENS1_30default_config_static_selectorELNS0_4arch9wavefront6targetE1EEEvSM_,"axG",@progbits,_ZN7rocprim17ROCPRIM_400000_NS6detail17trampoline_kernelINS0_14default_configENS1_22reduce_config_selectorIbEEZNS1_11reduce_implILb1ES3_N6hipcub16HIPCUB_304000_NS22TransformInputIteratorIb7NonZeroIfEPflEEPllNS8_6detail34convert_binary_result_type_wrapperINS8_3SumESD_lEEEE10hipError_tPvRmT1_T2_T3_mT4_P12ihipStream_tbEUlT_E0_NS1_11comp_targetILNS1_3genE5ELNS1_11target_archE942ELNS1_3gpuE9ELNS1_3repE0EEENS1_30default_config_static_selectorELNS0_4arch9wavefront6targetE1EEEvSM_,comdat
.Lfunc_end236:
	.size	_ZN7rocprim17ROCPRIM_400000_NS6detail17trampoline_kernelINS0_14default_configENS1_22reduce_config_selectorIbEEZNS1_11reduce_implILb1ES3_N6hipcub16HIPCUB_304000_NS22TransformInputIteratorIb7NonZeroIfEPflEEPllNS8_6detail34convert_binary_result_type_wrapperINS8_3SumESD_lEEEE10hipError_tPvRmT1_T2_T3_mT4_P12ihipStream_tbEUlT_E0_NS1_11comp_targetILNS1_3genE5ELNS1_11target_archE942ELNS1_3gpuE9ELNS1_3repE0EEENS1_30default_config_static_selectorELNS0_4arch9wavefront6targetE1EEEvSM_, .Lfunc_end236-_ZN7rocprim17ROCPRIM_400000_NS6detail17trampoline_kernelINS0_14default_configENS1_22reduce_config_selectorIbEEZNS1_11reduce_implILb1ES3_N6hipcub16HIPCUB_304000_NS22TransformInputIteratorIb7NonZeroIfEPflEEPllNS8_6detail34convert_binary_result_type_wrapperINS8_3SumESD_lEEEE10hipError_tPvRmT1_T2_T3_mT4_P12ihipStream_tbEUlT_E0_NS1_11comp_targetILNS1_3genE5ELNS1_11target_archE942ELNS1_3gpuE9ELNS1_3repE0EEENS1_30default_config_static_selectorELNS0_4arch9wavefront6targetE1EEEvSM_
                                        ; -- End function
	.set _ZN7rocprim17ROCPRIM_400000_NS6detail17trampoline_kernelINS0_14default_configENS1_22reduce_config_selectorIbEEZNS1_11reduce_implILb1ES3_N6hipcub16HIPCUB_304000_NS22TransformInputIteratorIb7NonZeroIfEPflEEPllNS8_6detail34convert_binary_result_type_wrapperINS8_3SumESD_lEEEE10hipError_tPvRmT1_T2_T3_mT4_P12ihipStream_tbEUlT_E0_NS1_11comp_targetILNS1_3genE5ELNS1_11target_archE942ELNS1_3gpuE9ELNS1_3repE0EEENS1_30default_config_static_selectorELNS0_4arch9wavefront6targetE1EEEvSM_.num_vgpr, 0
	.set _ZN7rocprim17ROCPRIM_400000_NS6detail17trampoline_kernelINS0_14default_configENS1_22reduce_config_selectorIbEEZNS1_11reduce_implILb1ES3_N6hipcub16HIPCUB_304000_NS22TransformInputIteratorIb7NonZeroIfEPflEEPllNS8_6detail34convert_binary_result_type_wrapperINS8_3SumESD_lEEEE10hipError_tPvRmT1_T2_T3_mT4_P12ihipStream_tbEUlT_E0_NS1_11comp_targetILNS1_3genE5ELNS1_11target_archE942ELNS1_3gpuE9ELNS1_3repE0EEENS1_30default_config_static_selectorELNS0_4arch9wavefront6targetE1EEEvSM_.num_agpr, 0
	.set _ZN7rocprim17ROCPRIM_400000_NS6detail17trampoline_kernelINS0_14default_configENS1_22reduce_config_selectorIbEEZNS1_11reduce_implILb1ES3_N6hipcub16HIPCUB_304000_NS22TransformInputIteratorIb7NonZeroIfEPflEEPllNS8_6detail34convert_binary_result_type_wrapperINS8_3SumESD_lEEEE10hipError_tPvRmT1_T2_T3_mT4_P12ihipStream_tbEUlT_E0_NS1_11comp_targetILNS1_3genE5ELNS1_11target_archE942ELNS1_3gpuE9ELNS1_3repE0EEENS1_30default_config_static_selectorELNS0_4arch9wavefront6targetE1EEEvSM_.numbered_sgpr, 0
	.set _ZN7rocprim17ROCPRIM_400000_NS6detail17trampoline_kernelINS0_14default_configENS1_22reduce_config_selectorIbEEZNS1_11reduce_implILb1ES3_N6hipcub16HIPCUB_304000_NS22TransformInputIteratorIb7NonZeroIfEPflEEPllNS8_6detail34convert_binary_result_type_wrapperINS8_3SumESD_lEEEE10hipError_tPvRmT1_T2_T3_mT4_P12ihipStream_tbEUlT_E0_NS1_11comp_targetILNS1_3genE5ELNS1_11target_archE942ELNS1_3gpuE9ELNS1_3repE0EEENS1_30default_config_static_selectorELNS0_4arch9wavefront6targetE1EEEvSM_.num_named_barrier, 0
	.set _ZN7rocprim17ROCPRIM_400000_NS6detail17trampoline_kernelINS0_14default_configENS1_22reduce_config_selectorIbEEZNS1_11reduce_implILb1ES3_N6hipcub16HIPCUB_304000_NS22TransformInputIteratorIb7NonZeroIfEPflEEPllNS8_6detail34convert_binary_result_type_wrapperINS8_3SumESD_lEEEE10hipError_tPvRmT1_T2_T3_mT4_P12ihipStream_tbEUlT_E0_NS1_11comp_targetILNS1_3genE5ELNS1_11target_archE942ELNS1_3gpuE9ELNS1_3repE0EEENS1_30default_config_static_selectorELNS0_4arch9wavefront6targetE1EEEvSM_.private_seg_size, 0
	.set _ZN7rocprim17ROCPRIM_400000_NS6detail17trampoline_kernelINS0_14default_configENS1_22reduce_config_selectorIbEEZNS1_11reduce_implILb1ES3_N6hipcub16HIPCUB_304000_NS22TransformInputIteratorIb7NonZeroIfEPflEEPllNS8_6detail34convert_binary_result_type_wrapperINS8_3SumESD_lEEEE10hipError_tPvRmT1_T2_T3_mT4_P12ihipStream_tbEUlT_E0_NS1_11comp_targetILNS1_3genE5ELNS1_11target_archE942ELNS1_3gpuE9ELNS1_3repE0EEENS1_30default_config_static_selectorELNS0_4arch9wavefront6targetE1EEEvSM_.uses_vcc, 0
	.set _ZN7rocprim17ROCPRIM_400000_NS6detail17trampoline_kernelINS0_14default_configENS1_22reduce_config_selectorIbEEZNS1_11reduce_implILb1ES3_N6hipcub16HIPCUB_304000_NS22TransformInputIteratorIb7NonZeroIfEPflEEPllNS8_6detail34convert_binary_result_type_wrapperINS8_3SumESD_lEEEE10hipError_tPvRmT1_T2_T3_mT4_P12ihipStream_tbEUlT_E0_NS1_11comp_targetILNS1_3genE5ELNS1_11target_archE942ELNS1_3gpuE9ELNS1_3repE0EEENS1_30default_config_static_selectorELNS0_4arch9wavefront6targetE1EEEvSM_.uses_flat_scratch, 0
	.set _ZN7rocprim17ROCPRIM_400000_NS6detail17trampoline_kernelINS0_14default_configENS1_22reduce_config_selectorIbEEZNS1_11reduce_implILb1ES3_N6hipcub16HIPCUB_304000_NS22TransformInputIteratorIb7NonZeroIfEPflEEPllNS8_6detail34convert_binary_result_type_wrapperINS8_3SumESD_lEEEE10hipError_tPvRmT1_T2_T3_mT4_P12ihipStream_tbEUlT_E0_NS1_11comp_targetILNS1_3genE5ELNS1_11target_archE942ELNS1_3gpuE9ELNS1_3repE0EEENS1_30default_config_static_selectorELNS0_4arch9wavefront6targetE1EEEvSM_.has_dyn_sized_stack, 0
	.set _ZN7rocprim17ROCPRIM_400000_NS6detail17trampoline_kernelINS0_14default_configENS1_22reduce_config_selectorIbEEZNS1_11reduce_implILb1ES3_N6hipcub16HIPCUB_304000_NS22TransformInputIteratorIb7NonZeroIfEPflEEPllNS8_6detail34convert_binary_result_type_wrapperINS8_3SumESD_lEEEE10hipError_tPvRmT1_T2_T3_mT4_P12ihipStream_tbEUlT_E0_NS1_11comp_targetILNS1_3genE5ELNS1_11target_archE942ELNS1_3gpuE9ELNS1_3repE0EEENS1_30default_config_static_selectorELNS0_4arch9wavefront6targetE1EEEvSM_.has_recursion, 0
	.set _ZN7rocprim17ROCPRIM_400000_NS6detail17trampoline_kernelINS0_14default_configENS1_22reduce_config_selectorIbEEZNS1_11reduce_implILb1ES3_N6hipcub16HIPCUB_304000_NS22TransformInputIteratorIb7NonZeroIfEPflEEPllNS8_6detail34convert_binary_result_type_wrapperINS8_3SumESD_lEEEE10hipError_tPvRmT1_T2_T3_mT4_P12ihipStream_tbEUlT_E0_NS1_11comp_targetILNS1_3genE5ELNS1_11target_archE942ELNS1_3gpuE9ELNS1_3repE0EEENS1_30default_config_static_selectorELNS0_4arch9wavefront6targetE1EEEvSM_.has_indirect_call, 0
	.section	.AMDGPU.csdata,"",@progbits
; Kernel info:
; codeLenInByte = 0
; TotalNumSgprs: 4
; NumVgprs: 0
; ScratchSize: 0
; MemoryBound: 0
; FloatMode: 240
; IeeeMode: 1
; LDSByteSize: 0 bytes/workgroup (compile time only)
; SGPRBlocks: 0
; VGPRBlocks: 0
; NumSGPRsForWavesPerEU: 4
; NumVGPRsForWavesPerEU: 1
; Occupancy: 10
; WaveLimiterHint : 0
; COMPUTE_PGM_RSRC2:SCRATCH_EN: 0
; COMPUTE_PGM_RSRC2:USER_SGPR: 6
; COMPUTE_PGM_RSRC2:TRAP_HANDLER: 0
; COMPUTE_PGM_RSRC2:TGID_X_EN: 1
; COMPUTE_PGM_RSRC2:TGID_Y_EN: 0
; COMPUTE_PGM_RSRC2:TGID_Z_EN: 0
; COMPUTE_PGM_RSRC2:TIDIG_COMP_CNT: 0
	.section	.text._ZN7rocprim17ROCPRIM_400000_NS6detail17trampoline_kernelINS0_14default_configENS1_22reduce_config_selectorIbEEZNS1_11reduce_implILb1ES3_N6hipcub16HIPCUB_304000_NS22TransformInputIteratorIb7NonZeroIfEPflEEPllNS8_6detail34convert_binary_result_type_wrapperINS8_3SumESD_lEEEE10hipError_tPvRmT1_T2_T3_mT4_P12ihipStream_tbEUlT_E0_NS1_11comp_targetILNS1_3genE4ELNS1_11target_archE910ELNS1_3gpuE8ELNS1_3repE0EEENS1_30default_config_static_selectorELNS0_4arch9wavefront6targetE1EEEvSM_,"axG",@progbits,_ZN7rocprim17ROCPRIM_400000_NS6detail17trampoline_kernelINS0_14default_configENS1_22reduce_config_selectorIbEEZNS1_11reduce_implILb1ES3_N6hipcub16HIPCUB_304000_NS22TransformInputIteratorIb7NonZeroIfEPflEEPllNS8_6detail34convert_binary_result_type_wrapperINS8_3SumESD_lEEEE10hipError_tPvRmT1_T2_T3_mT4_P12ihipStream_tbEUlT_E0_NS1_11comp_targetILNS1_3genE4ELNS1_11target_archE910ELNS1_3gpuE8ELNS1_3repE0EEENS1_30default_config_static_selectorELNS0_4arch9wavefront6targetE1EEEvSM_,comdat
	.protected	_ZN7rocprim17ROCPRIM_400000_NS6detail17trampoline_kernelINS0_14default_configENS1_22reduce_config_selectorIbEEZNS1_11reduce_implILb1ES3_N6hipcub16HIPCUB_304000_NS22TransformInputIteratorIb7NonZeroIfEPflEEPllNS8_6detail34convert_binary_result_type_wrapperINS8_3SumESD_lEEEE10hipError_tPvRmT1_T2_T3_mT4_P12ihipStream_tbEUlT_E0_NS1_11comp_targetILNS1_3genE4ELNS1_11target_archE910ELNS1_3gpuE8ELNS1_3repE0EEENS1_30default_config_static_selectorELNS0_4arch9wavefront6targetE1EEEvSM_ ; -- Begin function _ZN7rocprim17ROCPRIM_400000_NS6detail17trampoline_kernelINS0_14default_configENS1_22reduce_config_selectorIbEEZNS1_11reduce_implILb1ES3_N6hipcub16HIPCUB_304000_NS22TransformInputIteratorIb7NonZeroIfEPflEEPllNS8_6detail34convert_binary_result_type_wrapperINS8_3SumESD_lEEEE10hipError_tPvRmT1_T2_T3_mT4_P12ihipStream_tbEUlT_E0_NS1_11comp_targetILNS1_3genE4ELNS1_11target_archE910ELNS1_3gpuE8ELNS1_3repE0EEENS1_30default_config_static_selectorELNS0_4arch9wavefront6targetE1EEEvSM_
	.globl	_ZN7rocprim17ROCPRIM_400000_NS6detail17trampoline_kernelINS0_14default_configENS1_22reduce_config_selectorIbEEZNS1_11reduce_implILb1ES3_N6hipcub16HIPCUB_304000_NS22TransformInputIteratorIb7NonZeroIfEPflEEPllNS8_6detail34convert_binary_result_type_wrapperINS8_3SumESD_lEEEE10hipError_tPvRmT1_T2_T3_mT4_P12ihipStream_tbEUlT_E0_NS1_11comp_targetILNS1_3genE4ELNS1_11target_archE910ELNS1_3gpuE8ELNS1_3repE0EEENS1_30default_config_static_selectorELNS0_4arch9wavefront6targetE1EEEvSM_
	.p2align	8
	.type	_ZN7rocprim17ROCPRIM_400000_NS6detail17trampoline_kernelINS0_14default_configENS1_22reduce_config_selectorIbEEZNS1_11reduce_implILb1ES3_N6hipcub16HIPCUB_304000_NS22TransformInputIteratorIb7NonZeroIfEPflEEPllNS8_6detail34convert_binary_result_type_wrapperINS8_3SumESD_lEEEE10hipError_tPvRmT1_T2_T3_mT4_P12ihipStream_tbEUlT_E0_NS1_11comp_targetILNS1_3genE4ELNS1_11target_archE910ELNS1_3gpuE8ELNS1_3repE0EEENS1_30default_config_static_selectorELNS0_4arch9wavefront6targetE1EEEvSM_,@function
_ZN7rocprim17ROCPRIM_400000_NS6detail17trampoline_kernelINS0_14default_configENS1_22reduce_config_selectorIbEEZNS1_11reduce_implILb1ES3_N6hipcub16HIPCUB_304000_NS22TransformInputIteratorIb7NonZeroIfEPflEEPllNS8_6detail34convert_binary_result_type_wrapperINS8_3SumESD_lEEEE10hipError_tPvRmT1_T2_T3_mT4_P12ihipStream_tbEUlT_E0_NS1_11comp_targetILNS1_3genE4ELNS1_11target_archE910ELNS1_3gpuE8ELNS1_3repE0EEENS1_30default_config_static_selectorELNS0_4arch9wavefront6targetE1EEEvSM_: ; @_ZN7rocprim17ROCPRIM_400000_NS6detail17trampoline_kernelINS0_14default_configENS1_22reduce_config_selectorIbEEZNS1_11reduce_implILb1ES3_N6hipcub16HIPCUB_304000_NS22TransformInputIteratorIb7NonZeroIfEPflEEPllNS8_6detail34convert_binary_result_type_wrapperINS8_3SumESD_lEEEE10hipError_tPvRmT1_T2_T3_mT4_P12ihipStream_tbEUlT_E0_NS1_11comp_targetILNS1_3genE4ELNS1_11target_archE910ELNS1_3gpuE8ELNS1_3repE0EEENS1_30default_config_static_selectorELNS0_4arch9wavefront6targetE1EEEvSM_
; %bb.0:
	.section	.rodata,"a",@progbits
	.p2align	6, 0x0
	.amdhsa_kernel _ZN7rocprim17ROCPRIM_400000_NS6detail17trampoline_kernelINS0_14default_configENS1_22reduce_config_selectorIbEEZNS1_11reduce_implILb1ES3_N6hipcub16HIPCUB_304000_NS22TransformInputIteratorIb7NonZeroIfEPflEEPllNS8_6detail34convert_binary_result_type_wrapperINS8_3SumESD_lEEEE10hipError_tPvRmT1_T2_T3_mT4_P12ihipStream_tbEUlT_E0_NS1_11comp_targetILNS1_3genE4ELNS1_11target_archE910ELNS1_3gpuE8ELNS1_3repE0EEENS1_30default_config_static_selectorELNS0_4arch9wavefront6targetE1EEEvSM_
		.amdhsa_group_segment_fixed_size 0
		.amdhsa_private_segment_fixed_size 0
		.amdhsa_kernarg_size 72
		.amdhsa_user_sgpr_count 6
		.amdhsa_user_sgpr_private_segment_buffer 1
		.amdhsa_user_sgpr_dispatch_ptr 0
		.amdhsa_user_sgpr_queue_ptr 0
		.amdhsa_user_sgpr_kernarg_segment_ptr 1
		.amdhsa_user_sgpr_dispatch_id 0
		.amdhsa_user_sgpr_flat_scratch_init 0
		.amdhsa_user_sgpr_private_segment_size 0
		.amdhsa_uses_dynamic_stack 0
		.amdhsa_system_sgpr_private_segment_wavefront_offset 0
		.amdhsa_system_sgpr_workgroup_id_x 1
		.amdhsa_system_sgpr_workgroup_id_y 0
		.amdhsa_system_sgpr_workgroup_id_z 0
		.amdhsa_system_sgpr_workgroup_info 0
		.amdhsa_system_vgpr_workitem_id 0
		.amdhsa_next_free_vgpr 1
		.amdhsa_next_free_sgpr 0
		.amdhsa_reserve_vcc 0
		.amdhsa_reserve_flat_scratch 0
		.amdhsa_float_round_mode_32 0
		.amdhsa_float_round_mode_16_64 0
		.amdhsa_float_denorm_mode_32 3
		.amdhsa_float_denorm_mode_16_64 3
		.amdhsa_dx10_clamp 1
		.amdhsa_ieee_mode 1
		.amdhsa_fp16_overflow 0
		.amdhsa_exception_fp_ieee_invalid_op 0
		.amdhsa_exception_fp_denorm_src 0
		.amdhsa_exception_fp_ieee_div_zero 0
		.amdhsa_exception_fp_ieee_overflow 0
		.amdhsa_exception_fp_ieee_underflow 0
		.amdhsa_exception_fp_ieee_inexact 0
		.amdhsa_exception_int_div_zero 0
	.end_amdhsa_kernel
	.section	.text._ZN7rocprim17ROCPRIM_400000_NS6detail17trampoline_kernelINS0_14default_configENS1_22reduce_config_selectorIbEEZNS1_11reduce_implILb1ES3_N6hipcub16HIPCUB_304000_NS22TransformInputIteratorIb7NonZeroIfEPflEEPllNS8_6detail34convert_binary_result_type_wrapperINS8_3SumESD_lEEEE10hipError_tPvRmT1_T2_T3_mT4_P12ihipStream_tbEUlT_E0_NS1_11comp_targetILNS1_3genE4ELNS1_11target_archE910ELNS1_3gpuE8ELNS1_3repE0EEENS1_30default_config_static_selectorELNS0_4arch9wavefront6targetE1EEEvSM_,"axG",@progbits,_ZN7rocprim17ROCPRIM_400000_NS6detail17trampoline_kernelINS0_14default_configENS1_22reduce_config_selectorIbEEZNS1_11reduce_implILb1ES3_N6hipcub16HIPCUB_304000_NS22TransformInputIteratorIb7NonZeroIfEPflEEPllNS8_6detail34convert_binary_result_type_wrapperINS8_3SumESD_lEEEE10hipError_tPvRmT1_T2_T3_mT4_P12ihipStream_tbEUlT_E0_NS1_11comp_targetILNS1_3genE4ELNS1_11target_archE910ELNS1_3gpuE8ELNS1_3repE0EEENS1_30default_config_static_selectorELNS0_4arch9wavefront6targetE1EEEvSM_,comdat
.Lfunc_end237:
	.size	_ZN7rocprim17ROCPRIM_400000_NS6detail17trampoline_kernelINS0_14default_configENS1_22reduce_config_selectorIbEEZNS1_11reduce_implILb1ES3_N6hipcub16HIPCUB_304000_NS22TransformInputIteratorIb7NonZeroIfEPflEEPllNS8_6detail34convert_binary_result_type_wrapperINS8_3SumESD_lEEEE10hipError_tPvRmT1_T2_T3_mT4_P12ihipStream_tbEUlT_E0_NS1_11comp_targetILNS1_3genE4ELNS1_11target_archE910ELNS1_3gpuE8ELNS1_3repE0EEENS1_30default_config_static_selectorELNS0_4arch9wavefront6targetE1EEEvSM_, .Lfunc_end237-_ZN7rocprim17ROCPRIM_400000_NS6detail17trampoline_kernelINS0_14default_configENS1_22reduce_config_selectorIbEEZNS1_11reduce_implILb1ES3_N6hipcub16HIPCUB_304000_NS22TransformInputIteratorIb7NonZeroIfEPflEEPllNS8_6detail34convert_binary_result_type_wrapperINS8_3SumESD_lEEEE10hipError_tPvRmT1_T2_T3_mT4_P12ihipStream_tbEUlT_E0_NS1_11comp_targetILNS1_3genE4ELNS1_11target_archE910ELNS1_3gpuE8ELNS1_3repE0EEENS1_30default_config_static_selectorELNS0_4arch9wavefront6targetE1EEEvSM_
                                        ; -- End function
	.set _ZN7rocprim17ROCPRIM_400000_NS6detail17trampoline_kernelINS0_14default_configENS1_22reduce_config_selectorIbEEZNS1_11reduce_implILb1ES3_N6hipcub16HIPCUB_304000_NS22TransformInputIteratorIb7NonZeroIfEPflEEPllNS8_6detail34convert_binary_result_type_wrapperINS8_3SumESD_lEEEE10hipError_tPvRmT1_T2_T3_mT4_P12ihipStream_tbEUlT_E0_NS1_11comp_targetILNS1_3genE4ELNS1_11target_archE910ELNS1_3gpuE8ELNS1_3repE0EEENS1_30default_config_static_selectorELNS0_4arch9wavefront6targetE1EEEvSM_.num_vgpr, 0
	.set _ZN7rocprim17ROCPRIM_400000_NS6detail17trampoline_kernelINS0_14default_configENS1_22reduce_config_selectorIbEEZNS1_11reduce_implILb1ES3_N6hipcub16HIPCUB_304000_NS22TransformInputIteratorIb7NonZeroIfEPflEEPllNS8_6detail34convert_binary_result_type_wrapperINS8_3SumESD_lEEEE10hipError_tPvRmT1_T2_T3_mT4_P12ihipStream_tbEUlT_E0_NS1_11comp_targetILNS1_3genE4ELNS1_11target_archE910ELNS1_3gpuE8ELNS1_3repE0EEENS1_30default_config_static_selectorELNS0_4arch9wavefront6targetE1EEEvSM_.num_agpr, 0
	.set _ZN7rocprim17ROCPRIM_400000_NS6detail17trampoline_kernelINS0_14default_configENS1_22reduce_config_selectorIbEEZNS1_11reduce_implILb1ES3_N6hipcub16HIPCUB_304000_NS22TransformInputIteratorIb7NonZeroIfEPflEEPllNS8_6detail34convert_binary_result_type_wrapperINS8_3SumESD_lEEEE10hipError_tPvRmT1_T2_T3_mT4_P12ihipStream_tbEUlT_E0_NS1_11comp_targetILNS1_3genE4ELNS1_11target_archE910ELNS1_3gpuE8ELNS1_3repE0EEENS1_30default_config_static_selectorELNS0_4arch9wavefront6targetE1EEEvSM_.numbered_sgpr, 0
	.set _ZN7rocprim17ROCPRIM_400000_NS6detail17trampoline_kernelINS0_14default_configENS1_22reduce_config_selectorIbEEZNS1_11reduce_implILb1ES3_N6hipcub16HIPCUB_304000_NS22TransformInputIteratorIb7NonZeroIfEPflEEPllNS8_6detail34convert_binary_result_type_wrapperINS8_3SumESD_lEEEE10hipError_tPvRmT1_T2_T3_mT4_P12ihipStream_tbEUlT_E0_NS1_11comp_targetILNS1_3genE4ELNS1_11target_archE910ELNS1_3gpuE8ELNS1_3repE0EEENS1_30default_config_static_selectorELNS0_4arch9wavefront6targetE1EEEvSM_.num_named_barrier, 0
	.set _ZN7rocprim17ROCPRIM_400000_NS6detail17trampoline_kernelINS0_14default_configENS1_22reduce_config_selectorIbEEZNS1_11reduce_implILb1ES3_N6hipcub16HIPCUB_304000_NS22TransformInputIteratorIb7NonZeroIfEPflEEPllNS8_6detail34convert_binary_result_type_wrapperINS8_3SumESD_lEEEE10hipError_tPvRmT1_T2_T3_mT4_P12ihipStream_tbEUlT_E0_NS1_11comp_targetILNS1_3genE4ELNS1_11target_archE910ELNS1_3gpuE8ELNS1_3repE0EEENS1_30default_config_static_selectorELNS0_4arch9wavefront6targetE1EEEvSM_.private_seg_size, 0
	.set _ZN7rocprim17ROCPRIM_400000_NS6detail17trampoline_kernelINS0_14default_configENS1_22reduce_config_selectorIbEEZNS1_11reduce_implILb1ES3_N6hipcub16HIPCUB_304000_NS22TransformInputIteratorIb7NonZeroIfEPflEEPllNS8_6detail34convert_binary_result_type_wrapperINS8_3SumESD_lEEEE10hipError_tPvRmT1_T2_T3_mT4_P12ihipStream_tbEUlT_E0_NS1_11comp_targetILNS1_3genE4ELNS1_11target_archE910ELNS1_3gpuE8ELNS1_3repE0EEENS1_30default_config_static_selectorELNS0_4arch9wavefront6targetE1EEEvSM_.uses_vcc, 0
	.set _ZN7rocprim17ROCPRIM_400000_NS6detail17trampoline_kernelINS0_14default_configENS1_22reduce_config_selectorIbEEZNS1_11reduce_implILb1ES3_N6hipcub16HIPCUB_304000_NS22TransformInputIteratorIb7NonZeroIfEPflEEPllNS8_6detail34convert_binary_result_type_wrapperINS8_3SumESD_lEEEE10hipError_tPvRmT1_T2_T3_mT4_P12ihipStream_tbEUlT_E0_NS1_11comp_targetILNS1_3genE4ELNS1_11target_archE910ELNS1_3gpuE8ELNS1_3repE0EEENS1_30default_config_static_selectorELNS0_4arch9wavefront6targetE1EEEvSM_.uses_flat_scratch, 0
	.set _ZN7rocprim17ROCPRIM_400000_NS6detail17trampoline_kernelINS0_14default_configENS1_22reduce_config_selectorIbEEZNS1_11reduce_implILb1ES3_N6hipcub16HIPCUB_304000_NS22TransformInputIteratorIb7NonZeroIfEPflEEPllNS8_6detail34convert_binary_result_type_wrapperINS8_3SumESD_lEEEE10hipError_tPvRmT1_T2_T3_mT4_P12ihipStream_tbEUlT_E0_NS1_11comp_targetILNS1_3genE4ELNS1_11target_archE910ELNS1_3gpuE8ELNS1_3repE0EEENS1_30default_config_static_selectorELNS0_4arch9wavefront6targetE1EEEvSM_.has_dyn_sized_stack, 0
	.set _ZN7rocprim17ROCPRIM_400000_NS6detail17trampoline_kernelINS0_14default_configENS1_22reduce_config_selectorIbEEZNS1_11reduce_implILb1ES3_N6hipcub16HIPCUB_304000_NS22TransformInputIteratorIb7NonZeroIfEPflEEPllNS8_6detail34convert_binary_result_type_wrapperINS8_3SumESD_lEEEE10hipError_tPvRmT1_T2_T3_mT4_P12ihipStream_tbEUlT_E0_NS1_11comp_targetILNS1_3genE4ELNS1_11target_archE910ELNS1_3gpuE8ELNS1_3repE0EEENS1_30default_config_static_selectorELNS0_4arch9wavefront6targetE1EEEvSM_.has_recursion, 0
	.set _ZN7rocprim17ROCPRIM_400000_NS6detail17trampoline_kernelINS0_14default_configENS1_22reduce_config_selectorIbEEZNS1_11reduce_implILb1ES3_N6hipcub16HIPCUB_304000_NS22TransformInputIteratorIb7NonZeroIfEPflEEPllNS8_6detail34convert_binary_result_type_wrapperINS8_3SumESD_lEEEE10hipError_tPvRmT1_T2_T3_mT4_P12ihipStream_tbEUlT_E0_NS1_11comp_targetILNS1_3genE4ELNS1_11target_archE910ELNS1_3gpuE8ELNS1_3repE0EEENS1_30default_config_static_selectorELNS0_4arch9wavefront6targetE1EEEvSM_.has_indirect_call, 0
	.section	.AMDGPU.csdata,"",@progbits
; Kernel info:
; codeLenInByte = 0
; TotalNumSgprs: 4
; NumVgprs: 0
; ScratchSize: 0
; MemoryBound: 0
; FloatMode: 240
; IeeeMode: 1
; LDSByteSize: 0 bytes/workgroup (compile time only)
; SGPRBlocks: 0
; VGPRBlocks: 0
; NumSGPRsForWavesPerEU: 4
; NumVGPRsForWavesPerEU: 1
; Occupancy: 10
; WaveLimiterHint : 0
; COMPUTE_PGM_RSRC2:SCRATCH_EN: 0
; COMPUTE_PGM_RSRC2:USER_SGPR: 6
; COMPUTE_PGM_RSRC2:TRAP_HANDLER: 0
; COMPUTE_PGM_RSRC2:TGID_X_EN: 1
; COMPUTE_PGM_RSRC2:TGID_Y_EN: 0
; COMPUTE_PGM_RSRC2:TGID_Z_EN: 0
; COMPUTE_PGM_RSRC2:TIDIG_COMP_CNT: 0
	.section	.text._ZN7rocprim17ROCPRIM_400000_NS6detail17trampoline_kernelINS0_14default_configENS1_22reduce_config_selectorIbEEZNS1_11reduce_implILb1ES3_N6hipcub16HIPCUB_304000_NS22TransformInputIteratorIb7NonZeroIfEPflEEPllNS8_6detail34convert_binary_result_type_wrapperINS8_3SumESD_lEEEE10hipError_tPvRmT1_T2_T3_mT4_P12ihipStream_tbEUlT_E0_NS1_11comp_targetILNS1_3genE3ELNS1_11target_archE908ELNS1_3gpuE7ELNS1_3repE0EEENS1_30default_config_static_selectorELNS0_4arch9wavefront6targetE1EEEvSM_,"axG",@progbits,_ZN7rocprim17ROCPRIM_400000_NS6detail17trampoline_kernelINS0_14default_configENS1_22reduce_config_selectorIbEEZNS1_11reduce_implILb1ES3_N6hipcub16HIPCUB_304000_NS22TransformInputIteratorIb7NonZeroIfEPflEEPllNS8_6detail34convert_binary_result_type_wrapperINS8_3SumESD_lEEEE10hipError_tPvRmT1_T2_T3_mT4_P12ihipStream_tbEUlT_E0_NS1_11comp_targetILNS1_3genE3ELNS1_11target_archE908ELNS1_3gpuE7ELNS1_3repE0EEENS1_30default_config_static_selectorELNS0_4arch9wavefront6targetE1EEEvSM_,comdat
	.protected	_ZN7rocprim17ROCPRIM_400000_NS6detail17trampoline_kernelINS0_14default_configENS1_22reduce_config_selectorIbEEZNS1_11reduce_implILb1ES3_N6hipcub16HIPCUB_304000_NS22TransformInputIteratorIb7NonZeroIfEPflEEPllNS8_6detail34convert_binary_result_type_wrapperINS8_3SumESD_lEEEE10hipError_tPvRmT1_T2_T3_mT4_P12ihipStream_tbEUlT_E0_NS1_11comp_targetILNS1_3genE3ELNS1_11target_archE908ELNS1_3gpuE7ELNS1_3repE0EEENS1_30default_config_static_selectorELNS0_4arch9wavefront6targetE1EEEvSM_ ; -- Begin function _ZN7rocprim17ROCPRIM_400000_NS6detail17trampoline_kernelINS0_14default_configENS1_22reduce_config_selectorIbEEZNS1_11reduce_implILb1ES3_N6hipcub16HIPCUB_304000_NS22TransformInputIteratorIb7NonZeroIfEPflEEPllNS8_6detail34convert_binary_result_type_wrapperINS8_3SumESD_lEEEE10hipError_tPvRmT1_T2_T3_mT4_P12ihipStream_tbEUlT_E0_NS1_11comp_targetILNS1_3genE3ELNS1_11target_archE908ELNS1_3gpuE7ELNS1_3repE0EEENS1_30default_config_static_selectorELNS0_4arch9wavefront6targetE1EEEvSM_
	.globl	_ZN7rocprim17ROCPRIM_400000_NS6detail17trampoline_kernelINS0_14default_configENS1_22reduce_config_selectorIbEEZNS1_11reduce_implILb1ES3_N6hipcub16HIPCUB_304000_NS22TransformInputIteratorIb7NonZeroIfEPflEEPllNS8_6detail34convert_binary_result_type_wrapperINS8_3SumESD_lEEEE10hipError_tPvRmT1_T2_T3_mT4_P12ihipStream_tbEUlT_E0_NS1_11comp_targetILNS1_3genE3ELNS1_11target_archE908ELNS1_3gpuE7ELNS1_3repE0EEENS1_30default_config_static_selectorELNS0_4arch9wavefront6targetE1EEEvSM_
	.p2align	8
	.type	_ZN7rocprim17ROCPRIM_400000_NS6detail17trampoline_kernelINS0_14default_configENS1_22reduce_config_selectorIbEEZNS1_11reduce_implILb1ES3_N6hipcub16HIPCUB_304000_NS22TransformInputIteratorIb7NonZeroIfEPflEEPllNS8_6detail34convert_binary_result_type_wrapperINS8_3SumESD_lEEEE10hipError_tPvRmT1_T2_T3_mT4_P12ihipStream_tbEUlT_E0_NS1_11comp_targetILNS1_3genE3ELNS1_11target_archE908ELNS1_3gpuE7ELNS1_3repE0EEENS1_30default_config_static_selectorELNS0_4arch9wavefront6targetE1EEEvSM_,@function
_ZN7rocprim17ROCPRIM_400000_NS6detail17trampoline_kernelINS0_14default_configENS1_22reduce_config_selectorIbEEZNS1_11reduce_implILb1ES3_N6hipcub16HIPCUB_304000_NS22TransformInputIteratorIb7NonZeroIfEPflEEPllNS8_6detail34convert_binary_result_type_wrapperINS8_3SumESD_lEEEE10hipError_tPvRmT1_T2_T3_mT4_P12ihipStream_tbEUlT_E0_NS1_11comp_targetILNS1_3genE3ELNS1_11target_archE908ELNS1_3gpuE7ELNS1_3repE0EEENS1_30default_config_static_selectorELNS0_4arch9wavefront6targetE1EEEvSM_: ; @_ZN7rocprim17ROCPRIM_400000_NS6detail17trampoline_kernelINS0_14default_configENS1_22reduce_config_selectorIbEEZNS1_11reduce_implILb1ES3_N6hipcub16HIPCUB_304000_NS22TransformInputIteratorIb7NonZeroIfEPflEEPllNS8_6detail34convert_binary_result_type_wrapperINS8_3SumESD_lEEEE10hipError_tPvRmT1_T2_T3_mT4_P12ihipStream_tbEUlT_E0_NS1_11comp_targetILNS1_3genE3ELNS1_11target_archE908ELNS1_3gpuE7ELNS1_3repE0EEENS1_30default_config_static_selectorELNS0_4arch9wavefront6targetE1EEEvSM_
; %bb.0:
	.section	.rodata,"a",@progbits
	.p2align	6, 0x0
	.amdhsa_kernel _ZN7rocprim17ROCPRIM_400000_NS6detail17trampoline_kernelINS0_14default_configENS1_22reduce_config_selectorIbEEZNS1_11reduce_implILb1ES3_N6hipcub16HIPCUB_304000_NS22TransformInputIteratorIb7NonZeroIfEPflEEPllNS8_6detail34convert_binary_result_type_wrapperINS8_3SumESD_lEEEE10hipError_tPvRmT1_T2_T3_mT4_P12ihipStream_tbEUlT_E0_NS1_11comp_targetILNS1_3genE3ELNS1_11target_archE908ELNS1_3gpuE7ELNS1_3repE0EEENS1_30default_config_static_selectorELNS0_4arch9wavefront6targetE1EEEvSM_
		.amdhsa_group_segment_fixed_size 0
		.amdhsa_private_segment_fixed_size 0
		.amdhsa_kernarg_size 72
		.amdhsa_user_sgpr_count 6
		.amdhsa_user_sgpr_private_segment_buffer 1
		.amdhsa_user_sgpr_dispatch_ptr 0
		.amdhsa_user_sgpr_queue_ptr 0
		.amdhsa_user_sgpr_kernarg_segment_ptr 1
		.amdhsa_user_sgpr_dispatch_id 0
		.amdhsa_user_sgpr_flat_scratch_init 0
		.amdhsa_user_sgpr_private_segment_size 0
		.amdhsa_uses_dynamic_stack 0
		.amdhsa_system_sgpr_private_segment_wavefront_offset 0
		.amdhsa_system_sgpr_workgroup_id_x 1
		.amdhsa_system_sgpr_workgroup_id_y 0
		.amdhsa_system_sgpr_workgroup_id_z 0
		.amdhsa_system_sgpr_workgroup_info 0
		.amdhsa_system_vgpr_workitem_id 0
		.amdhsa_next_free_vgpr 1
		.amdhsa_next_free_sgpr 0
		.amdhsa_reserve_vcc 0
		.amdhsa_reserve_flat_scratch 0
		.amdhsa_float_round_mode_32 0
		.amdhsa_float_round_mode_16_64 0
		.amdhsa_float_denorm_mode_32 3
		.amdhsa_float_denorm_mode_16_64 3
		.amdhsa_dx10_clamp 1
		.amdhsa_ieee_mode 1
		.amdhsa_fp16_overflow 0
		.amdhsa_exception_fp_ieee_invalid_op 0
		.amdhsa_exception_fp_denorm_src 0
		.amdhsa_exception_fp_ieee_div_zero 0
		.amdhsa_exception_fp_ieee_overflow 0
		.amdhsa_exception_fp_ieee_underflow 0
		.amdhsa_exception_fp_ieee_inexact 0
		.amdhsa_exception_int_div_zero 0
	.end_amdhsa_kernel
	.section	.text._ZN7rocprim17ROCPRIM_400000_NS6detail17trampoline_kernelINS0_14default_configENS1_22reduce_config_selectorIbEEZNS1_11reduce_implILb1ES3_N6hipcub16HIPCUB_304000_NS22TransformInputIteratorIb7NonZeroIfEPflEEPllNS8_6detail34convert_binary_result_type_wrapperINS8_3SumESD_lEEEE10hipError_tPvRmT1_T2_T3_mT4_P12ihipStream_tbEUlT_E0_NS1_11comp_targetILNS1_3genE3ELNS1_11target_archE908ELNS1_3gpuE7ELNS1_3repE0EEENS1_30default_config_static_selectorELNS0_4arch9wavefront6targetE1EEEvSM_,"axG",@progbits,_ZN7rocprim17ROCPRIM_400000_NS6detail17trampoline_kernelINS0_14default_configENS1_22reduce_config_selectorIbEEZNS1_11reduce_implILb1ES3_N6hipcub16HIPCUB_304000_NS22TransformInputIteratorIb7NonZeroIfEPflEEPllNS8_6detail34convert_binary_result_type_wrapperINS8_3SumESD_lEEEE10hipError_tPvRmT1_T2_T3_mT4_P12ihipStream_tbEUlT_E0_NS1_11comp_targetILNS1_3genE3ELNS1_11target_archE908ELNS1_3gpuE7ELNS1_3repE0EEENS1_30default_config_static_selectorELNS0_4arch9wavefront6targetE1EEEvSM_,comdat
.Lfunc_end238:
	.size	_ZN7rocprim17ROCPRIM_400000_NS6detail17trampoline_kernelINS0_14default_configENS1_22reduce_config_selectorIbEEZNS1_11reduce_implILb1ES3_N6hipcub16HIPCUB_304000_NS22TransformInputIteratorIb7NonZeroIfEPflEEPllNS8_6detail34convert_binary_result_type_wrapperINS8_3SumESD_lEEEE10hipError_tPvRmT1_T2_T3_mT4_P12ihipStream_tbEUlT_E0_NS1_11comp_targetILNS1_3genE3ELNS1_11target_archE908ELNS1_3gpuE7ELNS1_3repE0EEENS1_30default_config_static_selectorELNS0_4arch9wavefront6targetE1EEEvSM_, .Lfunc_end238-_ZN7rocprim17ROCPRIM_400000_NS6detail17trampoline_kernelINS0_14default_configENS1_22reduce_config_selectorIbEEZNS1_11reduce_implILb1ES3_N6hipcub16HIPCUB_304000_NS22TransformInputIteratorIb7NonZeroIfEPflEEPllNS8_6detail34convert_binary_result_type_wrapperINS8_3SumESD_lEEEE10hipError_tPvRmT1_T2_T3_mT4_P12ihipStream_tbEUlT_E0_NS1_11comp_targetILNS1_3genE3ELNS1_11target_archE908ELNS1_3gpuE7ELNS1_3repE0EEENS1_30default_config_static_selectorELNS0_4arch9wavefront6targetE1EEEvSM_
                                        ; -- End function
	.set _ZN7rocprim17ROCPRIM_400000_NS6detail17trampoline_kernelINS0_14default_configENS1_22reduce_config_selectorIbEEZNS1_11reduce_implILb1ES3_N6hipcub16HIPCUB_304000_NS22TransformInputIteratorIb7NonZeroIfEPflEEPllNS8_6detail34convert_binary_result_type_wrapperINS8_3SumESD_lEEEE10hipError_tPvRmT1_T2_T3_mT4_P12ihipStream_tbEUlT_E0_NS1_11comp_targetILNS1_3genE3ELNS1_11target_archE908ELNS1_3gpuE7ELNS1_3repE0EEENS1_30default_config_static_selectorELNS0_4arch9wavefront6targetE1EEEvSM_.num_vgpr, 0
	.set _ZN7rocprim17ROCPRIM_400000_NS6detail17trampoline_kernelINS0_14default_configENS1_22reduce_config_selectorIbEEZNS1_11reduce_implILb1ES3_N6hipcub16HIPCUB_304000_NS22TransformInputIteratorIb7NonZeroIfEPflEEPllNS8_6detail34convert_binary_result_type_wrapperINS8_3SumESD_lEEEE10hipError_tPvRmT1_T2_T3_mT4_P12ihipStream_tbEUlT_E0_NS1_11comp_targetILNS1_3genE3ELNS1_11target_archE908ELNS1_3gpuE7ELNS1_3repE0EEENS1_30default_config_static_selectorELNS0_4arch9wavefront6targetE1EEEvSM_.num_agpr, 0
	.set _ZN7rocprim17ROCPRIM_400000_NS6detail17trampoline_kernelINS0_14default_configENS1_22reduce_config_selectorIbEEZNS1_11reduce_implILb1ES3_N6hipcub16HIPCUB_304000_NS22TransformInputIteratorIb7NonZeroIfEPflEEPllNS8_6detail34convert_binary_result_type_wrapperINS8_3SumESD_lEEEE10hipError_tPvRmT1_T2_T3_mT4_P12ihipStream_tbEUlT_E0_NS1_11comp_targetILNS1_3genE3ELNS1_11target_archE908ELNS1_3gpuE7ELNS1_3repE0EEENS1_30default_config_static_selectorELNS0_4arch9wavefront6targetE1EEEvSM_.numbered_sgpr, 0
	.set _ZN7rocprim17ROCPRIM_400000_NS6detail17trampoline_kernelINS0_14default_configENS1_22reduce_config_selectorIbEEZNS1_11reduce_implILb1ES3_N6hipcub16HIPCUB_304000_NS22TransformInputIteratorIb7NonZeroIfEPflEEPllNS8_6detail34convert_binary_result_type_wrapperINS8_3SumESD_lEEEE10hipError_tPvRmT1_T2_T3_mT4_P12ihipStream_tbEUlT_E0_NS1_11comp_targetILNS1_3genE3ELNS1_11target_archE908ELNS1_3gpuE7ELNS1_3repE0EEENS1_30default_config_static_selectorELNS0_4arch9wavefront6targetE1EEEvSM_.num_named_barrier, 0
	.set _ZN7rocprim17ROCPRIM_400000_NS6detail17trampoline_kernelINS0_14default_configENS1_22reduce_config_selectorIbEEZNS1_11reduce_implILb1ES3_N6hipcub16HIPCUB_304000_NS22TransformInputIteratorIb7NonZeroIfEPflEEPllNS8_6detail34convert_binary_result_type_wrapperINS8_3SumESD_lEEEE10hipError_tPvRmT1_T2_T3_mT4_P12ihipStream_tbEUlT_E0_NS1_11comp_targetILNS1_3genE3ELNS1_11target_archE908ELNS1_3gpuE7ELNS1_3repE0EEENS1_30default_config_static_selectorELNS0_4arch9wavefront6targetE1EEEvSM_.private_seg_size, 0
	.set _ZN7rocprim17ROCPRIM_400000_NS6detail17trampoline_kernelINS0_14default_configENS1_22reduce_config_selectorIbEEZNS1_11reduce_implILb1ES3_N6hipcub16HIPCUB_304000_NS22TransformInputIteratorIb7NonZeroIfEPflEEPllNS8_6detail34convert_binary_result_type_wrapperINS8_3SumESD_lEEEE10hipError_tPvRmT1_T2_T3_mT4_P12ihipStream_tbEUlT_E0_NS1_11comp_targetILNS1_3genE3ELNS1_11target_archE908ELNS1_3gpuE7ELNS1_3repE0EEENS1_30default_config_static_selectorELNS0_4arch9wavefront6targetE1EEEvSM_.uses_vcc, 0
	.set _ZN7rocprim17ROCPRIM_400000_NS6detail17trampoline_kernelINS0_14default_configENS1_22reduce_config_selectorIbEEZNS1_11reduce_implILb1ES3_N6hipcub16HIPCUB_304000_NS22TransformInputIteratorIb7NonZeroIfEPflEEPllNS8_6detail34convert_binary_result_type_wrapperINS8_3SumESD_lEEEE10hipError_tPvRmT1_T2_T3_mT4_P12ihipStream_tbEUlT_E0_NS1_11comp_targetILNS1_3genE3ELNS1_11target_archE908ELNS1_3gpuE7ELNS1_3repE0EEENS1_30default_config_static_selectorELNS0_4arch9wavefront6targetE1EEEvSM_.uses_flat_scratch, 0
	.set _ZN7rocprim17ROCPRIM_400000_NS6detail17trampoline_kernelINS0_14default_configENS1_22reduce_config_selectorIbEEZNS1_11reduce_implILb1ES3_N6hipcub16HIPCUB_304000_NS22TransformInputIteratorIb7NonZeroIfEPflEEPllNS8_6detail34convert_binary_result_type_wrapperINS8_3SumESD_lEEEE10hipError_tPvRmT1_T2_T3_mT4_P12ihipStream_tbEUlT_E0_NS1_11comp_targetILNS1_3genE3ELNS1_11target_archE908ELNS1_3gpuE7ELNS1_3repE0EEENS1_30default_config_static_selectorELNS0_4arch9wavefront6targetE1EEEvSM_.has_dyn_sized_stack, 0
	.set _ZN7rocprim17ROCPRIM_400000_NS6detail17trampoline_kernelINS0_14default_configENS1_22reduce_config_selectorIbEEZNS1_11reduce_implILb1ES3_N6hipcub16HIPCUB_304000_NS22TransformInputIteratorIb7NonZeroIfEPflEEPllNS8_6detail34convert_binary_result_type_wrapperINS8_3SumESD_lEEEE10hipError_tPvRmT1_T2_T3_mT4_P12ihipStream_tbEUlT_E0_NS1_11comp_targetILNS1_3genE3ELNS1_11target_archE908ELNS1_3gpuE7ELNS1_3repE0EEENS1_30default_config_static_selectorELNS0_4arch9wavefront6targetE1EEEvSM_.has_recursion, 0
	.set _ZN7rocprim17ROCPRIM_400000_NS6detail17trampoline_kernelINS0_14default_configENS1_22reduce_config_selectorIbEEZNS1_11reduce_implILb1ES3_N6hipcub16HIPCUB_304000_NS22TransformInputIteratorIb7NonZeroIfEPflEEPllNS8_6detail34convert_binary_result_type_wrapperINS8_3SumESD_lEEEE10hipError_tPvRmT1_T2_T3_mT4_P12ihipStream_tbEUlT_E0_NS1_11comp_targetILNS1_3genE3ELNS1_11target_archE908ELNS1_3gpuE7ELNS1_3repE0EEENS1_30default_config_static_selectorELNS0_4arch9wavefront6targetE1EEEvSM_.has_indirect_call, 0
	.section	.AMDGPU.csdata,"",@progbits
; Kernel info:
; codeLenInByte = 0
; TotalNumSgprs: 4
; NumVgprs: 0
; ScratchSize: 0
; MemoryBound: 0
; FloatMode: 240
; IeeeMode: 1
; LDSByteSize: 0 bytes/workgroup (compile time only)
; SGPRBlocks: 0
; VGPRBlocks: 0
; NumSGPRsForWavesPerEU: 4
; NumVGPRsForWavesPerEU: 1
; Occupancy: 10
; WaveLimiterHint : 0
; COMPUTE_PGM_RSRC2:SCRATCH_EN: 0
; COMPUTE_PGM_RSRC2:USER_SGPR: 6
; COMPUTE_PGM_RSRC2:TRAP_HANDLER: 0
; COMPUTE_PGM_RSRC2:TGID_X_EN: 1
; COMPUTE_PGM_RSRC2:TGID_Y_EN: 0
; COMPUTE_PGM_RSRC2:TGID_Z_EN: 0
; COMPUTE_PGM_RSRC2:TIDIG_COMP_CNT: 0
	.section	.text._ZN7rocprim17ROCPRIM_400000_NS6detail17trampoline_kernelINS0_14default_configENS1_22reduce_config_selectorIbEEZNS1_11reduce_implILb1ES3_N6hipcub16HIPCUB_304000_NS22TransformInputIteratorIb7NonZeroIfEPflEEPllNS8_6detail34convert_binary_result_type_wrapperINS8_3SumESD_lEEEE10hipError_tPvRmT1_T2_T3_mT4_P12ihipStream_tbEUlT_E0_NS1_11comp_targetILNS1_3genE2ELNS1_11target_archE906ELNS1_3gpuE6ELNS1_3repE0EEENS1_30default_config_static_selectorELNS0_4arch9wavefront6targetE1EEEvSM_,"axG",@progbits,_ZN7rocprim17ROCPRIM_400000_NS6detail17trampoline_kernelINS0_14default_configENS1_22reduce_config_selectorIbEEZNS1_11reduce_implILb1ES3_N6hipcub16HIPCUB_304000_NS22TransformInputIteratorIb7NonZeroIfEPflEEPllNS8_6detail34convert_binary_result_type_wrapperINS8_3SumESD_lEEEE10hipError_tPvRmT1_T2_T3_mT4_P12ihipStream_tbEUlT_E0_NS1_11comp_targetILNS1_3genE2ELNS1_11target_archE906ELNS1_3gpuE6ELNS1_3repE0EEENS1_30default_config_static_selectorELNS0_4arch9wavefront6targetE1EEEvSM_,comdat
	.protected	_ZN7rocprim17ROCPRIM_400000_NS6detail17trampoline_kernelINS0_14default_configENS1_22reduce_config_selectorIbEEZNS1_11reduce_implILb1ES3_N6hipcub16HIPCUB_304000_NS22TransformInputIteratorIb7NonZeroIfEPflEEPllNS8_6detail34convert_binary_result_type_wrapperINS8_3SumESD_lEEEE10hipError_tPvRmT1_T2_T3_mT4_P12ihipStream_tbEUlT_E0_NS1_11comp_targetILNS1_3genE2ELNS1_11target_archE906ELNS1_3gpuE6ELNS1_3repE0EEENS1_30default_config_static_selectorELNS0_4arch9wavefront6targetE1EEEvSM_ ; -- Begin function _ZN7rocprim17ROCPRIM_400000_NS6detail17trampoline_kernelINS0_14default_configENS1_22reduce_config_selectorIbEEZNS1_11reduce_implILb1ES3_N6hipcub16HIPCUB_304000_NS22TransformInputIteratorIb7NonZeroIfEPflEEPllNS8_6detail34convert_binary_result_type_wrapperINS8_3SumESD_lEEEE10hipError_tPvRmT1_T2_T3_mT4_P12ihipStream_tbEUlT_E0_NS1_11comp_targetILNS1_3genE2ELNS1_11target_archE906ELNS1_3gpuE6ELNS1_3repE0EEENS1_30default_config_static_selectorELNS0_4arch9wavefront6targetE1EEEvSM_
	.globl	_ZN7rocprim17ROCPRIM_400000_NS6detail17trampoline_kernelINS0_14default_configENS1_22reduce_config_selectorIbEEZNS1_11reduce_implILb1ES3_N6hipcub16HIPCUB_304000_NS22TransformInputIteratorIb7NonZeroIfEPflEEPllNS8_6detail34convert_binary_result_type_wrapperINS8_3SumESD_lEEEE10hipError_tPvRmT1_T2_T3_mT4_P12ihipStream_tbEUlT_E0_NS1_11comp_targetILNS1_3genE2ELNS1_11target_archE906ELNS1_3gpuE6ELNS1_3repE0EEENS1_30default_config_static_selectorELNS0_4arch9wavefront6targetE1EEEvSM_
	.p2align	8
	.type	_ZN7rocprim17ROCPRIM_400000_NS6detail17trampoline_kernelINS0_14default_configENS1_22reduce_config_selectorIbEEZNS1_11reduce_implILb1ES3_N6hipcub16HIPCUB_304000_NS22TransformInputIteratorIb7NonZeroIfEPflEEPllNS8_6detail34convert_binary_result_type_wrapperINS8_3SumESD_lEEEE10hipError_tPvRmT1_T2_T3_mT4_P12ihipStream_tbEUlT_E0_NS1_11comp_targetILNS1_3genE2ELNS1_11target_archE906ELNS1_3gpuE6ELNS1_3repE0EEENS1_30default_config_static_selectorELNS0_4arch9wavefront6targetE1EEEvSM_,@function
_ZN7rocprim17ROCPRIM_400000_NS6detail17trampoline_kernelINS0_14default_configENS1_22reduce_config_selectorIbEEZNS1_11reduce_implILb1ES3_N6hipcub16HIPCUB_304000_NS22TransformInputIteratorIb7NonZeroIfEPflEEPllNS8_6detail34convert_binary_result_type_wrapperINS8_3SumESD_lEEEE10hipError_tPvRmT1_T2_T3_mT4_P12ihipStream_tbEUlT_E0_NS1_11comp_targetILNS1_3genE2ELNS1_11target_archE906ELNS1_3gpuE6ELNS1_3repE0EEENS1_30default_config_static_selectorELNS0_4arch9wavefront6targetE1EEEvSM_: ; @_ZN7rocprim17ROCPRIM_400000_NS6detail17trampoline_kernelINS0_14default_configENS1_22reduce_config_selectorIbEEZNS1_11reduce_implILb1ES3_N6hipcub16HIPCUB_304000_NS22TransformInputIteratorIb7NonZeroIfEPflEEPllNS8_6detail34convert_binary_result_type_wrapperINS8_3SumESD_lEEEE10hipError_tPvRmT1_T2_T3_mT4_P12ihipStream_tbEUlT_E0_NS1_11comp_targetILNS1_3genE2ELNS1_11target_archE906ELNS1_3gpuE6ELNS1_3repE0EEENS1_30default_config_static_selectorELNS0_4arch9wavefront6targetE1EEEvSM_
; %bb.0:
	s_load_dwordx8 s[8:15], s[4:5], 0x10
	s_load_dwordx2 s[16:17], s[4:5], 0x0
	s_load_dwordx4 s[0:3], s[4:5], 0x30
	v_lshlrev_b32_e32 v19, 2, v0
	v_mbcnt_lo_u32_b32 v33, -1, 0
	s_waitcnt lgkmcnt(0)
	s_lshl_b64 s[4:5], s[8:9], 2
	s_add_u32 s18, s16, s4
	s_addc_u32 s19, s17, s5
	s_lshl_b32 s8, s6, 11
	s_mov_b32 s9, 0
	s_lshr_b64 s[16:17], s[10:11], 11
	s_lshl_b64 s[4:5], s[8:9], 2
	s_add_u32 s4, s18, s4
	s_mov_b32 s7, s9
	s_addc_u32 s5, s19, s5
	s_cmp_lg_u64 s[16:17], s[6:7]
	s_cbranch_scc0 .LBB239_6
; %bb.1:
	global_load_dword v3, v19, s[4:5] offset:1536
	global_load_dword v4, v19, s[4:5] offset:2048
	;; [unrolled: 1-line block ×4, first 2 shown]
	global_load_dword v7, v19, s[4:5]
	global_load_dword v8, v19, s[4:5] offset:3584
	global_load_dword v9, v19, s[4:5] offset:512
	;; [unrolled: 1-line block ×3, first 2 shown]
	v_mov_b32_e32 v1, s5
	v_add_co_u32_e32 v2, vcc, s4, v19
	s_movk_i32 s9, 0x1000
	v_addc_co_u32_e32 v11, vcc, 0, v1, vcc
	v_add_co_u32_e32 v1, vcc, s9, v2
	v_addc_co_u32_e32 v2, vcc, 0, v11, vcc
	global_load_dword v11, v[1:2], off
	global_load_dword v12, v[1:2], off offset:512
	global_load_dword v13, v[1:2], off offset:1024
	;; [unrolled: 1-line block ×7, first 2 shown]
	v_mov_b32_e32 v1, 0
	s_waitcnt vmcnt(15)
	v_cmp_neq_f32_e32 vcc, 0, v3
	v_cndmask_b32_e64 v2, 0, 1, vcc
	s_waitcnt vmcnt(14)
	v_cmp_neq_f32_e32 vcc, 0, v4
	v_cndmask_b32_e64 v3, 0, 1, vcc
	;; [unrolled: 3-line block ×6, first 2 shown]
	v_cmp_neq_f32_e32 vcc, 0, v7
	v_cndmask_b32_e64 v7, 0, 1, vcc
	s_waitcnt vmcnt(8)
	v_cmp_neq_f32_e32 vcc, 0, v10
	v_addc_co_u32_e32 v7, vcc, v8, v7, vcc
	v_add_co_u32_e32 v2, vcc, v7, v2
	v_addc_co_u32_e64 v7, s[16:17], 0, 0, vcc
	s_waitcnt vmcnt(7)
	v_cmp_neq_f32_e32 vcc, 0, v11
	v_cndmask_b32_e64 v8, 0, 1, vcc
	s_waitcnt vmcnt(6)
	v_cmp_neq_f32_e32 vcc, 0, v12
	v_cndmask_b32_e64 v9, 0, 1, vcc
	;; [unrolled: 3-line block ×8, first 2 shown]
	v_add_co_u32_e32 v2, vcc, v2, v3
	v_addc_co_u32_e32 v3, vcc, 0, v7, vcc
	v_add_co_u32_e32 v2, vcc, v2, v4
	v_addc_co_u32_e32 v3, vcc, 0, v3, vcc
	;; [unrolled: 2-line block ×12, first 2 shown]
	s_nop 0
	v_mov_b32_dpp v5, v2 quad_perm:[1,0,3,2] row_mask:0xf bank_mask:0xf bound_ctrl:1
	v_add_co_u32_e32 v2, vcc, v2, v5
	v_addc_co_u32_e32 v4, vcc, 0, v4, vcc
	v_mov_b32_dpp v1, v1 quad_perm:[1,0,3,2] row_mask:0xf bank_mask:0xf bound_ctrl:1
	v_add_co_u32_e32 v5, vcc, 0, v2
	v_addc_co_u32_e32 v1, vcc, v1, v4, vcc
	v_mov_b32_dpp v2, v2 quad_perm:[2,3,0,1] row_mask:0xf bank_mask:0xf bound_ctrl:1
	v_add_co_u32_e32 v2, vcc, v5, v2
	v_mov_b32_dpp v4, v1 quad_perm:[2,3,0,1] row_mask:0xf bank_mask:0xf bound_ctrl:1
	v_addc_co_u32_e32 v1, vcc, 0, v1, vcc
	v_add_co_u32_e32 v5, vcc, 0, v2
	v_addc_co_u32_e32 v1, vcc, v1, v4, vcc
	v_mov_b32_dpp v2, v2 row_ror:4 row_mask:0xf bank_mask:0xf bound_ctrl:1
	v_add_co_u32_e32 v2, vcc, v5, v2
	v_mov_b32_dpp v4, v1 row_ror:4 row_mask:0xf bank_mask:0xf bound_ctrl:1
	v_addc_co_u32_e32 v1, vcc, 0, v1, vcc
	v_add_co_u32_e32 v5, vcc, 0, v2
	v_addc_co_u32_e32 v1, vcc, v1, v4, vcc
	v_mov_b32_dpp v2, v2 row_ror:8 row_mask:0xf bank_mask:0xf bound_ctrl:1
	v_add_co_u32_e32 v2, vcc, v5, v2
	v_mov_b32_dpp v4, v1 row_ror:8 row_mask:0xf bank_mask:0xf bound_ctrl:1
	v_addc_co_u32_e32 v1, vcc, 0, v1, vcc
	v_add_co_u32_e32 v5, vcc, 0, v2
	v_addc_co_u32_e32 v1, vcc, v1, v4, vcc
	v_mov_b32_dpp v2, v2 row_bcast:15 row_mask:0xf bank_mask:0xf bound_ctrl:1
	v_add_co_u32_e32 v2, vcc, v5, v2
	v_mov_b32_dpp v4, v1 row_bcast:15 row_mask:0xf bank_mask:0xf bound_ctrl:1
	v_addc_co_u32_e32 v1, vcc, 0, v1, vcc
	v_add_co_u32_e32 v5, vcc, 0, v2
	v_addc_co_u32_e32 v1, vcc, v1, v4, vcc
	v_mov_b32_dpp v2, v2 row_bcast:31 row_mask:0xf bank_mask:0xf bound_ctrl:1
	v_add_co_u32_e32 v2, vcc, v5, v2
	v_mbcnt_hi_u32_b32 v3, -1, v33
	v_addc_co_u32_e32 v4, vcc, 0, v1, vcc
	v_cmp_eq_u32_e32 vcc, 0, v3
	s_nop 0
	v_add_u32_dpp v5, v1, v4 row_bcast:31 row_mask:0xf bank_mask:0xf bound_ctrl:1
	v_lshlrev_b32_e32 v4, 2, v3
	v_or_b32_e32 v6, 0xfc, v4
	ds_bpermute_b32 v1, v6, v2
	ds_bpermute_b32 v2, v6, v5
	s_and_saveexec_b64 s[16:17], vcc
	s_cbranch_execz .LBB239_3
; %bb.2:
	v_lshrrev_b32_e32 v5, 3, v0
	v_and_b32_e32 v5, 8, v5
	s_waitcnt lgkmcnt(0)
	ds_write_b64 v5, v[1:2]
.LBB239_3:
	s_or_b64 exec, exec, s[16:17]
	v_cmp_gt_u32_e32 vcc, 64, v0
	s_waitcnt lgkmcnt(0)
	s_barrier
	s_and_saveexec_b64 s[16:17], vcc
	s_cbranch_execz .LBB239_5
; %bb.4:
	v_and_b32_e32 v1, 1, v3
	v_lshlrev_b32_e32 v1, 3, v1
	ds_read_b64 v[1:2], v1
	v_or_b32_e32 v3, 4, v4
	s_waitcnt lgkmcnt(0)
	ds_bpermute_b32 v4, v3, v1
	ds_bpermute_b32 v3, v3, v2
	s_waitcnt lgkmcnt(1)
	v_add_co_u32_e32 v1, vcc, v1, v4
	v_addc_co_u32_e32 v2, vcc, 0, v2, vcc
	v_add_co_u32_e32 v1, vcc, 0, v1
	s_waitcnt lgkmcnt(0)
	v_addc_co_u32_e32 v2, vcc, v2, v3, vcc
.LBB239_5:
	s_or_b64 exec, exec, s[16:17]
	s_branch .LBB239_54
.LBB239_6:
                                        ; implicit-def: $vgpr1_vgpr2
	s_cbranch_execz .LBB239_54
; %bb.7:
	s_sub_i32 s16, s10, s8
	v_cmp_gt_u32_e32 vcc, s16, v0
                                        ; implicit-def: $vgpr1_vgpr2
	s_and_saveexec_b64 s[8:9], vcc
	s_cbranch_execz .LBB239_9
; %bb.8:
	global_load_dword v1, v19, s[4:5]
	s_mov_b32 s17, 0
	v_mov_b32_e32 v2, s17
	s_waitcnt vmcnt(0)
	v_cmp_neq_f32_e32 vcc, 0, v1
	v_cndmask_b32_e64 v1, 0, 1, vcc
.LBB239_9:
	s_or_b64 exec, exec, s[8:9]
	v_or_b32_e32 v7, 0x80, v0
	v_mov_b32_e32 v3, 0
	v_mov_b32_e32 v5, 0
	v_mov_b32_e32 v4, 0
	v_mov_b32_e32 v6, 0
	v_cmp_gt_u32_e32 vcc, s16, v7
	s_and_saveexec_b64 s[8:9], vcc
	s_cbranch_execz .LBB239_11
; %bb.10:
	global_load_dword v5, v19, s[4:5] offset:512
	s_mov_b32 s17, 0
	v_mov_b32_e32 v6, s17
	s_waitcnt vmcnt(0)
	v_cmp_neq_f32_e32 vcc, 0, v5
	v_cndmask_b32_e64 v5, 0, 1, vcc
.LBB239_11:
	s_or_b64 exec, exec, s[8:9]
	v_or_b32_e32 v7, 0x100, v0
	v_cmp_gt_u32_e32 vcc, s16, v7
	s_and_saveexec_b64 s[8:9], vcc
	s_cbranch_execz .LBB239_13
; %bb.12:
	global_load_dword v3, v19, s[4:5] offset:1024
	s_mov_b32 s17, 0
	v_mov_b32_e32 v4, s17
	s_waitcnt vmcnt(0)
	v_cmp_neq_f32_e32 vcc, 0, v3
	v_cndmask_b32_e64 v3, 0, 1, vcc
.LBB239_13:
	s_or_b64 exec, exec, s[8:9]
	v_or_b32_e32 v11, 0x180, v0
	v_mov_b32_e32 v7, 0
	v_mov_b32_e32 v9, 0
	v_mov_b32_e32 v8, 0
	v_mov_b32_e32 v10, 0
	v_cmp_gt_u32_e32 vcc, s16, v11
	s_and_saveexec_b64 s[8:9], vcc
	s_cbranch_execz .LBB239_15
; %bb.14:
	global_load_dword v9, v19, s[4:5] offset:1536
	s_mov_b32 s17, 0
	v_mov_b32_e32 v10, s17
	s_waitcnt vmcnt(0)
	v_cmp_neq_f32_e32 vcc, 0, v9
	v_cndmask_b32_e64 v9, 0, 1, vcc
.LBB239_15:
	s_or_b64 exec, exec, s[8:9]
	v_or_b32_e32 v11, 0x200, v0
	v_cmp_gt_u32_e32 vcc, s16, v11
	s_and_saveexec_b64 s[8:9], vcc
	s_cbranch_execz .LBB239_17
; %bb.16:
	global_load_dword v7, v19, s[4:5] offset:2048
	s_mov_b32 s17, 0
	v_mov_b32_e32 v8, s17
	s_waitcnt vmcnt(0)
	v_cmp_neq_f32_e32 vcc, 0, v7
	v_cndmask_b32_e64 v7, 0, 1, vcc
.LBB239_17:
	s_or_b64 exec, exec, s[8:9]
	v_or_b32_e32 v15, 0x280, v0
	v_mov_b32_e32 v11, 0
	v_mov_b32_e32 v13, 0
	v_mov_b32_e32 v12, 0
	v_mov_b32_e32 v14, 0
	v_cmp_gt_u32_e32 vcc, s16, v15
	s_and_saveexec_b64 s[8:9], vcc
	s_cbranch_execz .LBB239_19
; %bb.18:
	global_load_dword v13, v19, s[4:5] offset:2560
	s_mov_b32 s17, 0
	v_mov_b32_e32 v14, s17
	s_waitcnt vmcnt(0)
	v_cmp_neq_f32_e32 vcc, 0, v13
	v_cndmask_b32_e64 v13, 0, 1, vcc
.LBB239_19:
	s_or_b64 exec, exec, s[8:9]
	v_or_b32_e32 v15, 0x300, v0
	v_cmp_gt_u32_e32 vcc, s16, v15
	s_and_saveexec_b64 s[8:9], vcc
	s_cbranch_execz .LBB239_21
; %bb.20:
	global_load_dword v11, v19, s[4:5] offset:3072
	s_mov_b32 s17, 0
	v_mov_b32_e32 v12, s17
	s_waitcnt vmcnt(0)
	v_cmp_neq_f32_e32 vcc, 0, v11
	v_cndmask_b32_e64 v11, 0, 1, vcc
.LBB239_21:
	s_or_b64 exec, exec, s[8:9]
	v_or_b32_e32 v20, 0x380, v0
	v_mov_b32_e32 v15, 0
	v_mov_b32_e32 v17, 0
	;; [unrolled: 1-line block ×4, first 2 shown]
	v_cmp_gt_u32_e32 vcc, s16, v20
	s_and_saveexec_b64 s[8:9], vcc
	s_cbranch_execz .LBB239_23
; %bb.22:
	global_load_dword v17, v19, s[4:5] offset:3584
	s_mov_b32 s17, 0
	v_mov_b32_e32 v18, s17
	s_waitcnt vmcnt(0)
	v_cmp_neq_f32_e32 vcc, 0, v17
	v_cndmask_b32_e64 v17, 0, 1, vcc
.LBB239_23:
	s_or_b64 exec, exec, s[8:9]
	v_or_b32_e32 v19, 0x400, v0
	v_cmp_gt_u32_e32 vcc, s16, v19
	s_and_saveexec_b64 s[8:9], vcc
	s_cbranch_execz .LBB239_25
; %bb.24:
	v_lshlrev_b32_e32 v15, 2, v19
	global_load_dword v15, v15, s[4:5]
	s_mov_b32 s17, 0
	v_mov_b32_e32 v16, s17
	s_waitcnt vmcnt(0)
	v_cmp_neq_f32_e32 vcc, 0, v15
	v_cndmask_b32_e64 v15, 0, 1, vcc
.LBB239_25:
	s_or_b64 exec, exec, s[8:9]
	v_or_b32_e32 v23, 0x480, v0
	v_mov_b32_e32 v19, 0
	v_mov_b32_e32 v21, 0
	v_mov_b32_e32 v20, 0
	v_mov_b32_e32 v22, 0
	v_cmp_gt_u32_e32 vcc, s16, v23
	s_and_saveexec_b64 s[8:9], vcc
	s_cbranch_execz .LBB239_27
; %bb.26:
	v_lshlrev_b32_e32 v21, 2, v23
	global_load_dword v21, v21, s[4:5]
	s_mov_b32 s17, 0
	v_mov_b32_e32 v22, s17
	s_waitcnt vmcnt(0)
	v_cmp_neq_f32_e32 vcc, 0, v21
	v_cndmask_b32_e64 v21, 0, 1, vcc
.LBB239_27:
	s_or_b64 exec, exec, s[8:9]
	v_or_b32_e32 v23, 0x500, v0
	v_cmp_gt_u32_e32 vcc, s16, v23
	s_and_saveexec_b64 s[8:9], vcc
	s_cbranch_execz .LBB239_29
; %bb.28:
	v_lshlrev_b32_e32 v19, 2, v23
	global_load_dword v19, v19, s[4:5]
	s_mov_b32 s17, 0
	v_mov_b32_e32 v20, s17
	s_waitcnt vmcnt(0)
	v_cmp_neq_f32_e32 vcc, 0, v19
	v_cndmask_b32_e64 v19, 0, 1, vcc
.LBB239_29:
	s_or_b64 exec, exec, s[8:9]
	v_or_b32_e32 v27, 0x580, v0
	v_mov_b32_e32 v23, 0
	v_mov_b32_e32 v25, 0
	v_mov_b32_e32 v24, 0
	v_mov_b32_e32 v26, 0
	v_cmp_gt_u32_e32 vcc, s16, v27
	s_and_saveexec_b64 s[8:9], vcc
	s_cbranch_execz .LBB239_31
; %bb.30:
	v_lshlrev_b32_e32 v25, 2, v27
	global_load_dword v25, v25, s[4:5]
	s_mov_b32 s17, 0
	v_mov_b32_e32 v26, s17
	s_waitcnt vmcnt(0)
	v_cmp_neq_f32_e32 vcc, 0, v25
	v_cndmask_b32_e64 v25, 0, 1, vcc
.LBB239_31:
	;; [unrolled: 32-line block ×3, first 2 shown]
	s_or_b64 exec, exec, s[8:9]
	v_or_b32_e32 v31, 0x700, v0
	v_cmp_gt_u32_e32 vcc, s16, v31
	s_and_saveexec_b64 s[8:9], vcc
	s_cbranch_execz .LBB239_37
; %bb.36:
	v_lshlrev_b32_e32 v27, 2, v31
	global_load_dword v27, v27, s[4:5]
	s_mov_b32 s17, 0
	v_mov_b32_e32 v28, s17
	s_waitcnt vmcnt(0)
	v_cmp_neq_f32_e32 vcc, 0, v27
	v_cndmask_b32_e64 v27, 0, 1, vcc
.LBB239_37:
	s_or_b64 exec, exec, s[8:9]
	v_or_b32_e32 v34, 0x780, v0
	v_mov_b32_e32 v31, 0
	v_mov_b32_e32 v32, 0
	v_cmp_gt_u32_e32 vcc, s16, v34
	s_and_saveexec_b64 s[8:9], vcc
	s_cbranch_execz .LBB239_39
; %bb.38:
	v_lshlrev_b32_e32 v31, 2, v34
	global_load_dword v31, v31, s[4:5]
	s_mov_b32 s4, 0
	v_mov_b32_e32 v32, s4
	s_waitcnt vmcnt(0)
	v_cmp_neq_f32_e32 vcc, 0, v31
	v_cndmask_b32_e64 v31, 0, 1, vcc
.LBB239_39:
	s_or_b64 exec, exec, s[8:9]
	v_add_co_u32_e32 v1, vcc, v5, v1
	v_addc_co_u32_e32 v2, vcc, v6, v2, vcc
	v_add_co_u32_e32 v1, vcc, v1, v3
	v_addc_co_u32_e32 v2, vcc, v2, v4, vcc
	;; [unrolled: 2-line block ×14, first 2 shown]
	v_add_co_u32_e32 v1, vcc, v1, v31
	v_mbcnt_hi_u32_b32 v3, -1, v33
	v_addc_co_u32_e32 v2, vcc, v2, v32, vcc
	v_and_b32_e32 v4, 63, v3
	v_cmp_ne_u32_e32 vcc, 63, v4
	v_addc_co_u32_e32 v6, vcc, 0, v3, vcc
	v_lshlrev_b32_e32 v6, 2, v6
	ds_bpermute_b32 v8, v6, v1
	ds_bpermute_b32 v7, v6, v2
	s_min_u32 s8, s16, 0x80
	v_and_b32_e32 v5, 64, v0
	v_sub_u32_e64 v5, s8, v5 clamp
	v_add_u32_e32 v6, 1, v4
	v_cmp_lt_u32_e32 vcc, v6, v5
	v_mov_b32_e32 v6, v1
	s_and_saveexec_b64 s[4:5], vcc
	s_cbranch_execz .LBB239_41
; %bb.40:
	s_waitcnt lgkmcnt(1)
	v_add_co_u32_e32 v6, vcc, v1, v8
	v_addc_co_u32_e32 v2, vcc, 0, v2, vcc
	v_add_co_u32_e32 v1, vcc, 0, v6
	s_waitcnt lgkmcnt(0)
	v_addc_co_u32_e32 v2, vcc, v7, v2, vcc
.LBB239_41:
	s_or_b64 exec, exec, s[4:5]
	v_cmp_gt_u32_e32 vcc, 62, v4
	s_waitcnt lgkmcnt(0)
	v_cndmask_b32_e64 v7, 0, 2, vcc
	v_add_lshl_u32 v7, v7, v3, 2
	ds_bpermute_b32 v8, v7, v6
	ds_bpermute_b32 v7, v7, v2
	v_add_u32_e32 v9, 2, v4
	v_cmp_lt_u32_e32 vcc, v9, v5
	s_and_saveexec_b64 s[4:5], vcc
	s_cbranch_execz .LBB239_43
; %bb.42:
	s_waitcnt lgkmcnt(1)
	v_add_co_u32_e32 v6, vcc, v1, v8
	v_addc_co_u32_e32 v2, vcc, 0, v2, vcc
	v_add_co_u32_e32 v1, vcc, 0, v6
	s_waitcnt lgkmcnt(0)
	v_addc_co_u32_e32 v2, vcc, v7, v2, vcc
.LBB239_43:
	s_or_b64 exec, exec, s[4:5]
	v_cmp_gt_u32_e32 vcc, 60, v4
	s_waitcnt lgkmcnt(0)
	v_cndmask_b32_e64 v7, 0, 4, vcc
	v_add_lshl_u32 v7, v7, v3, 2
	ds_bpermute_b32 v8, v7, v6
	ds_bpermute_b32 v7, v7, v2
	v_add_u32_e32 v9, 4, v4
	v_cmp_lt_u32_e32 vcc, v9, v5
	;; [unrolled: 19-line block ×4, first 2 shown]
	s_and_saveexec_b64 s[4:5], vcc
	s_cbranch_execz .LBB239_49
; %bb.48:
	s_waitcnt lgkmcnt(1)
	v_add_co_u32_e32 v6, vcc, v1, v8
	v_addc_co_u32_e32 v2, vcc, 0, v2, vcc
	v_add_co_u32_e32 v1, vcc, 0, v6
	s_waitcnt lgkmcnt(0)
	v_addc_co_u32_e32 v2, vcc, v7, v2, vcc
.LBB239_49:
	s_or_b64 exec, exec, s[4:5]
	s_waitcnt lgkmcnt(0)
	v_lshlrev_b32_e32 v7, 2, v3
	v_or_b32_e32 v8, 0x80, v7
	ds_bpermute_b32 v6, v8, v6
	ds_bpermute_b32 v8, v8, v2
	v_add_u32_e32 v4, 32, v4
	s_waitcnt lgkmcnt(1)
	v_add_co_u32_e32 v6, vcc, v1, v6
	v_addc_co_u32_e32 v9, vcc, 0, v2, vcc
	v_add_co_u32_e32 v6, vcc, 0, v6
	s_waitcnt lgkmcnt(0)
	v_addc_co_u32_e32 v8, vcc, v9, v8, vcc
	v_cmp_lt_u32_e32 vcc, v4, v5
	v_cndmask_b32_e32 v2, v2, v8, vcc
	v_cndmask_b32_e32 v1, v1, v6, vcc
	v_cmp_eq_u32_e32 vcc, 0, v3
	s_and_saveexec_b64 s[4:5], vcc
; %bb.50:
	v_lshrrev_b32_e32 v4, 3, v0
	v_and_b32_e32 v4, 8, v4
	ds_write_b64 v4, v[1:2] offset:16
; %bb.51:
	s_or_b64 exec, exec, s[4:5]
	v_cmp_gt_u32_e32 vcc, 2, v0
	s_waitcnt lgkmcnt(0)
	s_barrier
	s_and_saveexec_b64 s[4:5], vcc
	s_cbranch_execz .LBB239_53
; %bb.52:
	v_lshlrev_b32_e32 v1, 3, v3
	ds_read_b64 v[1:2], v1 offset:16
	v_or_b32_e32 v4, 4, v7
	s_add_i32 s8, s8, 63
	v_and_b32_e32 v3, 1, v3
	s_lshr_b32 s8, s8, 6
	s_waitcnt lgkmcnt(0)
	ds_bpermute_b32 v5, v4, v2
	ds_bpermute_b32 v4, v4, v1
	v_add_u32_e32 v3, 1, v3
	v_cmp_gt_u32_e32 vcc, s8, v3
	s_waitcnt lgkmcnt(1)
	v_cndmask_b32_e32 v3, 0, v5, vcc
	s_waitcnt lgkmcnt(0)
	v_cndmask_b32_e32 v4, 0, v4, vcc
	v_add_co_u32_e32 v1, vcc, v4, v1
	v_addc_co_u32_e32 v2, vcc, v3, v2, vcc
.LBB239_53:
	s_or_b64 exec, exec, s[4:5]
.LBB239_54:
	v_cmp_eq_u32_e32 vcc, 0, v0
	s_and_saveexec_b64 s[4:5], vcc
	s_cbranch_execnz .LBB239_56
; %bb.55:
	s_endpgm
.LBB239_56:
	s_mul_i32 s4, s0, s15
	s_mul_hi_u32 s5, s0, s14
	s_add_i32 s4, s5, s4
	s_mul_i32 s1, s1, s14
	s_add_i32 s1, s4, s1
	s_mul_i32 s0, s0, s14
	s_lshl_b64 s[0:1], s[0:1], 3
	s_add_u32 s4, s12, s0
	s_addc_u32 s5, s13, s1
	s_cmp_eq_u64 s[10:11], 0
	v_mov_b32_e32 v0, s3
	s_cselect_b64 vcc, -1, 0
	s_lshl_b64 s[0:1], s[6:7], 3
	v_cndmask_b32_e32 v2, v2, v0, vcc
	v_mov_b32_e32 v0, s2
	s_add_u32 s0, s4, s0
	v_cndmask_b32_e32 v1, v1, v0, vcc
	s_addc_u32 s1, s5, s1
	v_mov_b32_e32 v0, 0
	global_store_dwordx2 v0, v[1:2], s[0:1]
	s_endpgm
	.section	.rodata,"a",@progbits
	.p2align	6, 0x0
	.amdhsa_kernel _ZN7rocprim17ROCPRIM_400000_NS6detail17trampoline_kernelINS0_14default_configENS1_22reduce_config_selectorIbEEZNS1_11reduce_implILb1ES3_N6hipcub16HIPCUB_304000_NS22TransformInputIteratorIb7NonZeroIfEPflEEPllNS8_6detail34convert_binary_result_type_wrapperINS8_3SumESD_lEEEE10hipError_tPvRmT1_T2_T3_mT4_P12ihipStream_tbEUlT_E0_NS1_11comp_targetILNS1_3genE2ELNS1_11target_archE906ELNS1_3gpuE6ELNS1_3repE0EEENS1_30default_config_static_selectorELNS0_4arch9wavefront6targetE1EEEvSM_
		.amdhsa_group_segment_fixed_size 32
		.amdhsa_private_segment_fixed_size 0
		.amdhsa_kernarg_size 72
		.amdhsa_user_sgpr_count 6
		.amdhsa_user_sgpr_private_segment_buffer 1
		.amdhsa_user_sgpr_dispatch_ptr 0
		.amdhsa_user_sgpr_queue_ptr 0
		.amdhsa_user_sgpr_kernarg_segment_ptr 1
		.amdhsa_user_sgpr_dispatch_id 0
		.amdhsa_user_sgpr_flat_scratch_init 0
		.amdhsa_user_sgpr_private_segment_size 0
		.amdhsa_uses_dynamic_stack 0
		.amdhsa_system_sgpr_private_segment_wavefront_offset 0
		.amdhsa_system_sgpr_workgroup_id_x 1
		.amdhsa_system_sgpr_workgroup_id_y 0
		.amdhsa_system_sgpr_workgroup_id_z 0
		.amdhsa_system_sgpr_workgroup_info 0
		.amdhsa_system_vgpr_workitem_id 0
		.amdhsa_next_free_vgpr 35
		.amdhsa_next_free_sgpr 20
		.amdhsa_reserve_vcc 1
		.amdhsa_reserve_flat_scratch 0
		.amdhsa_float_round_mode_32 0
		.amdhsa_float_round_mode_16_64 0
		.amdhsa_float_denorm_mode_32 3
		.amdhsa_float_denorm_mode_16_64 3
		.amdhsa_dx10_clamp 1
		.amdhsa_ieee_mode 1
		.amdhsa_fp16_overflow 0
		.amdhsa_exception_fp_ieee_invalid_op 0
		.amdhsa_exception_fp_denorm_src 0
		.amdhsa_exception_fp_ieee_div_zero 0
		.amdhsa_exception_fp_ieee_overflow 0
		.amdhsa_exception_fp_ieee_underflow 0
		.amdhsa_exception_fp_ieee_inexact 0
		.amdhsa_exception_int_div_zero 0
	.end_amdhsa_kernel
	.section	.text._ZN7rocprim17ROCPRIM_400000_NS6detail17trampoline_kernelINS0_14default_configENS1_22reduce_config_selectorIbEEZNS1_11reduce_implILb1ES3_N6hipcub16HIPCUB_304000_NS22TransformInputIteratorIb7NonZeroIfEPflEEPllNS8_6detail34convert_binary_result_type_wrapperINS8_3SumESD_lEEEE10hipError_tPvRmT1_T2_T3_mT4_P12ihipStream_tbEUlT_E0_NS1_11comp_targetILNS1_3genE2ELNS1_11target_archE906ELNS1_3gpuE6ELNS1_3repE0EEENS1_30default_config_static_selectorELNS0_4arch9wavefront6targetE1EEEvSM_,"axG",@progbits,_ZN7rocprim17ROCPRIM_400000_NS6detail17trampoline_kernelINS0_14default_configENS1_22reduce_config_selectorIbEEZNS1_11reduce_implILb1ES3_N6hipcub16HIPCUB_304000_NS22TransformInputIteratorIb7NonZeroIfEPflEEPllNS8_6detail34convert_binary_result_type_wrapperINS8_3SumESD_lEEEE10hipError_tPvRmT1_T2_T3_mT4_P12ihipStream_tbEUlT_E0_NS1_11comp_targetILNS1_3genE2ELNS1_11target_archE906ELNS1_3gpuE6ELNS1_3repE0EEENS1_30default_config_static_selectorELNS0_4arch9wavefront6targetE1EEEvSM_,comdat
.Lfunc_end239:
	.size	_ZN7rocprim17ROCPRIM_400000_NS6detail17trampoline_kernelINS0_14default_configENS1_22reduce_config_selectorIbEEZNS1_11reduce_implILb1ES3_N6hipcub16HIPCUB_304000_NS22TransformInputIteratorIb7NonZeroIfEPflEEPllNS8_6detail34convert_binary_result_type_wrapperINS8_3SumESD_lEEEE10hipError_tPvRmT1_T2_T3_mT4_P12ihipStream_tbEUlT_E0_NS1_11comp_targetILNS1_3genE2ELNS1_11target_archE906ELNS1_3gpuE6ELNS1_3repE0EEENS1_30default_config_static_selectorELNS0_4arch9wavefront6targetE1EEEvSM_, .Lfunc_end239-_ZN7rocprim17ROCPRIM_400000_NS6detail17trampoline_kernelINS0_14default_configENS1_22reduce_config_selectorIbEEZNS1_11reduce_implILb1ES3_N6hipcub16HIPCUB_304000_NS22TransformInputIteratorIb7NonZeroIfEPflEEPllNS8_6detail34convert_binary_result_type_wrapperINS8_3SumESD_lEEEE10hipError_tPvRmT1_T2_T3_mT4_P12ihipStream_tbEUlT_E0_NS1_11comp_targetILNS1_3genE2ELNS1_11target_archE906ELNS1_3gpuE6ELNS1_3repE0EEENS1_30default_config_static_selectorELNS0_4arch9wavefront6targetE1EEEvSM_
                                        ; -- End function
	.set _ZN7rocprim17ROCPRIM_400000_NS6detail17trampoline_kernelINS0_14default_configENS1_22reduce_config_selectorIbEEZNS1_11reduce_implILb1ES3_N6hipcub16HIPCUB_304000_NS22TransformInputIteratorIb7NonZeroIfEPflEEPllNS8_6detail34convert_binary_result_type_wrapperINS8_3SumESD_lEEEE10hipError_tPvRmT1_T2_T3_mT4_P12ihipStream_tbEUlT_E0_NS1_11comp_targetILNS1_3genE2ELNS1_11target_archE906ELNS1_3gpuE6ELNS1_3repE0EEENS1_30default_config_static_selectorELNS0_4arch9wavefront6targetE1EEEvSM_.num_vgpr, 35
	.set _ZN7rocprim17ROCPRIM_400000_NS6detail17trampoline_kernelINS0_14default_configENS1_22reduce_config_selectorIbEEZNS1_11reduce_implILb1ES3_N6hipcub16HIPCUB_304000_NS22TransformInputIteratorIb7NonZeroIfEPflEEPllNS8_6detail34convert_binary_result_type_wrapperINS8_3SumESD_lEEEE10hipError_tPvRmT1_T2_T3_mT4_P12ihipStream_tbEUlT_E0_NS1_11comp_targetILNS1_3genE2ELNS1_11target_archE906ELNS1_3gpuE6ELNS1_3repE0EEENS1_30default_config_static_selectorELNS0_4arch9wavefront6targetE1EEEvSM_.num_agpr, 0
	.set _ZN7rocprim17ROCPRIM_400000_NS6detail17trampoline_kernelINS0_14default_configENS1_22reduce_config_selectorIbEEZNS1_11reduce_implILb1ES3_N6hipcub16HIPCUB_304000_NS22TransformInputIteratorIb7NonZeroIfEPflEEPllNS8_6detail34convert_binary_result_type_wrapperINS8_3SumESD_lEEEE10hipError_tPvRmT1_T2_T3_mT4_P12ihipStream_tbEUlT_E0_NS1_11comp_targetILNS1_3genE2ELNS1_11target_archE906ELNS1_3gpuE6ELNS1_3repE0EEENS1_30default_config_static_selectorELNS0_4arch9wavefront6targetE1EEEvSM_.numbered_sgpr, 20
	.set _ZN7rocprim17ROCPRIM_400000_NS6detail17trampoline_kernelINS0_14default_configENS1_22reduce_config_selectorIbEEZNS1_11reduce_implILb1ES3_N6hipcub16HIPCUB_304000_NS22TransformInputIteratorIb7NonZeroIfEPflEEPllNS8_6detail34convert_binary_result_type_wrapperINS8_3SumESD_lEEEE10hipError_tPvRmT1_T2_T3_mT4_P12ihipStream_tbEUlT_E0_NS1_11comp_targetILNS1_3genE2ELNS1_11target_archE906ELNS1_3gpuE6ELNS1_3repE0EEENS1_30default_config_static_selectorELNS0_4arch9wavefront6targetE1EEEvSM_.num_named_barrier, 0
	.set _ZN7rocprim17ROCPRIM_400000_NS6detail17trampoline_kernelINS0_14default_configENS1_22reduce_config_selectorIbEEZNS1_11reduce_implILb1ES3_N6hipcub16HIPCUB_304000_NS22TransformInputIteratorIb7NonZeroIfEPflEEPllNS8_6detail34convert_binary_result_type_wrapperINS8_3SumESD_lEEEE10hipError_tPvRmT1_T2_T3_mT4_P12ihipStream_tbEUlT_E0_NS1_11comp_targetILNS1_3genE2ELNS1_11target_archE906ELNS1_3gpuE6ELNS1_3repE0EEENS1_30default_config_static_selectorELNS0_4arch9wavefront6targetE1EEEvSM_.private_seg_size, 0
	.set _ZN7rocprim17ROCPRIM_400000_NS6detail17trampoline_kernelINS0_14default_configENS1_22reduce_config_selectorIbEEZNS1_11reduce_implILb1ES3_N6hipcub16HIPCUB_304000_NS22TransformInputIteratorIb7NonZeroIfEPflEEPllNS8_6detail34convert_binary_result_type_wrapperINS8_3SumESD_lEEEE10hipError_tPvRmT1_T2_T3_mT4_P12ihipStream_tbEUlT_E0_NS1_11comp_targetILNS1_3genE2ELNS1_11target_archE906ELNS1_3gpuE6ELNS1_3repE0EEENS1_30default_config_static_selectorELNS0_4arch9wavefront6targetE1EEEvSM_.uses_vcc, 1
	.set _ZN7rocprim17ROCPRIM_400000_NS6detail17trampoline_kernelINS0_14default_configENS1_22reduce_config_selectorIbEEZNS1_11reduce_implILb1ES3_N6hipcub16HIPCUB_304000_NS22TransformInputIteratorIb7NonZeroIfEPflEEPllNS8_6detail34convert_binary_result_type_wrapperINS8_3SumESD_lEEEE10hipError_tPvRmT1_T2_T3_mT4_P12ihipStream_tbEUlT_E0_NS1_11comp_targetILNS1_3genE2ELNS1_11target_archE906ELNS1_3gpuE6ELNS1_3repE0EEENS1_30default_config_static_selectorELNS0_4arch9wavefront6targetE1EEEvSM_.uses_flat_scratch, 0
	.set _ZN7rocprim17ROCPRIM_400000_NS6detail17trampoline_kernelINS0_14default_configENS1_22reduce_config_selectorIbEEZNS1_11reduce_implILb1ES3_N6hipcub16HIPCUB_304000_NS22TransformInputIteratorIb7NonZeroIfEPflEEPllNS8_6detail34convert_binary_result_type_wrapperINS8_3SumESD_lEEEE10hipError_tPvRmT1_T2_T3_mT4_P12ihipStream_tbEUlT_E0_NS1_11comp_targetILNS1_3genE2ELNS1_11target_archE906ELNS1_3gpuE6ELNS1_3repE0EEENS1_30default_config_static_selectorELNS0_4arch9wavefront6targetE1EEEvSM_.has_dyn_sized_stack, 0
	.set _ZN7rocprim17ROCPRIM_400000_NS6detail17trampoline_kernelINS0_14default_configENS1_22reduce_config_selectorIbEEZNS1_11reduce_implILb1ES3_N6hipcub16HIPCUB_304000_NS22TransformInputIteratorIb7NonZeroIfEPflEEPllNS8_6detail34convert_binary_result_type_wrapperINS8_3SumESD_lEEEE10hipError_tPvRmT1_T2_T3_mT4_P12ihipStream_tbEUlT_E0_NS1_11comp_targetILNS1_3genE2ELNS1_11target_archE906ELNS1_3gpuE6ELNS1_3repE0EEENS1_30default_config_static_selectorELNS0_4arch9wavefront6targetE1EEEvSM_.has_recursion, 0
	.set _ZN7rocprim17ROCPRIM_400000_NS6detail17trampoline_kernelINS0_14default_configENS1_22reduce_config_selectorIbEEZNS1_11reduce_implILb1ES3_N6hipcub16HIPCUB_304000_NS22TransformInputIteratorIb7NonZeroIfEPflEEPllNS8_6detail34convert_binary_result_type_wrapperINS8_3SumESD_lEEEE10hipError_tPvRmT1_T2_T3_mT4_P12ihipStream_tbEUlT_E0_NS1_11comp_targetILNS1_3genE2ELNS1_11target_archE906ELNS1_3gpuE6ELNS1_3repE0EEENS1_30default_config_static_selectorELNS0_4arch9wavefront6targetE1EEEvSM_.has_indirect_call, 0
	.section	.AMDGPU.csdata,"",@progbits
; Kernel info:
; codeLenInByte = 2876
; TotalNumSgprs: 24
; NumVgprs: 35
; ScratchSize: 0
; MemoryBound: 0
; FloatMode: 240
; IeeeMode: 1
; LDSByteSize: 32 bytes/workgroup (compile time only)
; SGPRBlocks: 2
; VGPRBlocks: 8
; NumSGPRsForWavesPerEU: 24
; NumVGPRsForWavesPerEU: 35
; Occupancy: 7
; WaveLimiterHint : 1
; COMPUTE_PGM_RSRC2:SCRATCH_EN: 0
; COMPUTE_PGM_RSRC2:USER_SGPR: 6
; COMPUTE_PGM_RSRC2:TRAP_HANDLER: 0
; COMPUTE_PGM_RSRC2:TGID_X_EN: 1
; COMPUTE_PGM_RSRC2:TGID_Y_EN: 0
; COMPUTE_PGM_RSRC2:TGID_Z_EN: 0
; COMPUTE_PGM_RSRC2:TIDIG_COMP_CNT: 0
	.section	.text._ZN7rocprim17ROCPRIM_400000_NS6detail17trampoline_kernelINS0_14default_configENS1_22reduce_config_selectorIbEEZNS1_11reduce_implILb1ES3_N6hipcub16HIPCUB_304000_NS22TransformInputIteratorIb7NonZeroIfEPflEEPllNS8_6detail34convert_binary_result_type_wrapperINS8_3SumESD_lEEEE10hipError_tPvRmT1_T2_T3_mT4_P12ihipStream_tbEUlT_E0_NS1_11comp_targetILNS1_3genE10ELNS1_11target_archE1201ELNS1_3gpuE5ELNS1_3repE0EEENS1_30default_config_static_selectorELNS0_4arch9wavefront6targetE1EEEvSM_,"axG",@progbits,_ZN7rocprim17ROCPRIM_400000_NS6detail17trampoline_kernelINS0_14default_configENS1_22reduce_config_selectorIbEEZNS1_11reduce_implILb1ES3_N6hipcub16HIPCUB_304000_NS22TransformInputIteratorIb7NonZeroIfEPflEEPllNS8_6detail34convert_binary_result_type_wrapperINS8_3SumESD_lEEEE10hipError_tPvRmT1_T2_T3_mT4_P12ihipStream_tbEUlT_E0_NS1_11comp_targetILNS1_3genE10ELNS1_11target_archE1201ELNS1_3gpuE5ELNS1_3repE0EEENS1_30default_config_static_selectorELNS0_4arch9wavefront6targetE1EEEvSM_,comdat
	.protected	_ZN7rocprim17ROCPRIM_400000_NS6detail17trampoline_kernelINS0_14default_configENS1_22reduce_config_selectorIbEEZNS1_11reduce_implILb1ES3_N6hipcub16HIPCUB_304000_NS22TransformInputIteratorIb7NonZeroIfEPflEEPllNS8_6detail34convert_binary_result_type_wrapperINS8_3SumESD_lEEEE10hipError_tPvRmT1_T2_T3_mT4_P12ihipStream_tbEUlT_E0_NS1_11comp_targetILNS1_3genE10ELNS1_11target_archE1201ELNS1_3gpuE5ELNS1_3repE0EEENS1_30default_config_static_selectorELNS0_4arch9wavefront6targetE1EEEvSM_ ; -- Begin function _ZN7rocprim17ROCPRIM_400000_NS6detail17trampoline_kernelINS0_14default_configENS1_22reduce_config_selectorIbEEZNS1_11reduce_implILb1ES3_N6hipcub16HIPCUB_304000_NS22TransformInputIteratorIb7NonZeroIfEPflEEPllNS8_6detail34convert_binary_result_type_wrapperINS8_3SumESD_lEEEE10hipError_tPvRmT1_T2_T3_mT4_P12ihipStream_tbEUlT_E0_NS1_11comp_targetILNS1_3genE10ELNS1_11target_archE1201ELNS1_3gpuE5ELNS1_3repE0EEENS1_30default_config_static_selectorELNS0_4arch9wavefront6targetE1EEEvSM_
	.globl	_ZN7rocprim17ROCPRIM_400000_NS6detail17trampoline_kernelINS0_14default_configENS1_22reduce_config_selectorIbEEZNS1_11reduce_implILb1ES3_N6hipcub16HIPCUB_304000_NS22TransformInputIteratorIb7NonZeroIfEPflEEPllNS8_6detail34convert_binary_result_type_wrapperINS8_3SumESD_lEEEE10hipError_tPvRmT1_T2_T3_mT4_P12ihipStream_tbEUlT_E0_NS1_11comp_targetILNS1_3genE10ELNS1_11target_archE1201ELNS1_3gpuE5ELNS1_3repE0EEENS1_30default_config_static_selectorELNS0_4arch9wavefront6targetE1EEEvSM_
	.p2align	8
	.type	_ZN7rocprim17ROCPRIM_400000_NS6detail17trampoline_kernelINS0_14default_configENS1_22reduce_config_selectorIbEEZNS1_11reduce_implILb1ES3_N6hipcub16HIPCUB_304000_NS22TransformInputIteratorIb7NonZeroIfEPflEEPllNS8_6detail34convert_binary_result_type_wrapperINS8_3SumESD_lEEEE10hipError_tPvRmT1_T2_T3_mT4_P12ihipStream_tbEUlT_E0_NS1_11comp_targetILNS1_3genE10ELNS1_11target_archE1201ELNS1_3gpuE5ELNS1_3repE0EEENS1_30default_config_static_selectorELNS0_4arch9wavefront6targetE1EEEvSM_,@function
_ZN7rocprim17ROCPRIM_400000_NS6detail17trampoline_kernelINS0_14default_configENS1_22reduce_config_selectorIbEEZNS1_11reduce_implILb1ES3_N6hipcub16HIPCUB_304000_NS22TransformInputIteratorIb7NonZeroIfEPflEEPllNS8_6detail34convert_binary_result_type_wrapperINS8_3SumESD_lEEEE10hipError_tPvRmT1_T2_T3_mT4_P12ihipStream_tbEUlT_E0_NS1_11comp_targetILNS1_3genE10ELNS1_11target_archE1201ELNS1_3gpuE5ELNS1_3repE0EEENS1_30default_config_static_selectorELNS0_4arch9wavefront6targetE1EEEvSM_: ; @_ZN7rocprim17ROCPRIM_400000_NS6detail17trampoline_kernelINS0_14default_configENS1_22reduce_config_selectorIbEEZNS1_11reduce_implILb1ES3_N6hipcub16HIPCUB_304000_NS22TransformInputIteratorIb7NonZeroIfEPflEEPllNS8_6detail34convert_binary_result_type_wrapperINS8_3SumESD_lEEEE10hipError_tPvRmT1_T2_T3_mT4_P12ihipStream_tbEUlT_E0_NS1_11comp_targetILNS1_3genE10ELNS1_11target_archE1201ELNS1_3gpuE5ELNS1_3repE0EEENS1_30default_config_static_selectorELNS0_4arch9wavefront6targetE1EEEvSM_
; %bb.0:
	.section	.rodata,"a",@progbits
	.p2align	6, 0x0
	.amdhsa_kernel _ZN7rocprim17ROCPRIM_400000_NS6detail17trampoline_kernelINS0_14default_configENS1_22reduce_config_selectorIbEEZNS1_11reduce_implILb1ES3_N6hipcub16HIPCUB_304000_NS22TransformInputIteratorIb7NonZeroIfEPflEEPllNS8_6detail34convert_binary_result_type_wrapperINS8_3SumESD_lEEEE10hipError_tPvRmT1_T2_T3_mT4_P12ihipStream_tbEUlT_E0_NS1_11comp_targetILNS1_3genE10ELNS1_11target_archE1201ELNS1_3gpuE5ELNS1_3repE0EEENS1_30default_config_static_selectorELNS0_4arch9wavefront6targetE1EEEvSM_
		.amdhsa_group_segment_fixed_size 0
		.amdhsa_private_segment_fixed_size 0
		.amdhsa_kernarg_size 72
		.amdhsa_user_sgpr_count 6
		.amdhsa_user_sgpr_private_segment_buffer 1
		.amdhsa_user_sgpr_dispatch_ptr 0
		.amdhsa_user_sgpr_queue_ptr 0
		.amdhsa_user_sgpr_kernarg_segment_ptr 1
		.amdhsa_user_sgpr_dispatch_id 0
		.amdhsa_user_sgpr_flat_scratch_init 0
		.amdhsa_user_sgpr_private_segment_size 0
		.amdhsa_uses_dynamic_stack 0
		.amdhsa_system_sgpr_private_segment_wavefront_offset 0
		.amdhsa_system_sgpr_workgroup_id_x 1
		.amdhsa_system_sgpr_workgroup_id_y 0
		.amdhsa_system_sgpr_workgroup_id_z 0
		.amdhsa_system_sgpr_workgroup_info 0
		.amdhsa_system_vgpr_workitem_id 0
		.amdhsa_next_free_vgpr 1
		.amdhsa_next_free_sgpr 0
		.amdhsa_reserve_vcc 0
		.amdhsa_reserve_flat_scratch 0
		.amdhsa_float_round_mode_32 0
		.amdhsa_float_round_mode_16_64 0
		.amdhsa_float_denorm_mode_32 3
		.amdhsa_float_denorm_mode_16_64 3
		.amdhsa_dx10_clamp 1
		.amdhsa_ieee_mode 1
		.amdhsa_fp16_overflow 0
		.amdhsa_exception_fp_ieee_invalid_op 0
		.amdhsa_exception_fp_denorm_src 0
		.amdhsa_exception_fp_ieee_div_zero 0
		.amdhsa_exception_fp_ieee_overflow 0
		.amdhsa_exception_fp_ieee_underflow 0
		.amdhsa_exception_fp_ieee_inexact 0
		.amdhsa_exception_int_div_zero 0
	.end_amdhsa_kernel
	.section	.text._ZN7rocprim17ROCPRIM_400000_NS6detail17trampoline_kernelINS0_14default_configENS1_22reduce_config_selectorIbEEZNS1_11reduce_implILb1ES3_N6hipcub16HIPCUB_304000_NS22TransformInputIteratorIb7NonZeroIfEPflEEPllNS8_6detail34convert_binary_result_type_wrapperINS8_3SumESD_lEEEE10hipError_tPvRmT1_T2_T3_mT4_P12ihipStream_tbEUlT_E0_NS1_11comp_targetILNS1_3genE10ELNS1_11target_archE1201ELNS1_3gpuE5ELNS1_3repE0EEENS1_30default_config_static_selectorELNS0_4arch9wavefront6targetE1EEEvSM_,"axG",@progbits,_ZN7rocprim17ROCPRIM_400000_NS6detail17trampoline_kernelINS0_14default_configENS1_22reduce_config_selectorIbEEZNS1_11reduce_implILb1ES3_N6hipcub16HIPCUB_304000_NS22TransformInputIteratorIb7NonZeroIfEPflEEPllNS8_6detail34convert_binary_result_type_wrapperINS8_3SumESD_lEEEE10hipError_tPvRmT1_T2_T3_mT4_P12ihipStream_tbEUlT_E0_NS1_11comp_targetILNS1_3genE10ELNS1_11target_archE1201ELNS1_3gpuE5ELNS1_3repE0EEENS1_30default_config_static_selectorELNS0_4arch9wavefront6targetE1EEEvSM_,comdat
.Lfunc_end240:
	.size	_ZN7rocprim17ROCPRIM_400000_NS6detail17trampoline_kernelINS0_14default_configENS1_22reduce_config_selectorIbEEZNS1_11reduce_implILb1ES3_N6hipcub16HIPCUB_304000_NS22TransformInputIteratorIb7NonZeroIfEPflEEPllNS8_6detail34convert_binary_result_type_wrapperINS8_3SumESD_lEEEE10hipError_tPvRmT1_T2_T3_mT4_P12ihipStream_tbEUlT_E0_NS1_11comp_targetILNS1_3genE10ELNS1_11target_archE1201ELNS1_3gpuE5ELNS1_3repE0EEENS1_30default_config_static_selectorELNS0_4arch9wavefront6targetE1EEEvSM_, .Lfunc_end240-_ZN7rocprim17ROCPRIM_400000_NS6detail17trampoline_kernelINS0_14default_configENS1_22reduce_config_selectorIbEEZNS1_11reduce_implILb1ES3_N6hipcub16HIPCUB_304000_NS22TransformInputIteratorIb7NonZeroIfEPflEEPllNS8_6detail34convert_binary_result_type_wrapperINS8_3SumESD_lEEEE10hipError_tPvRmT1_T2_T3_mT4_P12ihipStream_tbEUlT_E0_NS1_11comp_targetILNS1_3genE10ELNS1_11target_archE1201ELNS1_3gpuE5ELNS1_3repE0EEENS1_30default_config_static_selectorELNS0_4arch9wavefront6targetE1EEEvSM_
                                        ; -- End function
	.set _ZN7rocprim17ROCPRIM_400000_NS6detail17trampoline_kernelINS0_14default_configENS1_22reduce_config_selectorIbEEZNS1_11reduce_implILb1ES3_N6hipcub16HIPCUB_304000_NS22TransformInputIteratorIb7NonZeroIfEPflEEPllNS8_6detail34convert_binary_result_type_wrapperINS8_3SumESD_lEEEE10hipError_tPvRmT1_T2_T3_mT4_P12ihipStream_tbEUlT_E0_NS1_11comp_targetILNS1_3genE10ELNS1_11target_archE1201ELNS1_3gpuE5ELNS1_3repE0EEENS1_30default_config_static_selectorELNS0_4arch9wavefront6targetE1EEEvSM_.num_vgpr, 0
	.set _ZN7rocprim17ROCPRIM_400000_NS6detail17trampoline_kernelINS0_14default_configENS1_22reduce_config_selectorIbEEZNS1_11reduce_implILb1ES3_N6hipcub16HIPCUB_304000_NS22TransformInputIteratorIb7NonZeroIfEPflEEPllNS8_6detail34convert_binary_result_type_wrapperINS8_3SumESD_lEEEE10hipError_tPvRmT1_T2_T3_mT4_P12ihipStream_tbEUlT_E0_NS1_11comp_targetILNS1_3genE10ELNS1_11target_archE1201ELNS1_3gpuE5ELNS1_3repE0EEENS1_30default_config_static_selectorELNS0_4arch9wavefront6targetE1EEEvSM_.num_agpr, 0
	.set _ZN7rocprim17ROCPRIM_400000_NS6detail17trampoline_kernelINS0_14default_configENS1_22reduce_config_selectorIbEEZNS1_11reduce_implILb1ES3_N6hipcub16HIPCUB_304000_NS22TransformInputIteratorIb7NonZeroIfEPflEEPllNS8_6detail34convert_binary_result_type_wrapperINS8_3SumESD_lEEEE10hipError_tPvRmT1_T2_T3_mT4_P12ihipStream_tbEUlT_E0_NS1_11comp_targetILNS1_3genE10ELNS1_11target_archE1201ELNS1_3gpuE5ELNS1_3repE0EEENS1_30default_config_static_selectorELNS0_4arch9wavefront6targetE1EEEvSM_.numbered_sgpr, 0
	.set _ZN7rocprim17ROCPRIM_400000_NS6detail17trampoline_kernelINS0_14default_configENS1_22reduce_config_selectorIbEEZNS1_11reduce_implILb1ES3_N6hipcub16HIPCUB_304000_NS22TransformInputIteratorIb7NonZeroIfEPflEEPllNS8_6detail34convert_binary_result_type_wrapperINS8_3SumESD_lEEEE10hipError_tPvRmT1_T2_T3_mT4_P12ihipStream_tbEUlT_E0_NS1_11comp_targetILNS1_3genE10ELNS1_11target_archE1201ELNS1_3gpuE5ELNS1_3repE0EEENS1_30default_config_static_selectorELNS0_4arch9wavefront6targetE1EEEvSM_.num_named_barrier, 0
	.set _ZN7rocprim17ROCPRIM_400000_NS6detail17trampoline_kernelINS0_14default_configENS1_22reduce_config_selectorIbEEZNS1_11reduce_implILb1ES3_N6hipcub16HIPCUB_304000_NS22TransformInputIteratorIb7NonZeroIfEPflEEPllNS8_6detail34convert_binary_result_type_wrapperINS8_3SumESD_lEEEE10hipError_tPvRmT1_T2_T3_mT4_P12ihipStream_tbEUlT_E0_NS1_11comp_targetILNS1_3genE10ELNS1_11target_archE1201ELNS1_3gpuE5ELNS1_3repE0EEENS1_30default_config_static_selectorELNS0_4arch9wavefront6targetE1EEEvSM_.private_seg_size, 0
	.set _ZN7rocprim17ROCPRIM_400000_NS6detail17trampoline_kernelINS0_14default_configENS1_22reduce_config_selectorIbEEZNS1_11reduce_implILb1ES3_N6hipcub16HIPCUB_304000_NS22TransformInputIteratorIb7NonZeroIfEPflEEPllNS8_6detail34convert_binary_result_type_wrapperINS8_3SumESD_lEEEE10hipError_tPvRmT1_T2_T3_mT4_P12ihipStream_tbEUlT_E0_NS1_11comp_targetILNS1_3genE10ELNS1_11target_archE1201ELNS1_3gpuE5ELNS1_3repE0EEENS1_30default_config_static_selectorELNS0_4arch9wavefront6targetE1EEEvSM_.uses_vcc, 0
	.set _ZN7rocprim17ROCPRIM_400000_NS6detail17trampoline_kernelINS0_14default_configENS1_22reduce_config_selectorIbEEZNS1_11reduce_implILb1ES3_N6hipcub16HIPCUB_304000_NS22TransformInputIteratorIb7NonZeroIfEPflEEPllNS8_6detail34convert_binary_result_type_wrapperINS8_3SumESD_lEEEE10hipError_tPvRmT1_T2_T3_mT4_P12ihipStream_tbEUlT_E0_NS1_11comp_targetILNS1_3genE10ELNS1_11target_archE1201ELNS1_3gpuE5ELNS1_3repE0EEENS1_30default_config_static_selectorELNS0_4arch9wavefront6targetE1EEEvSM_.uses_flat_scratch, 0
	.set _ZN7rocprim17ROCPRIM_400000_NS6detail17trampoline_kernelINS0_14default_configENS1_22reduce_config_selectorIbEEZNS1_11reduce_implILb1ES3_N6hipcub16HIPCUB_304000_NS22TransformInputIteratorIb7NonZeroIfEPflEEPllNS8_6detail34convert_binary_result_type_wrapperINS8_3SumESD_lEEEE10hipError_tPvRmT1_T2_T3_mT4_P12ihipStream_tbEUlT_E0_NS1_11comp_targetILNS1_3genE10ELNS1_11target_archE1201ELNS1_3gpuE5ELNS1_3repE0EEENS1_30default_config_static_selectorELNS0_4arch9wavefront6targetE1EEEvSM_.has_dyn_sized_stack, 0
	.set _ZN7rocprim17ROCPRIM_400000_NS6detail17trampoline_kernelINS0_14default_configENS1_22reduce_config_selectorIbEEZNS1_11reduce_implILb1ES3_N6hipcub16HIPCUB_304000_NS22TransformInputIteratorIb7NonZeroIfEPflEEPllNS8_6detail34convert_binary_result_type_wrapperINS8_3SumESD_lEEEE10hipError_tPvRmT1_T2_T3_mT4_P12ihipStream_tbEUlT_E0_NS1_11comp_targetILNS1_3genE10ELNS1_11target_archE1201ELNS1_3gpuE5ELNS1_3repE0EEENS1_30default_config_static_selectorELNS0_4arch9wavefront6targetE1EEEvSM_.has_recursion, 0
	.set _ZN7rocprim17ROCPRIM_400000_NS6detail17trampoline_kernelINS0_14default_configENS1_22reduce_config_selectorIbEEZNS1_11reduce_implILb1ES3_N6hipcub16HIPCUB_304000_NS22TransformInputIteratorIb7NonZeroIfEPflEEPllNS8_6detail34convert_binary_result_type_wrapperINS8_3SumESD_lEEEE10hipError_tPvRmT1_T2_T3_mT4_P12ihipStream_tbEUlT_E0_NS1_11comp_targetILNS1_3genE10ELNS1_11target_archE1201ELNS1_3gpuE5ELNS1_3repE0EEENS1_30default_config_static_selectorELNS0_4arch9wavefront6targetE1EEEvSM_.has_indirect_call, 0
	.section	.AMDGPU.csdata,"",@progbits
; Kernel info:
; codeLenInByte = 0
; TotalNumSgprs: 4
; NumVgprs: 0
; ScratchSize: 0
; MemoryBound: 0
; FloatMode: 240
; IeeeMode: 1
; LDSByteSize: 0 bytes/workgroup (compile time only)
; SGPRBlocks: 0
; VGPRBlocks: 0
; NumSGPRsForWavesPerEU: 4
; NumVGPRsForWavesPerEU: 1
; Occupancy: 10
; WaveLimiterHint : 0
; COMPUTE_PGM_RSRC2:SCRATCH_EN: 0
; COMPUTE_PGM_RSRC2:USER_SGPR: 6
; COMPUTE_PGM_RSRC2:TRAP_HANDLER: 0
; COMPUTE_PGM_RSRC2:TGID_X_EN: 1
; COMPUTE_PGM_RSRC2:TGID_Y_EN: 0
; COMPUTE_PGM_RSRC2:TGID_Z_EN: 0
; COMPUTE_PGM_RSRC2:TIDIG_COMP_CNT: 0
	.section	.text._ZN7rocprim17ROCPRIM_400000_NS6detail17trampoline_kernelINS0_14default_configENS1_22reduce_config_selectorIbEEZNS1_11reduce_implILb1ES3_N6hipcub16HIPCUB_304000_NS22TransformInputIteratorIb7NonZeroIfEPflEEPllNS8_6detail34convert_binary_result_type_wrapperINS8_3SumESD_lEEEE10hipError_tPvRmT1_T2_T3_mT4_P12ihipStream_tbEUlT_E0_NS1_11comp_targetILNS1_3genE10ELNS1_11target_archE1200ELNS1_3gpuE4ELNS1_3repE0EEENS1_30default_config_static_selectorELNS0_4arch9wavefront6targetE1EEEvSM_,"axG",@progbits,_ZN7rocprim17ROCPRIM_400000_NS6detail17trampoline_kernelINS0_14default_configENS1_22reduce_config_selectorIbEEZNS1_11reduce_implILb1ES3_N6hipcub16HIPCUB_304000_NS22TransformInputIteratorIb7NonZeroIfEPflEEPllNS8_6detail34convert_binary_result_type_wrapperINS8_3SumESD_lEEEE10hipError_tPvRmT1_T2_T3_mT4_P12ihipStream_tbEUlT_E0_NS1_11comp_targetILNS1_3genE10ELNS1_11target_archE1200ELNS1_3gpuE4ELNS1_3repE0EEENS1_30default_config_static_selectorELNS0_4arch9wavefront6targetE1EEEvSM_,comdat
	.protected	_ZN7rocprim17ROCPRIM_400000_NS6detail17trampoline_kernelINS0_14default_configENS1_22reduce_config_selectorIbEEZNS1_11reduce_implILb1ES3_N6hipcub16HIPCUB_304000_NS22TransformInputIteratorIb7NonZeroIfEPflEEPllNS8_6detail34convert_binary_result_type_wrapperINS8_3SumESD_lEEEE10hipError_tPvRmT1_T2_T3_mT4_P12ihipStream_tbEUlT_E0_NS1_11comp_targetILNS1_3genE10ELNS1_11target_archE1200ELNS1_3gpuE4ELNS1_3repE0EEENS1_30default_config_static_selectorELNS0_4arch9wavefront6targetE1EEEvSM_ ; -- Begin function _ZN7rocprim17ROCPRIM_400000_NS6detail17trampoline_kernelINS0_14default_configENS1_22reduce_config_selectorIbEEZNS1_11reduce_implILb1ES3_N6hipcub16HIPCUB_304000_NS22TransformInputIteratorIb7NonZeroIfEPflEEPllNS8_6detail34convert_binary_result_type_wrapperINS8_3SumESD_lEEEE10hipError_tPvRmT1_T2_T3_mT4_P12ihipStream_tbEUlT_E0_NS1_11comp_targetILNS1_3genE10ELNS1_11target_archE1200ELNS1_3gpuE4ELNS1_3repE0EEENS1_30default_config_static_selectorELNS0_4arch9wavefront6targetE1EEEvSM_
	.globl	_ZN7rocprim17ROCPRIM_400000_NS6detail17trampoline_kernelINS0_14default_configENS1_22reduce_config_selectorIbEEZNS1_11reduce_implILb1ES3_N6hipcub16HIPCUB_304000_NS22TransformInputIteratorIb7NonZeroIfEPflEEPllNS8_6detail34convert_binary_result_type_wrapperINS8_3SumESD_lEEEE10hipError_tPvRmT1_T2_T3_mT4_P12ihipStream_tbEUlT_E0_NS1_11comp_targetILNS1_3genE10ELNS1_11target_archE1200ELNS1_3gpuE4ELNS1_3repE0EEENS1_30default_config_static_selectorELNS0_4arch9wavefront6targetE1EEEvSM_
	.p2align	8
	.type	_ZN7rocprim17ROCPRIM_400000_NS6detail17trampoline_kernelINS0_14default_configENS1_22reduce_config_selectorIbEEZNS1_11reduce_implILb1ES3_N6hipcub16HIPCUB_304000_NS22TransformInputIteratorIb7NonZeroIfEPflEEPllNS8_6detail34convert_binary_result_type_wrapperINS8_3SumESD_lEEEE10hipError_tPvRmT1_T2_T3_mT4_P12ihipStream_tbEUlT_E0_NS1_11comp_targetILNS1_3genE10ELNS1_11target_archE1200ELNS1_3gpuE4ELNS1_3repE0EEENS1_30default_config_static_selectorELNS0_4arch9wavefront6targetE1EEEvSM_,@function
_ZN7rocprim17ROCPRIM_400000_NS6detail17trampoline_kernelINS0_14default_configENS1_22reduce_config_selectorIbEEZNS1_11reduce_implILb1ES3_N6hipcub16HIPCUB_304000_NS22TransformInputIteratorIb7NonZeroIfEPflEEPllNS8_6detail34convert_binary_result_type_wrapperINS8_3SumESD_lEEEE10hipError_tPvRmT1_T2_T3_mT4_P12ihipStream_tbEUlT_E0_NS1_11comp_targetILNS1_3genE10ELNS1_11target_archE1200ELNS1_3gpuE4ELNS1_3repE0EEENS1_30default_config_static_selectorELNS0_4arch9wavefront6targetE1EEEvSM_: ; @_ZN7rocprim17ROCPRIM_400000_NS6detail17trampoline_kernelINS0_14default_configENS1_22reduce_config_selectorIbEEZNS1_11reduce_implILb1ES3_N6hipcub16HIPCUB_304000_NS22TransformInputIteratorIb7NonZeroIfEPflEEPllNS8_6detail34convert_binary_result_type_wrapperINS8_3SumESD_lEEEE10hipError_tPvRmT1_T2_T3_mT4_P12ihipStream_tbEUlT_E0_NS1_11comp_targetILNS1_3genE10ELNS1_11target_archE1200ELNS1_3gpuE4ELNS1_3repE0EEENS1_30default_config_static_selectorELNS0_4arch9wavefront6targetE1EEEvSM_
; %bb.0:
	.section	.rodata,"a",@progbits
	.p2align	6, 0x0
	.amdhsa_kernel _ZN7rocprim17ROCPRIM_400000_NS6detail17trampoline_kernelINS0_14default_configENS1_22reduce_config_selectorIbEEZNS1_11reduce_implILb1ES3_N6hipcub16HIPCUB_304000_NS22TransformInputIteratorIb7NonZeroIfEPflEEPllNS8_6detail34convert_binary_result_type_wrapperINS8_3SumESD_lEEEE10hipError_tPvRmT1_T2_T3_mT4_P12ihipStream_tbEUlT_E0_NS1_11comp_targetILNS1_3genE10ELNS1_11target_archE1200ELNS1_3gpuE4ELNS1_3repE0EEENS1_30default_config_static_selectorELNS0_4arch9wavefront6targetE1EEEvSM_
		.amdhsa_group_segment_fixed_size 0
		.amdhsa_private_segment_fixed_size 0
		.amdhsa_kernarg_size 72
		.amdhsa_user_sgpr_count 6
		.amdhsa_user_sgpr_private_segment_buffer 1
		.amdhsa_user_sgpr_dispatch_ptr 0
		.amdhsa_user_sgpr_queue_ptr 0
		.amdhsa_user_sgpr_kernarg_segment_ptr 1
		.amdhsa_user_sgpr_dispatch_id 0
		.amdhsa_user_sgpr_flat_scratch_init 0
		.amdhsa_user_sgpr_private_segment_size 0
		.amdhsa_uses_dynamic_stack 0
		.amdhsa_system_sgpr_private_segment_wavefront_offset 0
		.amdhsa_system_sgpr_workgroup_id_x 1
		.amdhsa_system_sgpr_workgroup_id_y 0
		.amdhsa_system_sgpr_workgroup_id_z 0
		.amdhsa_system_sgpr_workgroup_info 0
		.amdhsa_system_vgpr_workitem_id 0
		.amdhsa_next_free_vgpr 1
		.amdhsa_next_free_sgpr 0
		.amdhsa_reserve_vcc 0
		.amdhsa_reserve_flat_scratch 0
		.amdhsa_float_round_mode_32 0
		.amdhsa_float_round_mode_16_64 0
		.amdhsa_float_denorm_mode_32 3
		.amdhsa_float_denorm_mode_16_64 3
		.amdhsa_dx10_clamp 1
		.amdhsa_ieee_mode 1
		.amdhsa_fp16_overflow 0
		.amdhsa_exception_fp_ieee_invalid_op 0
		.amdhsa_exception_fp_denorm_src 0
		.amdhsa_exception_fp_ieee_div_zero 0
		.amdhsa_exception_fp_ieee_overflow 0
		.amdhsa_exception_fp_ieee_underflow 0
		.amdhsa_exception_fp_ieee_inexact 0
		.amdhsa_exception_int_div_zero 0
	.end_amdhsa_kernel
	.section	.text._ZN7rocprim17ROCPRIM_400000_NS6detail17trampoline_kernelINS0_14default_configENS1_22reduce_config_selectorIbEEZNS1_11reduce_implILb1ES3_N6hipcub16HIPCUB_304000_NS22TransformInputIteratorIb7NonZeroIfEPflEEPllNS8_6detail34convert_binary_result_type_wrapperINS8_3SumESD_lEEEE10hipError_tPvRmT1_T2_T3_mT4_P12ihipStream_tbEUlT_E0_NS1_11comp_targetILNS1_3genE10ELNS1_11target_archE1200ELNS1_3gpuE4ELNS1_3repE0EEENS1_30default_config_static_selectorELNS0_4arch9wavefront6targetE1EEEvSM_,"axG",@progbits,_ZN7rocprim17ROCPRIM_400000_NS6detail17trampoline_kernelINS0_14default_configENS1_22reduce_config_selectorIbEEZNS1_11reduce_implILb1ES3_N6hipcub16HIPCUB_304000_NS22TransformInputIteratorIb7NonZeroIfEPflEEPllNS8_6detail34convert_binary_result_type_wrapperINS8_3SumESD_lEEEE10hipError_tPvRmT1_T2_T3_mT4_P12ihipStream_tbEUlT_E0_NS1_11comp_targetILNS1_3genE10ELNS1_11target_archE1200ELNS1_3gpuE4ELNS1_3repE0EEENS1_30default_config_static_selectorELNS0_4arch9wavefront6targetE1EEEvSM_,comdat
.Lfunc_end241:
	.size	_ZN7rocprim17ROCPRIM_400000_NS6detail17trampoline_kernelINS0_14default_configENS1_22reduce_config_selectorIbEEZNS1_11reduce_implILb1ES3_N6hipcub16HIPCUB_304000_NS22TransformInputIteratorIb7NonZeroIfEPflEEPllNS8_6detail34convert_binary_result_type_wrapperINS8_3SumESD_lEEEE10hipError_tPvRmT1_T2_T3_mT4_P12ihipStream_tbEUlT_E0_NS1_11comp_targetILNS1_3genE10ELNS1_11target_archE1200ELNS1_3gpuE4ELNS1_3repE0EEENS1_30default_config_static_selectorELNS0_4arch9wavefront6targetE1EEEvSM_, .Lfunc_end241-_ZN7rocprim17ROCPRIM_400000_NS6detail17trampoline_kernelINS0_14default_configENS1_22reduce_config_selectorIbEEZNS1_11reduce_implILb1ES3_N6hipcub16HIPCUB_304000_NS22TransformInputIteratorIb7NonZeroIfEPflEEPllNS8_6detail34convert_binary_result_type_wrapperINS8_3SumESD_lEEEE10hipError_tPvRmT1_T2_T3_mT4_P12ihipStream_tbEUlT_E0_NS1_11comp_targetILNS1_3genE10ELNS1_11target_archE1200ELNS1_3gpuE4ELNS1_3repE0EEENS1_30default_config_static_selectorELNS0_4arch9wavefront6targetE1EEEvSM_
                                        ; -- End function
	.set _ZN7rocprim17ROCPRIM_400000_NS6detail17trampoline_kernelINS0_14default_configENS1_22reduce_config_selectorIbEEZNS1_11reduce_implILb1ES3_N6hipcub16HIPCUB_304000_NS22TransformInputIteratorIb7NonZeroIfEPflEEPllNS8_6detail34convert_binary_result_type_wrapperINS8_3SumESD_lEEEE10hipError_tPvRmT1_T2_T3_mT4_P12ihipStream_tbEUlT_E0_NS1_11comp_targetILNS1_3genE10ELNS1_11target_archE1200ELNS1_3gpuE4ELNS1_3repE0EEENS1_30default_config_static_selectorELNS0_4arch9wavefront6targetE1EEEvSM_.num_vgpr, 0
	.set _ZN7rocprim17ROCPRIM_400000_NS6detail17trampoline_kernelINS0_14default_configENS1_22reduce_config_selectorIbEEZNS1_11reduce_implILb1ES3_N6hipcub16HIPCUB_304000_NS22TransformInputIteratorIb7NonZeroIfEPflEEPllNS8_6detail34convert_binary_result_type_wrapperINS8_3SumESD_lEEEE10hipError_tPvRmT1_T2_T3_mT4_P12ihipStream_tbEUlT_E0_NS1_11comp_targetILNS1_3genE10ELNS1_11target_archE1200ELNS1_3gpuE4ELNS1_3repE0EEENS1_30default_config_static_selectorELNS0_4arch9wavefront6targetE1EEEvSM_.num_agpr, 0
	.set _ZN7rocprim17ROCPRIM_400000_NS6detail17trampoline_kernelINS0_14default_configENS1_22reduce_config_selectorIbEEZNS1_11reduce_implILb1ES3_N6hipcub16HIPCUB_304000_NS22TransformInputIteratorIb7NonZeroIfEPflEEPllNS8_6detail34convert_binary_result_type_wrapperINS8_3SumESD_lEEEE10hipError_tPvRmT1_T2_T3_mT4_P12ihipStream_tbEUlT_E0_NS1_11comp_targetILNS1_3genE10ELNS1_11target_archE1200ELNS1_3gpuE4ELNS1_3repE0EEENS1_30default_config_static_selectorELNS0_4arch9wavefront6targetE1EEEvSM_.numbered_sgpr, 0
	.set _ZN7rocprim17ROCPRIM_400000_NS6detail17trampoline_kernelINS0_14default_configENS1_22reduce_config_selectorIbEEZNS1_11reduce_implILb1ES3_N6hipcub16HIPCUB_304000_NS22TransformInputIteratorIb7NonZeroIfEPflEEPllNS8_6detail34convert_binary_result_type_wrapperINS8_3SumESD_lEEEE10hipError_tPvRmT1_T2_T3_mT4_P12ihipStream_tbEUlT_E0_NS1_11comp_targetILNS1_3genE10ELNS1_11target_archE1200ELNS1_3gpuE4ELNS1_3repE0EEENS1_30default_config_static_selectorELNS0_4arch9wavefront6targetE1EEEvSM_.num_named_barrier, 0
	.set _ZN7rocprim17ROCPRIM_400000_NS6detail17trampoline_kernelINS0_14default_configENS1_22reduce_config_selectorIbEEZNS1_11reduce_implILb1ES3_N6hipcub16HIPCUB_304000_NS22TransformInputIteratorIb7NonZeroIfEPflEEPllNS8_6detail34convert_binary_result_type_wrapperINS8_3SumESD_lEEEE10hipError_tPvRmT1_T2_T3_mT4_P12ihipStream_tbEUlT_E0_NS1_11comp_targetILNS1_3genE10ELNS1_11target_archE1200ELNS1_3gpuE4ELNS1_3repE0EEENS1_30default_config_static_selectorELNS0_4arch9wavefront6targetE1EEEvSM_.private_seg_size, 0
	.set _ZN7rocprim17ROCPRIM_400000_NS6detail17trampoline_kernelINS0_14default_configENS1_22reduce_config_selectorIbEEZNS1_11reduce_implILb1ES3_N6hipcub16HIPCUB_304000_NS22TransformInputIteratorIb7NonZeroIfEPflEEPllNS8_6detail34convert_binary_result_type_wrapperINS8_3SumESD_lEEEE10hipError_tPvRmT1_T2_T3_mT4_P12ihipStream_tbEUlT_E0_NS1_11comp_targetILNS1_3genE10ELNS1_11target_archE1200ELNS1_3gpuE4ELNS1_3repE0EEENS1_30default_config_static_selectorELNS0_4arch9wavefront6targetE1EEEvSM_.uses_vcc, 0
	.set _ZN7rocprim17ROCPRIM_400000_NS6detail17trampoline_kernelINS0_14default_configENS1_22reduce_config_selectorIbEEZNS1_11reduce_implILb1ES3_N6hipcub16HIPCUB_304000_NS22TransformInputIteratorIb7NonZeroIfEPflEEPllNS8_6detail34convert_binary_result_type_wrapperINS8_3SumESD_lEEEE10hipError_tPvRmT1_T2_T3_mT4_P12ihipStream_tbEUlT_E0_NS1_11comp_targetILNS1_3genE10ELNS1_11target_archE1200ELNS1_3gpuE4ELNS1_3repE0EEENS1_30default_config_static_selectorELNS0_4arch9wavefront6targetE1EEEvSM_.uses_flat_scratch, 0
	.set _ZN7rocprim17ROCPRIM_400000_NS6detail17trampoline_kernelINS0_14default_configENS1_22reduce_config_selectorIbEEZNS1_11reduce_implILb1ES3_N6hipcub16HIPCUB_304000_NS22TransformInputIteratorIb7NonZeroIfEPflEEPllNS8_6detail34convert_binary_result_type_wrapperINS8_3SumESD_lEEEE10hipError_tPvRmT1_T2_T3_mT4_P12ihipStream_tbEUlT_E0_NS1_11comp_targetILNS1_3genE10ELNS1_11target_archE1200ELNS1_3gpuE4ELNS1_3repE0EEENS1_30default_config_static_selectorELNS0_4arch9wavefront6targetE1EEEvSM_.has_dyn_sized_stack, 0
	.set _ZN7rocprim17ROCPRIM_400000_NS6detail17trampoline_kernelINS0_14default_configENS1_22reduce_config_selectorIbEEZNS1_11reduce_implILb1ES3_N6hipcub16HIPCUB_304000_NS22TransformInputIteratorIb7NonZeroIfEPflEEPllNS8_6detail34convert_binary_result_type_wrapperINS8_3SumESD_lEEEE10hipError_tPvRmT1_T2_T3_mT4_P12ihipStream_tbEUlT_E0_NS1_11comp_targetILNS1_3genE10ELNS1_11target_archE1200ELNS1_3gpuE4ELNS1_3repE0EEENS1_30default_config_static_selectorELNS0_4arch9wavefront6targetE1EEEvSM_.has_recursion, 0
	.set _ZN7rocprim17ROCPRIM_400000_NS6detail17trampoline_kernelINS0_14default_configENS1_22reduce_config_selectorIbEEZNS1_11reduce_implILb1ES3_N6hipcub16HIPCUB_304000_NS22TransformInputIteratorIb7NonZeroIfEPflEEPllNS8_6detail34convert_binary_result_type_wrapperINS8_3SumESD_lEEEE10hipError_tPvRmT1_T2_T3_mT4_P12ihipStream_tbEUlT_E0_NS1_11comp_targetILNS1_3genE10ELNS1_11target_archE1200ELNS1_3gpuE4ELNS1_3repE0EEENS1_30default_config_static_selectorELNS0_4arch9wavefront6targetE1EEEvSM_.has_indirect_call, 0
	.section	.AMDGPU.csdata,"",@progbits
; Kernel info:
; codeLenInByte = 0
; TotalNumSgprs: 4
; NumVgprs: 0
; ScratchSize: 0
; MemoryBound: 0
; FloatMode: 240
; IeeeMode: 1
; LDSByteSize: 0 bytes/workgroup (compile time only)
; SGPRBlocks: 0
; VGPRBlocks: 0
; NumSGPRsForWavesPerEU: 4
; NumVGPRsForWavesPerEU: 1
; Occupancy: 10
; WaveLimiterHint : 0
; COMPUTE_PGM_RSRC2:SCRATCH_EN: 0
; COMPUTE_PGM_RSRC2:USER_SGPR: 6
; COMPUTE_PGM_RSRC2:TRAP_HANDLER: 0
; COMPUTE_PGM_RSRC2:TGID_X_EN: 1
; COMPUTE_PGM_RSRC2:TGID_Y_EN: 0
; COMPUTE_PGM_RSRC2:TGID_Z_EN: 0
; COMPUTE_PGM_RSRC2:TIDIG_COMP_CNT: 0
	.section	.text._ZN7rocprim17ROCPRIM_400000_NS6detail17trampoline_kernelINS0_14default_configENS1_22reduce_config_selectorIbEEZNS1_11reduce_implILb1ES3_N6hipcub16HIPCUB_304000_NS22TransformInputIteratorIb7NonZeroIfEPflEEPllNS8_6detail34convert_binary_result_type_wrapperINS8_3SumESD_lEEEE10hipError_tPvRmT1_T2_T3_mT4_P12ihipStream_tbEUlT_E0_NS1_11comp_targetILNS1_3genE9ELNS1_11target_archE1100ELNS1_3gpuE3ELNS1_3repE0EEENS1_30default_config_static_selectorELNS0_4arch9wavefront6targetE1EEEvSM_,"axG",@progbits,_ZN7rocprim17ROCPRIM_400000_NS6detail17trampoline_kernelINS0_14default_configENS1_22reduce_config_selectorIbEEZNS1_11reduce_implILb1ES3_N6hipcub16HIPCUB_304000_NS22TransformInputIteratorIb7NonZeroIfEPflEEPllNS8_6detail34convert_binary_result_type_wrapperINS8_3SumESD_lEEEE10hipError_tPvRmT1_T2_T3_mT4_P12ihipStream_tbEUlT_E0_NS1_11comp_targetILNS1_3genE9ELNS1_11target_archE1100ELNS1_3gpuE3ELNS1_3repE0EEENS1_30default_config_static_selectorELNS0_4arch9wavefront6targetE1EEEvSM_,comdat
	.protected	_ZN7rocprim17ROCPRIM_400000_NS6detail17trampoline_kernelINS0_14default_configENS1_22reduce_config_selectorIbEEZNS1_11reduce_implILb1ES3_N6hipcub16HIPCUB_304000_NS22TransformInputIteratorIb7NonZeroIfEPflEEPllNS8_6detail34convert_binary_result_type_wrapperINS8_3SumESD_lEEEE10hipError_tPvRmT1_T2_T3_mT4_P12ihipStream_tbEUlT_E0_NS1_11comp_targetILNS1_3genE9ELNS1_11target_archE1100ELNS1_3gpuE3ELNS1_3repE0EEENS1_30default_config_static_selectorELNS0_4arch9wavefront6targetE1EEEvSM_ ; -- Begin function _ZN7rocprim17ROCPRIM_400000_NS6detail17trampoline_kernelINS0_14default_configENS1_22reduce_config_selectorIbEEZNS1_11reduce_implILb1ES3_N6hipcub16HIPCUB_304000_NS22TransformInputIteratorIb7NonZeroIfEPflEEPllNS8_6detail34convert_binary_result_type_wrapperINS8_3SumESD_lEEEE10hipError_tPvRmT1_T2_T3_mT4_P12ihipStream_tbEUlT_E0_NS1_11comp_targetILNS1_3genE9ELNS1_11target_archE1100ELNS1_3gpuE3ELNS1_3repE0EEENS1_30default_config_static_selectorELNS0_4arch9wavefront6targetE1EEEvSM_
	.globl	_ZN7rocprim17ROCPRIM_400000_NS6detail17trampoline_kernelINS0_14default_configENS1_22reduce_config_selectorIbEEZNS1_11reduce_implILb1ES3_N6hipcub16HIPCUB_304000_NS22TransformInputIteratorIb7NonZeroIfEPflEEPllNS8_6detail34convert_binary_result_type_wrapperINS8_3SumESD_lEEEE10hipError_tPvRmT1_T2_T3_mT4_P12ihipStream_tbEUlT_E0_NS1_11comp_targetILNS1_3genE9ELNS1_11target_archE1100ELNS1_3gpuE3ELNS1_3repE0EEENS1_30default_config_static_selectorELNS0_4arch9wavefront6targetE1EEEvSM_
	.p2align	8
	.type	_ZN7rocprim17ROCPRIM_400000_NS6detail17trampoline_kernelINS0_14default_configENS1_22reduce_config_selectorIbEEZNS1_11reduce_implILb1ES3_N6hipcub16HIPCUB_304000_NS22TransformInputIteratorIb7NonZeroIfEPflEEPllNS8_6detail34convert_binary_result_type_wrapperINS8_3SumESD_lEEEE10hipError_tPvRmT1_T2_T3_mT4_P12ihipStream_tbEUlT_E0_NS1_11comp_targetILNS1_3genE9ELNS1_11target_archE1100ELNS1_3gpuE3ELNS1_3repE0EEENS1_30default_config_static_selectorELNS0_4arch9wavefront6targetE1EEEvSM_,@function
_ZN7rocprim17ROCPRIM_400000_NS6detail17trampoline_kernelINS0_14default_configENS1_22reduce_config_selectorIbEEZNS1_11reduce_implILb1ES3_N6hipcub16HIPCUB_304000_NS22TransformInputIteratorIb7NonZeroIfEPflEEPllNS8_6detail34convert_binary_result_type_wrapperINS8_3SumESD_lEEEE10hipError_tPvRmT1_T2_T3_mT4_P12ihipStream_tbEUlT_E0_NS1_11comp_targetILNS1_3genE9ELNS1_11target_archE1100ELNS1_3gpuE3ELNS1_3repE0EEENS1_30default_config_static_selectorELNS0_4arch9wavefront6targetE1EEEvSM_: ; @_ZN7rocprim17ROCPRIM_400000_NS6detail17trampoline_kernelINS0_14default_configENS1_22reduce_config_selectorIbEEZNS1_11reduce_implILb1ES3_N6hipcub16HIPCUB_304000_NS22TransformInputIteratorIb7NonZeroIfEPflEEPllNS8_6detail34convert_binary_result_type_wrapperINS8_3SumESD_lEEEE10hipError_tPvRmT1_T2_T3_mT4_P12ihipStream_tbEUlT_E0_NS1_11comp_targetILNS1_3genE9ELNS1_11target_archE1100ELNS1_3gpuE3ELNS1_3repE0EEENS1_30default_config_static_selectorELNS0_4arch9wavefront6targetE1EEEvSM_
; %bb.0:
	.section	.rodata,"a",@progbits
	.p2align	6, 0x0
	.amdhsa_kernel _ZN7rocprim17ROCPRIM_400000_NS6detail17trampoline_kernelINS0_14default_configENS1_22reduce_config_selectorIbEEZNS1_11reduce_implILb1ES3_N6hipcub16HIPCUB_304000_NS22TransformInputIteratorIb7NonZeroIfEPflEEPllNS8_6detail34convert_binary_result_type_wrapperINS8_3SumESD_lEEEE10hipError_tPvRmT1_T2_T3_mT4_P12ihipStream_tbEUlT_E0_NS1_11comp_targetILNS1_3genE9ELNS1_11target_archE1100ELNS1_3gpuE3ELNS1_3repE0EEENS1_30default_config_static_selectorELNS0_4arch9wavefront6targetE1EEEvSM_
		.amdhsa_group_segment_fixed_size 0
		.amdhsa_private_segment_fixed_size 0
		.amdhsa_kernarg_size 72
		.amdhsa_user_sgpr_count 6
		.amdhsa_user_sgpr_private_segment_buffer 1
		.amdhsa_user_sgpr_dispatch_ptr 0
		.amdhsa_user_sgpr_queue_ptr 0
		.amdhsa_user_sgpr_kernarg_segment_ptr 1
		.amdhsa_user_sgpr_dispatch_id 0
		.amdhsa_user_sgpr_flat_scratch_init 0
		.amdhsa_user_sgpr_private_segment_size 0
		.amdhsa_uses_dynamic_stack 0
		.amdhsa_system_sgpr_private_segment_wavefront_offset 0
		.amdhsa_system_sgpr_workgroup_id_x 1
		.amdhsa_system_sgpr_workgroup_id_y 0
		.amdhsa_system_sgpr_workgroup_id_z 0
		.amdhsa_system_sgpr_workgroup_info 0
		.amdhsa_system_vgpr_workitem_id 0
		.amdhsa_next_free_vgpr 1
		.amdhsa_next_free_sgpr 0
		.amdhsa_reserve_vcc 0
		.amdhsa_reserve_flat_scratch 0
		.amdhsa_float_round_mode_32 0
		.amdhsa_float_round_mode_16_64 0
		.amdhsa_float_denorm_mode_32 3
		.amdhsa_float_denorm_mode_16_64 3
		.amdhsa_dx10_clamp 1
		.amdhsa_ieee_mode 1
		.amdhsa_fp16_overflow 0
		.amdhsa_exception_fp_ieee_invalid_op 0
		.amdhsa_exception_fp_denorm_src 0
		.amdhsa_exception_fp_ieee_div_zero 0
		.amdhsa_exception_fp_ieee_overflow 0
		.amdhsa_exception_fp_ieee_underflow 0
		.amdhsa_exception_fp_ieee_inexact 0
		.amdhsa_exception_int_div_zero 0
	.end_amdhsa_kernel
	.section	.text._ZN7rocprim17ROCPRIM_400000_NS6detail17trampoline_kernelINS0_14default_configENS1_22reduce_config_selectorIbEEZNS1_11reduce_implILb1ES3_N6hipcub16HIPCUB_304000_NS22TransformInputIteratorIb7NonZeroIfEPflEEPllNS8_6detail34convert_binary_result_type_wrapperINS8_3SumESD_lEEEE10hipError_tPvRmT1_T2_T3_mT4_P12ihipStream_tbEUlT_E0_NS1_11comp_targetILNS1_3genE9ELNS1_11target_archE1100ELNS1_3gpuE3ELNS1_3repE0EEENS1_30default_config_static_selectorELNS0_4arch9wavefront6targetE1EEEvSM_,"axG",@progbits,_ZN7rocprim17ROCPRIM_400000_NS6detail17trampoline_kernelINS0_14default_configENS1_22reduce_config_selectorIbEEZNS1_11reduce_implILb1ES3_N6hipcub16HIPCUB_304000_NS22TransformInputIteratorIb7NonZeroIfEPflEEPllNS8_6detail34convert_binary_result_type_wrapperINS8_3SumESD_lEEEE10hipError_tPvRmT1_T2_T3_mT4_P12ihipStream_tbEUlT_E0_NS1_11comp_targetILNS1_3genE9ELNS1_11target_archE1100ELNS1_3gpuE3ELNS1_3repE0EEENS1_30default_config_static_selectorELNS0_4arch9wavefront6targetE1EEEvSM_,comdat
.Lfunc_end242:
	.size	_ZN7rocprim17ROCPRIM_400000_NS6detail17trampoline_kernelINS0_14default_configENS1_22reduce_config_selectorIbEEZNS1_11reduce_implILb1ES3_N6hipcub16HIPCUB_304000_NS22TransformInputIteratorIb7NonZeroIfEPflEEPllNS8_6detail34convert_binary_result_type_wrapperINS8_3SumESD_lEEEE10hipError_tPvRmT1_T2_T3_mT4_P12ihipStream_tbEUlT_E0_NS1_11comp_targetILNS1_3genE9ELNS1_11target_archE1100ELNS1_3gpuE3ELNS1_3repE0EEENS1_30default_config_static_selectorELNS0_4arch9wavefront6targetE1EEEvSM_, .Lfunc_end242-_ZN7rocprim17ROCPRIM_400000_NS6detail17trampoline_kernelINS0_14default_configENS1_22reduce_config_selectorIbEEZNS1_11reduce_implILb1ES3_N6hipcub16HIPCUB_304000_NS22TransformInputIteratorIb7NonZeroIfEPflEEPllNS8_6detail34convert_binary_result_type_wrapperINS8_3SumESD_lEEEE10hipError_tPvRmT1_T2_T3_mT4_P12ihipStream_tbEUlT_E0_NS1_11comp_targetILNS1_3genE9ELNS1_11target_archE1100ELNS1_3gpuE3ELNS1_3repE0EEENS1_30default_config_static_selectorELNS0_4arch9wavefront6targetE1EEEvSM_
                                        ; -- End function
	.set _ZN7rocprim17ROCPRIM_400000_NS6detail17trampoline_kernelINS0_14default_configENS1_22reduce_config_selectorIbEEZNS1_11reduce_implILb1ES3_N6hipcub16HIPCUB_304000_NS22TransformInputIteratorIb7NonZeroIfEPflEEPllNS8_6detail34convert_binary_result_type_wrapperINS8_3SumESD_lEEEE10hipError_tPvRmT1_T2_T3_mT4_P12ihipStream_tbEUlT_E0_NS1_11comp_targetILNS1_3genE9ELNS1_11target_archE1100ELNS1_3gpuE3ELNS1_3repE0EEENS1_30default_config_static_selectorELNS0_4arch9wavefront6targetE1EEEvSM_.num_vgpr, 0
	.set _ZN7rocprim17ROCPRIM_400000_NS6detail17trampoline_kernelINS0_14default_configENS1_22reduce_config_selectorIbEEZNS1_11reduce_implILb1ES3_N6hipcub16HIPCUB_304000_NS22TransformInputIteratorIb7NonZeroIfEPflEEPllNS8_6detail34convert_binary_result_type_wrapperINS8_3SumESD_lEEEE10hipError_tPvRmT1_T2_T3_mT4_P12ihipStream_tbEUlT_E0_NS1_11comp_targetILNS1_3genE9ELNS1_11target_archE1100ELNS1_3gpuE3ELNS1_3repE0EEENS1_30default_config_static_selectorELNS0_4arch9wavefront6targetE1EEEvSM_.num_agpr, 0
	.set _ZN7rocprim17ROCPRIM_400000_NS6detail17trampoline_kernelINS0_14default_configENS1_22reduce_config_selectorIbEEZNS1_11reduce_implILb1ES3_N6hipcub16HIPCUB_304000_NS22TransformInputIteratorIb7NonZeroIfEPflEEPllNS8_6detail34convert_binary_result_type_wrapperINS8_3SumESD_lEEEE10hipError_tPvRmT1_T2_T3_mT4_P12ihipStream_tbEUlT_E0_NS1_11comp_targetILNS1_3genE9ELNS1_11target_archE1100ELNS1_3gpuE3ELNS1_3repE0EEENS1_30default_config_static_selectorELNS0_4arch9wavefront6targetE1EEEvSM_.numbered_sgpr, 0
	.set _ZN7rocprim17ROCPRIM_400000_NS6detail17trampoline_kernelINS0_14default_configENS1_22reduce_config_selectorIbEEZNS1_11reduce_implILb1ES3_N6hipcub16HIPCUB_304000_NS22TransformInputIteratorIb7NonZeroIfEPflEEPllNS8_6detail34convert_binary_result_type_wrapperINS8_3SumESD_lEEEE10hipError_tPvRmT1_T2_T3_mT4_P12ihipStream_tbEUlT_E0_NS1_11comp_targetILNS1_3genE9ELNS1_11target_archE1100ELNS1_3gpuE3ELNS1_3repE0EEENS1_30default_config_static_selectorELNS0_4arch9wavefront6targetE1EEEvSM_.num_named_barrier, 0
	.set _ZN7rocprim17ROCPRIM_400000_NS6detail17trampoline_kernelINS0_14default_configENS1_22reduce_config_selectorIbEEZNS1_11reduce_implILb1ES3_N6hipcub16HIPCUB_304000_NS22TransformInputIteratorIb7NonZeroIfEPflEEPllNS8_6detail34convert_binary_result_type_wrapperINS8_3SumESD_lEEEE10hipError_tPvRmT1_T2_T3_mT4_P12ihipStream_tbEUlT_E0_NS1_11comp_targetILNS1_3genE9ELNS1_11target_archE1100ELNS1_3gpuE3ELNS1_3repE0EEENS1_30default_config_static_selectorELNS0_4arch9wavefront6targetE1EEEvSM_.private_seg_size, 0
	.set _ZN7rocprim17ROCPRIM_400000_NS6detail17trampoline_kernelINS0_14default_configENS1_22reduce_config_selectorIbEEZNS1_11reduce_implILb1ES3_N6hipcub16HIPCUB_304000_NS22TransformInputIteratorIb7NonZeroIfEPflEEPllNS8_6detail34convert_binary_result_type_wrapperINS8_3SumESD_lEEEE10hipError_tPvRmT1_T2_T3_mT4_P12ihipStream_tbEUlT_E0_NS1_11comp_targetILNS1_3genE9ELNS1_11target_archE1100ELNS1_3gpuE3ELNS1_3repE0EEENS1_30default_config_static_selectorELNS0_4arch9wavefront6targetE1EEEvSM_.uses_vcc, 0
	.set _ZN7rocprim17ROCPRIM_400000_NS6detail17trampoline_kernelINS0_14default_configENS1_22reduce_config_selectorIbEEZNS1_11reduce_implILb1ES3_N6hipcub16HIPCUB_304000_NS22TransformInputIteratorIb7NonZeroIfEPflEEPllNS8_6detail34convert_binary_result_type_wrapperINS8_3SumESD_lEEEE10hipError_tPvRmT1_T2_T3_mT4_P12ihipStream_tbEUlT_E0_NS1_11comp_targetILNS1_3genE9ELNS1_11target_archE1100ELNS1_3gpuE3ELNS1_3repE0EEENS1_30default_config_static_selectorELNS0_4arch9wavefront6targetE1EEEvSM_.uses_flat_scratch, 0
	.set _ZN7rocprim17ROCPRIM_400000_NS6detail17trampoline_kernelINS0_14default_configENS1_22reduce_config_selectorIbEEZNS1_11reduce_implILb1ES3_N6hipcub16HIPCUB_304000_NS22TransformInputIteratorIb7NonZeroIfEPflEEPllNS8_6detail34convert_binary_result_type_wrapperINS8_3SumESD_lEEEE10hipError_tPvRmT1_T2_T3_mT4_P12ihipStream_tbEUlT_E0_NS1_11comp_targetILNS1_3genE9ELNS1_11target_archE1100ELNS1_3gpuE3ELNS1_3repE0EEENS1_30default_config_static_selectorELNS0_4arch9wavefront6targetE1EEEvSM_.has_dyn_sized_stack, 0
	.set _ZN7rocprim17ROCPRIM_400000_NS6detail17trampoline_kernelINS0_14default_configENS1_22reduce_config_selectorIbEEZNS1_11reduce_implILb1ES3_N6hipcub16HIPCUB_304000_NS22TransformInputIteratorIb7NonZeroIfEPflEEPllNS8_6detail34convert_binary_result_type_wrapperINS8_3SumESD_lEEEE10hipError_tPvRmT1_T2_T3_mT4_P12ihipStream_tbEUlT_E0_NS1_11comp_targetILNS1_3genE9ELNS1_11target_archE1100ELNS1_3gpuE3ELNS1_3repE0EEENS1_30default_config_static_selectorELNS0_4arch9wavefront6targetE1EEEvSM_.has_recursion, 0
	.set _ZN7rocprim17ROCPRIM_400000_NS6detail17trampoline_kernelINS0_14default_configENS1_22reduce_config_selectorIbEEZNS1_11reduce_implILb1ES3_N6hipcub16HIPCUB_304000_NS22TransformInputIteratorIb7NonZeroIfEPflEEPllNS8_6detail34convert_binary_result_type_wrapperINS8_3SumESD_lEEEE10hipError_tPvRmT1_T2_T3_mT4_P12ihipStream_tbEUlT_E0_NS1_11comp_targetILNS1_3genE9ELNS1_11target_archE1100ELNS1_3gpuE3ELNS1_3repE0EEENS1_30default_config_static_selectorELNS0_4arch9wavefront6targetE1EEEvSM_.has_indirect_call, 0
	.section	.AMDGPU.csdata,"",@progbits
; Kernel info:
; codeLenInByte = 0
; TotalNumSgprs: 4
; NumVgprs: 0
; ScratchSize: 0
; MemoryBound: 0
; FloatMode: 240
; IeeeMode: 1
; LDSByteSize: 0 bytes/workgroup (compile time only)
; SGPRBlocks: 0
; VGPRBlocks: 0
; NumSGPRsForWavesPerEU: 4
; NumVGPRsForWavesPerEU: 1
; Occupancy: 10
; WaveLimiterHint : 0
; COMPUTE_PGM_RSRC2:SCRATCH_EN: 0
; COMPUTE_PGM_RSRC2:USER_SGPR: 6
; COMPUTE_PGM_RSRC2:TRAP_HANDLER: 0
; COMPUTE_PGM_RSRC2:TGID_X_EN: 1
; COMPUTE_PGM_RSRC2:TGID_Y_EN: 0
; COMPUTE_PGM_RSRC2:TGID_Z_EN: 0
; COMPUTE_PGM_RSRC2:TIDIG_COMP_CNT: 0
	.section	.text._ZN7rocprim17ROCPRIM_400000_NS6detail17trampoline_kernelINS0_14default_configENS1_22reduce_config_selectorIbEEZNS1_11reduce_implILb1ES3_N6hipcub16HIPCUB_304000_NS22TransformInputIteratorIb7NonZeroIfEPflEEPllNS8_6detail34convert_binary_result_type_wrapperINS8_3SumESD_lEEEE10hipError_tPvRmT1_T2_T3_mT4_P12ihipStream_tbEUlT_E0_NS1_11comp_targetILNS1_3genE8ELNS1_11target_archE1030ELNS1_3gpuE2ELNS1_3repE0EEENS1_30default_config_static_selectorELNS0_4arch9wavefront6targetE1EEEvSM_,"axG",@progbits,_ZN7rocprim17ROCPRIM_400000_NS6detail17trampoline_kernelINS0_14default_configENS1_22reduce_config_selectorIbEEZNS1_11reduce_implILb1ES3_N6hipcub16HIPCUB_304000_NS22TransformInputIteratorIb7NonZeroIfEPflEEPllNS8_6detail34convert_binary_result_type_wrapperINS8_3SumESD_lEEEE10hipError_tPvRmT1_T2_T3_mT4_P12ihipStream_tbEUlT_E0_NS1_11comp_targetILNS1_3genE8ELNS1_11target_archE1030ELNS1_3gpuE2ELNS1_3repE0EEENS1_30default_config_static_selectorELNS0_4arch9wavefront6targetE1EEEvSM_,comdat
	.protected	_ZN7rocprim17ROCPRIM_400000_NS6detail17trampoline_kernelINS0_14default_configENS1_22reduce_config_selectorIbEEZNS1_11reduce_implILb1ES3_N6hipcub16HIPCUB_304000_NS22TransformInputIteratorIb7NonZeroIfEPflEEPllNS8_6detail34convert_binary_result_type_wrapperINS8_3SumESD_lEEEE10hipError_tPvRmT1_T2_T3_mT4_P12ihipStream_tbEUlT_E0_NS1_11comp_targetILNS1_3genE8ELNS1_11target_archE1030ELNS1_3gpuE2ELNS1_3repE0EEENS1_30default_config_static_selectorELNS0_4arch9wavefront6targetE1EEEvSM_ ; -- Begin function _ZN7rocprim17ROCPRIM_400000_NS6detail17trampoline_kernelINS0_14default_configENS1_22reduce_config_selectorIbEEZNS1_11reduce_implILb1ES3_N6hipcub16HIPCUB_304000_NS22TransformInputIteratorIb7NonZeroIfEPflEEPllNS8_6detail34convert_binary_result_type_wrapperINS8_3SumESD_lEEEE10hipError_tPvRmT1_T2_T3_mT4_P12ihipStream_tbEUlT_E0_NS1_11comp_targetILNS1_3genE8ELNS1_11target_archE1030ELNS1_3gpuE2ELNS1_3repE0EEENS1_30default_config_static_selectorELNS0_4arch9wavefront6targetE1EEEvSM_
	.globl	_ZN7rocprim17ROCPRIM_400000_NS6detail17trampoline_kernelINS0_14default_configENS1_22reduce_config_selectorIbEEZNS1_11reduce_implILb1ES3_N6hipcub16HIPCUB_304000_NS22TransformInputIteratorIb7NonZeroIfEPflEEPllNS8_6detail34convert_binary_result_type_wrapperINS8_3SumESD_lEEEE10hipError_tPvRmT1_T2_T3_mT4_P12ihipStream_tbEUlT_E0_NS1_11comp_targetILNS1_3genE8ELNS1_11target_archE1030ELNS1_3gpuE2ELNS1_3repE0EEENS1_30default_config_static_selectorELNS0_4arch9wavefront6targetE1EEEvSM_
	.p2align	8
	.type	_ZN7rocprim17ROCPRIM_400000_NS6detail17trampoline_kernelINS0_14default_configENS1_22reduce_config_selectorIbEEZNS1_11reduce_implILb1ES3_N6hipcub16HIPCUB_304000_NS22TransformInputIteratorIb7NonZeroIfEPflEEPllNS8_6detail34convert_binary_result_type_wrapperINS8_3SumESD_lEEEE10hipError_tPvRmT1_T2_T3_mT4_P12ihipStream_tbEUlT_E0_NS1_11comp_targetILNS1_3genE8ELNS1_11target_archE1030ELNS1_3gpuE2ELNS1_3repE0EEENS1_30default_config_static_selectorELNS0_4arch9wavefront6targetE1EEEvSM_,@function
_ZN7rocprim17ROCPRIM_400000_NS6detail17trampoline_kernelINS0_14default_configENS1_22reduce_config_selectorIbEEZNS1_11reduce_implILb1ES3_N6hipcub16HIPCUB_304000_NS22TransformInputIteratorIb7NonZeroIfEPflEEPllNS8_6detail34convert_binary_result_type_wrapperINS8_3SumESD_lEEEE10hipError_tPvRmT1_T2_T3_mT4_P12ihipStream_tbEUlT_E0_NS1_11comp_targetILNS1_3genE8ELNS1_11target_archE1030ELNS1_3gpuE2ELNS1_3repE0EEENS1_30default_config_static_selectorELNS0_4arch9wavefront6targetE1EEEvSM_: ; @_ZN7rocprim17ROCPRIM_400000_NS6detail17trampoline_kernelINS0_14default_configENS1_22reduce_config_selectorIbEEZNS1_11reduce_implILb1ES3_N6hipcub16HIPCUB_304000_NS22TransformInputIteratorIb7NonZeroIfEPflEEPllNS8_6detail34convert_binary_result_type_wrapperINS8_3SumESD_lEEEE10hipError_tPvRmT1_T2_T3_mT4_P12ihipStream_tbEUlT_E0_NS1_11comp_targetILNS1_3genE8ELNS1_11target_archE1030ELNS1_3gpuE2ELNS1_3repE0EEENS1_30default_config_static_selectorELNS0_4arch9wavefront6targetE1EEEvSM_
; %bb.0:
	.section	.rodata,"a",@progbits
	.p2align	6, 0x0
	.amdhsa_kernel _ZN7rocprim17ROCPRIM_400000_NS6detail17trampoline_kernelINS0_14default_configENS1_22reduce_config_selectorIbEEZNS1_11reduce_implILb1ES3_N6hipcub16HIPCUB_304000_NS22TransformInputIteratorIb7NonZeroIfEPflEEPllNS8_6detail34convert_binary_result_type_wrapperINS8_3SumESD_lEEEE10hipError_tPvRmT1_T2_T3_mT4_P12ihipStream_tbEUlT_E0_NS1_11comp_targetILNS1_3genE8ELNS1_11target_archE1030ELNS1_3gpuE2ELNS1_3repE0EEENS1_30default_config_static_selectorELNS0_4arch9wavefront6targetE1EEEvSM_
		.amdhsa_group_segment_fixed_size 0
		.amdhsa_private_segment_fixed_size 0
		.amdhsa_kernarg_size 72
		.amdhsa_user_sgpr_count 6
		.amdhsa_user_sgpr_private_segment_buffer 1
		.amdhsa_user_sgpr_dispatch_ptr 0
		.amdhsa_user_sgpr_queue_ptr 0
		.amdhsa_user_sgpr_kernarg_segment_ptr 1
		.amdhsa_user_sgpr_dispatch_id 0
		.amdhsa_user_sgpr_flat_scratch_init 0
		.amdhsa_user_sgpr_private_segment_size 0
		.amdhsa_uses_dynamic_stack 0
		.amdhsa_system_sgpr_private_segment_wavefront_offset 0
		.amdhsa_system_sgpr_workgroup_id_x 1
		.amdhsa_system_sgpr_workgroup_id_y 0
		.amdhsa_system_sgpr_workgroup_id_z 0
		.amdhsa_system_sgpr_workgroup_info 0
		.amdhsa_system_vgpr_workitem_id 0
		.amdhsa_next_free_vgpr 1
		.amdhsa_next_free_sgpr 0
		.amdhsa_reserve_vcc 0
		.amdhsa_reserve_flat_scratch 0
		.amdhsa_float_round_mode_32 0
		.amdhsa_float_round_mode_16_64 0
		.amdhsa_float_denorm_mode_32 3
		.amdhsa_float_denorm_mode_16_64 3
		.amdhsa_dx10_clamp 1
		.amdhsa_ieee_mode 1
		.amdhsa_fp16_overflow 0
		.amdhsa_exception_fp_ieee_invalid_op 0
		.amdhsa_exception_fp_denorm_src 0
		.amdhsa_exception_fp_ieee_div_zero 0
		.amdhsa_exception_fp_ieee_overflow 0
		.amdhsa_exception_fp_ieee_underflow 0
		.amdhsa_exception_fp_ieee_inexact 0
		.amdhsa_exception_int_div_zero 0
	.end_amdhsa_kernel
	.section	.text._ZN7rocprim17ROCPRIM_400000_NS6detail17trampoline_kernelINS0_14default_configENS1_22reduce_config_selectorIbEEZNS1_11reduce_implILb1ES3_N6hipcub16HIPCUB_304000_NS22TransformInputIteratorIb7NonZeroIfEPflEEPllNS8_6detail34convert_binary_result_type_wrapperINS8_3SumESD_lEEEE10hipError_tPvRmT1_T2_T3_mT4_P12ihipStream_tbEUlT_E0_NS1_11comp_targetILNS1_3genE8ELNS1_11target_archE1030ELNS1_3gpuE2ELNS1_3repE0EEENS1_30default_config_static_selectorELNS0_4arch9wavefront6targetE1EEEvSM_,"axG",@progbits,_ZN7rocprim17ROCPRIM_400000_NS6detail17trampoline_kernelINS0_14default_configENS1_22reduce_config_selectorIbEEZNS1_11reduce_implILb1ES3_N6hipcub16HIPCUB_304000_NS22TransformInputIteratorIb7NonZeroIfEPflEEPllNS8_6detail34convert_binary_result_type_wrapperINS8_3SumESD_lEEEE10hipError_tPvRmT1_T2_T3_mT4_P12ihipStream_tbEUlT_E0_NS1_11comp_targetILNS1_3genE8ELNS1_11target_archE1030ELNS1_3gpuE2ELNS1_3repE0EEENS1_30default_config_static_selectorELNS0_4arch9wavefront6targetE1EEEvSM_,comdat
.Lfunc_end243:
	.size	_ZN7rocprim17ROCPRIM_400000_NS6detail17trampoline_kernelINS0_14default_configENS1_22reduce_config_selectorIbEEZNS1_11reduce_implILb1ES3_N6hipcub16HIPCUB_304000_NS22TransformInputIteratorIb7NonZeroIfEPflEEPllNS8_6detail34convert_binary_result_type_wrapperINS8_3SumESD_lEEEE10hipError_tPvRmT1_T2_T3_mT4_P12ihipStream_tbEUlT_E0_NS1_11comp_targetILNS1_3genE8ELNS1_11target_archE1030ELNS1_3gpuE2ELNS1_3repE0EEENS1_30default_config_static_selectorELNS0_4arch9wavefront6targetE1EEEvSM_, .Lfunc_end243-_ZN7rocprim17ROCPRIM_400000_NS6detail17trampoline_kernelINS0_14default_configENS1_22reduce_config_selectorIbEEZNS1_11reduce_implILb1ES3_N6hipcub16HIPCUB_304000_NS22TransformInputIteratorIb7NonZeroIfEPflEEPllNS8_6detail34convert_binary_result_type_wrapperINS8_3SumESD_lEEEE10hipError_tPvRmT1_T2_T3_mT4_P12ihipStream_tbEUlT_E0_NS1_11comp_targetILNS1_3genE8ELNS1_11target_archE1030ELNS1_3gpuE2ELNS1_3repE0EEENS1_30default_config_static_selectorELNS0_4arch9wavefront6targetE1EEEvSM_
                                        ; -- End function
	.set _ZN7rocprim17ROCPRIM_400000_NS6detail17trampoline_kernelINS0_14default_configENS1_22reduce_config_selectorIbEEZNS1_11reduce_implILb1ES3_N6hipcub16HIPCUB_304000_NS22TransformInputIteratorIb7NonZeroIfEPflEEPllNS8_6detail34convert_binary_result_type_wrapperINS8_3SumESD_lEEEE10hipError_tPvRmT1_T2_T3_mT4_P12ihipStream_tbEUlT_E0_NS1_11comp_targetILNS1_3genE8ELNS1_11target_archE1030ELNS1_3gpuE2ELNS1_3repE0EEENS1_30default_config_static_selectorELNS0_4arch9wavefront6targetE1EEEvSM_.num_vgpr, 0
	.set _ZN7rocprim17ROCPRIM_400000_NS6detail17trampoline_kernelINS0_14default_configENS1_22reduce_config_selectorIbEEZNS1_11reduce_implILb1ES3_N6hipcub16HIPCUB_304000_NS22TransformInputIteratorIb7NonZeroIfEPflEEPllNS8_6detail34convert_binary_result_type_wrapperINS8_3SumESD_lEEEE10hipError_tPvRmT1_T2_T3_mT4_P12ihipStream_tbEUlT_E0_NS1_11comp_targetILNS1_3genE8ELNS1_11target_archE1030ELNS1_3gpuE2ELNS1_3repE0EEENS1_30default_config_static_selectorELNS0_4arch9wavefront6targetE1EEEvSM_.num_agpr, 0
	.set _ZN7rocprim17ROCPRIM_400000_NS6detail17trampoline_kernelINS0_14default_configENS1_22reduce_config_selectorIbEEZNS1_11reduce_implILb1ES3_N6hipcub16HIPCUB_304000_NS22TransformInputIteratorIb7NonZeroIfEPflEEPllNS8_6detail34convert_binary_result_type_wrapperINS8_3SumESD_lEEEE10hipError_tPvRmT1_T2_T3_mT4_P12ihipStream_tbEUlT_E0_NS1_11comp_targetILNS1_3genE8ELNS1_11target_archE1030ELNS1_3gpuE2ELNS1_3repE0EEENS1_30default_config_static_selectorELNS0_4arch9wavefront6targetE1EEEvSM_.numbered_sgpr, 0
	.set _ZN7rocprim17ROCPRIM_400000_NS6detail17trampoline_kernelINS0_14default_configENS1_22reduce_config_selectorIbEEZNS1_11reduce_implILb1ES3_N6hipcub16HIPCUB_304000_NS22TransformInputIteratorIb7NonZeroIfEPflEEPllNS8_6detail34convert_binary_result_type_wrapperINS8_3SumESD_lEEEE10hipError_tPvRmT1_T2_T3_mT4_P12ihipStream_tbEUlT_E0_NS1_11comp_targetILNS1_3genE8ELNS1_11target_archE1030ELNS1_3gpuE2ELNS1_3repE0EEENS1_30default_config_static_selectorELNS0_4arch9wavefront6targetE1EEEvSM_.num_named_barrier, 0
	.set _ZN7rocprim17ROCPRIM_400000_NS6detail17trampoline_kernelINS0_14default_configENS1_22reduce_config_selectorIbEEZNS1_11reduce_implILb1ES3_N6hipcub16HIPCUB_304000_NS22TransformInputIteratorIb7NonZeroIfEPflEEPllNS8_6detail34convert_binary_result_type_wrapperINS8_3SumESD_lEEEE10hipError_tPvRmT1_T2_T3_mT4_P12ihipStream_tbEUlT_E0_NS1_11comp_targetILNS1_3genE8ELNS1_11target_archE1030ELNS1_3gpuE2ELNS1_3repE0EEENS1_30default_config_static_selectorELNS0_4arch9wavefront6targetE1EEEvSM_.private_seg_size, 0
	.set _ZN7rocprim17ROCPRIM_400000_NS6detail17trampoline_kernelINS0_14default_configENS1_22reduce_config_selectorIbEEZNS1_11reduce_implILb1ES3_N6hipcub16HIPCUB_304000_NS22TransformInputIteratorIb7NonZeroIfEPflEEPllNS8_6detail34convert_binary_result_type_wrapperINS8_3SumESD_lEEEE10hipError_tPvRmT1_T2_T3_mT4_P12ihipStream_tbEUlT_E0_NS1_11comp_targetILNS1_3genE8ELNS1_11target_archE1030ELNS1_3gpuE2ELNS1_3repE0EEENS1_30default_config_static_selectorELNS0_4arch9wavefront6targetE1EEEvSM_.uses_vcc, 0
	.set _ZN7rocprim17ROCPRIM_400000_NS6detail17trampoline_kernelINS0_14default_configENS1_22reduce_config_selectorIbEEZNS1_11reduce_implILb1ES3_N6hipcub16HIPCUB_304000_NS22TransformInputIteratorIb7NonZeroIfEPflEEPllNS8_6detail34convert_binary_result_type_wrapperINS8_3SumESD_lEEEE10hipError_tPvRmT1_T2_T3_mT4_P12ihipStream_tbEUlT_E0_NS1_11comp_targetILNS1_3genE8ELNS1_11target_archE1030ELNS1_3gpuE2ELNS1_3repE0EEENS1_30default_config_static_selectorELNS0_4arch9wavefront6targetE1EEEvSM_.uses_flat_scratch, 0
	.set _ZN7rocprim17ROCPRIM_400000_NS6detail17trampoline_kernelINS0_14default_configENS1_22reduce_config_selectorIbEEZNS1_11reduce_implILb1ES3_N6hipcub16HIPCUB_304000_NS22TransformInputIteratorIb7NonZeroIfEPflEEPllNS8_6detail34convert_binary_result_type_wrapperINS8_3SumESD_lEEEE10hipError_tPvRmT1_T2_T3_mT4_P12ihipStream_tbEUlT_E0_NS1_11comp_targetILNS1_3genE8ELNS1_11target_archE1030ELNS1_3gpuE2ELNS1_3repE0EEENS1_30default_config_static_selectorELNS0_4arch9wavefront6targetE1EEEvSM_.has_dyn_sized_stack, 0
	.set _ZN7rocprim17ROCPRIM_400000_NS6detail17trampoline_kernelINS0_14default_configENS1_22reduce_config_selectorIbEEZNS1_11reduce_implILb1ES3_N6hipcub16HIPCUB_304000_NS22TransformInputIteratorIb7NonZeroIfEPflEEPllNS8_6detail34convert_binary_result_type_wrapperINS8_3SumESD_lEEEE10hipError_tPvRmT1_T2_T3_mT4_P12ihipStream_tbEUlT_E0_NS1_11comp_targetILNS1_3genE8ELNS1_11target_archE1030ELNS1_3gpuE2ELNS1_3repE0EEENS1_30default_config_static_selectorELNS0_4arch9wavefront6targetE1EEEvSM_.has_recursion, 0
	.set _ZN7rocprim17ROCPRIM_400000_NS6detail17trampoline_kernelINS0_14default_configENS1_22reduce_config_selectorIbEEZNS1_11reduce_implILb1ES3_N6hipcub16HIPCUB_304000_NS22TransformInputIteratorIb7NonZeroIfEPflEEPllNS8_6detail34convert_binary_result_type_wrapperINS8_3SumESD_lEEEE10hipError_tPvRmT1_T2_T3_mT4_P12ihipStream_tbEUlT_E0_NS1_11comp_targetILNS1_3genE8ELNS1_11target_archE1030ELNS1_3gpuE2ELNS1_3repE0EEENS1_30default_config_static_selectorELNS0_4arch9wavefront6targetE1EEEvSM_.has_indirect_call, 0
	.section	.AMDGPU.csdata,"",@progbits
; Kernel info:
; codeLenInByte = 0
; TotalNumSgprs: 4
; NumVgprs: 0
; ScratchSize: 0
; MemoryBound: 0
; FloatMode: 240
; IeeeMode: 1
; LDSByteSize: 0 bytes/workgroup (compile time only)
; SGPRBlocks: 0
; VGPRBlocks: 0
; NumSGPRsForWavesPerEU: 4
; NumVGPRsForWavesPerEU: 1
; Occupancy: 10
; WaveLimiterHint : 0
; COMPUTE_PGM_RSRC2:SCRATCH_EN: 0
; COMPUTE_PGM_RSRC2:USER_SGPR: 6
; COMPUTE_PGM_RSRC2:TRAP_HANDLER: 0
; COMPUTE_PGM_RSRC2:TGID_X_EN: 1
; COMPUTE_PGM_RSRC2:TGID_Y_EN: 0
; COMPUTE_PGM_RSRC2:TGID_Z_EN: 0
; COMPUTE_PGM_RSRC2:TIDIG_COMP_CNT: 0
	.section	.text._ZN7rocprim17ROCPRIM_400000_NS6detail17trampoline_kernelINS0_14default_configENS1_22reduce_config_selectorIbEEZNS1_11reduce_implILb1ES3_N6hipcub16HIPCUB_304000_NS22TransformInputIteratorIb7NonZeroIfEPflEEPllNS8_6detail34convert_binary_result_type_wrapperINS8_3SumESD_lEEEE10hipError_tPvRmT1_T2_T3_mT4_P12ihipStream_tbEUlT_E1_NS1_11comp_targetILNS1_3genE0ELNS1_11target_archE4294967295ELNS1_3gpuE0ELNS1_3repE0EEENS1_30default_config_static_selectorELNS0_4arch9wavefront6targetE1EEEvSM_,"axG",@progbits,_ZN7rocprim17ROCPRIM_400000_NS6detail17trampoline_kernelINS0_14default_configENS1_22reduce_config_selectorIbEEZNS1_11reduce_implILb1ES3_N6hipcub16HIPCUB_304000_NS22TransformInputIteratorIb7NonZeroIfEPflEEPllNS8_6detail34convert_binary_result_type_wrapperINS8_3SumESD_lEEEE10hipError_tPvRmT1_T2_T3_mT4_P12ihipStream_tbEUlT_E1_NS1_11comp_targetILNS1_3genE0ELNS1_11target_archE4294967295ELNS1_3gpuE0ELNS1_3repE0EEENS1_30default_config_static_selectorELNS0_4arch9wavefront6targetE1EEEvSM_,comdat
	.protected	_ZN7rocprim17ROCPRIM_400000_NS6detail17trampoline_kernelINS0_14default_configENS1_22reduce_config_selectorIbEEZNS1_11reduce_implILb1ES3_N6hipcub16HIPCUB_304000_NS22TransformInputIteratorIb7NonZeroIfEPflEEPllNS8_6detail34convert_binary_result_type_wrapperINS8_3SumESD_lEEEE10hipError_tPvRmT1_T2_T3_mT4_P12ihipStream_tbEUlT_E1_NS1_11comp_targetILNS1_3genE0ELNS1_11target_archE4294967295ELNS1_3gpuE0ELNS1_3repE0EEENS1_30default_config_static_selectorELNS0_4arch9wavefront6targetE1EEEvSM_ ; -- Begin function _ZN7rocprim17ROCPRIM_400000_NS6detail17trampoline_kernelINS0_14default_configENS1_22reduce_config_selectorIbEEZNS1_11reduce_implILb1ES3_N6hipcub16HIPCUB_304000_NS22TransformInputIteratorIb7NonZeroIfEPflEEPllNS8_6detail34convert_binary_result_type_wrapperINS8_3SumESD_lEEEE10hipError_tPvRmT1_T2_T3_mT4_P12ihipStream_tbEUlT_E1_NS1_11comp_targetILNS1_3genE0ELNS1_11target_archE4294967295ELNS1_3gpuE0ELNS1_3repE0EEENS1_30default_config_static_selectorELNS0_4arch9wavefront6targetE1EEEvSM_
	.globl	_ZN7rocprim17ROCPRIM_400000_NS6detail17trampoline_kernelINS0_14default_configENS1_22reduce_config_selectorIbEEZNS1_11reduce_implILb1ES3_N6hipcub16HIPCUB_304000_NS22TransformInputIteratorIb7NonZeroIfEPflEEPllNS8_6detail34convert_binary_result_type_wrapperINS8_3SumESD_lEEEE10hipError_tPvRmT1_T2_T3_mT4_P12ihipStream_tbEUlT_E1_NS1_11comp_targetILNS1_3genE0ELNS1_11target_archE4294967295ELNS1_3gpuE0ELNS1_3repE0EEENS1_30default_config_static_selectorELNS0_4arch9wavefront6targetE1EEEvSM_
	.p2align	8
	.type	_ZN7rocprim17ROCPRIM_400000_NS6detail17trampoline_kernelINS0_14default_configENS1_22reduce_config_selectorIbEEZNS1_11reduce_implILb1ES3_N6hipcub16HIPCUB_304000_NS22TransformInputIteratorIb7NonZeroIfEPflEEPllNS8_6detail34convert_binary_result_type_wrapperINS8_3SumESD_lEEEE10hipError_tPvRmT1_T2_T3_mT4_P12ihipStream_tbEUlT_E1_NS1_11comp_targetILNS1_3genE0ELNS1_11target_archE4294967295ELNS1_3gpuE0ELNS1_3repE0EEENS1_30default_config_static_selectorELNS0_4arch9wavefront6targetE1EEEvSM_,@function
_ZN7rocprim17ROCPRIM_400000_NS6detail17trampoline_kernelINS0_14default_configENS1_22reduce_config_selectorIbEEZNS1_11reduce_implILb1ES3_N6hipcub16HIPCUB_304000_NS22TransformInputIteratorIb7NonZeroIfEPflEEPllNS8_6detail34convert_binary_result_type_wrapperINS8_3SumESD_lEEEE10hipError_tPvRmT1_T2_T3_mT4_P12ihipStream_tbEUlT_E1_NS1_11comp_targetILNS1_3genE0ELNS1_11target_archE4294967295ELNS1_3gpuE0ELNS1_3repE0EEENS1_30default_config_static_selectorELNS0_4arch9wavefront6targetE1EEEvSM_: ; @_ZN7rocprim17ROCPRIM_400000_NS6detail17trampoline_kernelINS0_14default_configENS1_22reduce_config_selectorIbEEZNS1_11reduce_implILb1ES3_N6hipcub16HIPCUB_304000_NS22TransformInputIteratorIb7NonZeroIfEPflEEPllNS8_6detail34convert_binary_result_type_wrapperINS8_3SumESD_lEEEE10hipError_tPvRmT1_T2_T3_mT4_P12ihipStream_tbEUlT_E1_NS1_11comp_targetILNS1_3genE0ELNS1_11target_archE4294967295ELNS1_3gpuE0ELNS1_3repE0EEENS1_30default_config_static_selectorELNS0_4arch9wavefront6targetE1EEEvSM_
; %bb.0:
	.section	.rodata,"a",@progbits
	.p2align	6, 0x0
	.amdhsa_kernel _ZN7rocprim17ROCPRIM_400000_NS6detail17trampoline_kernelINS0_14default_configENS1_22reduce_config_selectorIbEEZNS1_11reduce_implILb1ES3_N6hipcub16HIPCUB_304000_NS22TransformInputIteratorIb7NonZeroIfEPflEEPllNS8_6detail34convert_binary_result_type_wrapperINS8_3SumESD_lEEEE10hipError_tPvRmT1_T2_T3_mT4_P12ihipStream_tbEUlT_E1_NS1_11comp_targetILNS1_3genE0ELNS1_11target_archE4294967295ELNS1_3gpuE0ELNS1_3repE0EEENS1_30default_config_static_selectorELNS0_4arch9wavefront6targetE1EEEvSM_
		.amdhsa_group_segment_fixed_size 0
		.amdhsa_private_segment_fixed_size 0
		.amdhsa_kernarg_size 56
		.amdhsa_user_sgpr_count 6
		.amdhsa_user_sgpr_private_segment_buffer 1
		.amdhsa_user_sgpr_dispatch_ptr 0
		.amdhsa_user_sgpr_queue_ptr 0
		.amdhsa_user_sgpr_kernarg_segment_ptr 1
		.amdhsa_user_sgpr_dispatch_id 0
		.amdhsa_user_sgpr_flat_scratch_init 0
		.amdhsa_user_sgpr_private_segment_size 0
		.amdhsa_uses_dynamic_stack 0
		.amdhsa_system_sgpr_private_segment_wavefront_offset 0
		.amdhsa_system_sgpr_workgroup_id_x 1
		.amdhsa_system_sgpr_workgroup_id_y 0
		.amdhsa_system_sgpr_workgroup_id_z 0
		.amdhsa_system_sgpr_workgroup_info 0
		.amdhsa_system_vgpr_workitem_id 0
		.amdhsa_next_free_vgpr 1
		.amdhsa_next_free_sgpr 0
		.amdhsa_reserve_vcc 0
		.amdhsa_reserve_flat_scratch 0
		.amdhsa_float_round_mode_32 0
		.amdhsa_float_round_mode_16_64 0
		.amdhsa_float_denorm_mode_32 3
		.amdhsa_float_denorm_mode_16_64 3
		.amdhsa_dx10_clamp 1
		.amdhsa_ieee_mode 1
		.amdhsa_fp16_overflow 0
		.amdhsa_exception_fp_ieee_invalid_op 0
		.amdhsa_exception_fp_denorm_src 0
		.amdhsa_exception_fp_ieee_div_zero 0
		.amdhsa_exception_fp_ieee_overflow 0
		.amdhsa_exception_fp_ieee_underflow 0
		.amdhsa_exception_fp_ieee_inexact 0
		.amdhsa_exception_int_div_zero 0
	.end_amdhsa_kernel
	.section	.text._ZN7rocprim17ROCPRIM_400000_NS6detail17trampoline_kernelINS0_14default_configENS1_22reduce_config_selectorIbEEZNS1_11reduce_implILb1ES3_N6hipcub16HIPCUB_304000_NS22TransformInputIteratorIb7NonZeroIfEPflEEPllNS8_6detail34convert_binary_result_type_wrapperINS8_3SumESD_lEEEE10hipError_tPvRmT1_T2_T3_mT4_P12ihipStream_tbEUlT_E1_NS1_11comp_targetILNS1_3genE0ELNS1_11target_archE4294967295ELNS1_3gpuE0ELNS1_3repE0EEENS1_30default_config_static_selectorELNS0_4arch9wavefront6targetE1EEEvSM_,"axG",@progbits,_ZN7rocprim17ROCPRIM_400000_NS6detail17trampoline_kernelINS0_14default_configENS1_22reduce_config_selectorIbEEZNS1_11reduce_implILb1ES3_N6hipcub16HIPCUB_304000_NS22TransformInputIteratorIb7NonZeroIfEPflEEPllNS8_6detail34convert_binary_result_type_wrapperINS8_3SumESD_lEEEE10hipError_tPvRmT1_T2_T3_mT4_P12ihipStream_tbEUlT_E1_NS1_11comp_targetILNS1_3genE0ELNS1_11target_archE4294967295ELNS1_3gpuE0ELNS1_3repE0EEENS1_30default_config_static_selectorELNS0_4arch9wavefront6targetE1EEEvSM_,comdat
.Lfunc_end244:
	.size	_ZN7rocprim17ROCPRIM_400000_NS6detail17trampoline_kernelINS0_14default_configENS1_22reduce_config_selectorIbEEZNS1_11reduce_implILb1ES3_N6hipcub16HIPCUB_304000_NS22TransformInputIteratorIb7NonZeroIfEPflEEPllNS8_6detail34convert_binary_result_type_wrapperINS8_3SumESD_lEEEE10hipError_tPvRmT1_T2_T3_mT4_P12ihipStream_tbEUlT_E1_NS1_11comp_targetILNS1_3genE0ELNS1_11target_archE4294967295ELNS1_3gpuE0ELNS1_3repE0EEENS1_30default_config_static_selectorELNS0_4arch9wavefront6targetE1EEEvSM_, .Lfunc_end244-_ZN7rocprim17ROCPRIM_400000_NS6detail17trampoline_kernelINS0_14default_configENS1_22reduce_config_selectorIbEEZNS1_11reduce_implILb1ES3_N6hipcub16HIPCUB_304000_NS22TransformInputIteratorIb7NonZeroIfEPflEEPllNS8_6detail34convert_binary_result_type_wrapperINS8_3SumESD_lEEEE10hipError_tPvRmT1_T2_T3_mT4_P12ihipStream_tbEUlT_E1_NS1_11comp_targetILNS1_3genE0ELNS1_11target_archE4294967295ELNS1_3gpuE0ELNS1_3repE0EEENS1_30default_config_static_selectorELNS0_4arch9wavefront6targetE1EEEvSM_
                                        ; -- End function
	.set _ZN7rocprim17ROCPRIM_400000_NS6detail17trampoline_kernelINS0_14default_configENS1_22reduce_config_selectorIbEEZNS1_11reduce_implILb1ES3_N6hipcub16HIPCUB_304000_NS22TransformInputIteratorIb7NonZeroIfEPflEEPllNS8_6detail34convert_binary_result_type_wrapperINS8_3SumESD_lEEEE10hipError_tPvRmT1_T2_T3_mT4_P12ihipStream_tbEUlT_E1_NS1_11comp_targetILNS1_3genE0ELNS1_11target_archE4294967295ELNS1_3gpuE0ELNS1_3repE0EEENS1_30default_config_static_selectorELNS0_4arch9wavefront6targetE1EEEvSM_.num_vgpr, 0
	.set _ZN7rocprim17ROCPRIM_400000_NS6detail17trampoline_kernelINS0_14default_configENS1_22reduce_config_selectorIbEEZNS1_11reduce_implILb1ES3_N6hipcub16HIPCUB_304000_NS22TransformInputIteratorIb7NonZeroIfEPflEEPllNS8_6detail34convert_binary_result_type_wrapperINS8_3SumESD_lEEEE10hipError_tPvRmT1_T2_T3_mT4_P12ihipStream_tbEUlT_E1_NS1_11comp_targetILNS1_3genE0ELNS1_11target_archE4294967295ELNS1_3gpuE0ELNS1_3repE0EEENS1_30default_config_static_selectorELNS0_4arch9wavefront6targetE1EEEvSM_.num_agpr, 0
	.set _ZN7rocprim17ROCPRIM_400000_NS6detail17trampoline_kernelINS0_14default_configENS1_22reduce_config_selectorIbEEZNS1_11reduce_implILb1ES3_N6hipcub16HIPCUB_304000_NS22TransformInputIteratorIb7NonZeroIfEPflEEPllNS8_6detail34convert_binary_result_type_wrapperINS8_3SumESD_lEEEE10hipError_tPvRmT1_T2_T3_mT4_P12ihipStream_tbEUlT_E1_NS1_11comp_targetILNS1_3genE0ELNS1_11target_archE4294967295ELNS1_3gpuE0ELNS1_3repE0EEENS1_30default_config_static_selectorELNS0_4arch9wavefront6targetE1EEEvSM_.numbered_sgpr, 0
	.set _ZN7rocprim17ROCPRIM_400000_NS6detail17trampoline_kernelINS0_14default_configENS1_22reduce_config_selectorIbEEZNS1_11reduce_implILb1ES3_N6hipcub16HIPCUB_304000_NS22TransformInputIteratorIb7NonZeroIfEPflEEPllNS8_6detail34convert_binary_result_type_wrapperINS8_3SumESD_lEEEE10hipError_tPvRmT1_T2_T3_mT4_P12ihipStream_tbEUlT_E1_NS1_11comp_targetILNS1_3genE0ELNS1_11target_archE4294967295ELNS1_3gpuE0ELNS1_3repE0EEENS1_30default_config_static_selectorELNS0_4arch9wavefront6targetE1EEEvSM_.num_named_barrier, 0
	.set _ZN7rocprim17ROCPRIM_400000_NS6detail17trampoline_kernelINS0_14default_configENS1_22reduce_config_selectorIbEEZNS1_11reduce_implILb1ES3_N6hipcub16HIPCUB_304000_NS22TransformInputIteratorIb7NonZeroIfEPflEEPllNS8_6detail34convert_binary_result_type_wrapperINS8_3SumESD_lEEEE10hipError_tPvRmT1_T2_T3_mT4_P12ihipStream_tbEUlT_E1_NS1_11comp_targetILNS1_3genE0ELNS1_11target_archE4294967295ELNS1_3gpuE0ELNS1_3repE0EEENS1_30default_config_static_selectorELNS0_4arch9wavefront6targetE1EEEvSM_.private_seg_size, 0
	.set _ZN7rocprim17ROCPRIM_400000_NS6detail17trampoline_kernelINS0_14default_configENS1_22reduce_config_selectorIbEEZNS1_11reduce_implILb1ES3_N6hipcub16HIPCUB_304000_NS22TransformInputIteratorIb7NonZeroIfEPflEEPllNS8_6detail34convert_binary_result_type_wrapperINS8_3SumESD_lEEEE10hipError_tPvRmT1_T2_T3_mT4_P12ihipStream_tbEUlT_E1_NS1_11comp_targetILNS1_3genE0ELNS1_11target_archE4294967295ELNS1_3gpuE0ELNS1_3repE0EEENS1_30default_config_static_selectorELNS0_4arch9wavefront6targetE1EEEvSM_.uses_vcc, 0
	.set _ZN7rocprim17ROCPRIM_400000_NS6detail17trampoline_kernelINS0_14default_configENS1_22reduce_config_selectorIbEEZNS1_11reduce_implILb1ES3_N6hipcub16HIPCUB_304000_NS22TransformInputIteratorIb7NonZeroIfEPflEEPllNS8_6detail34convert_binary_result_type_wrapperINS8_3SumESD_lEEEE10hipError_tPvRmT1_T2_T3_mT4_P12ihipStream_tbEUlT_E1_NS1_11comp_targetILNS1_3genE0ELNS1_11target_archE4294967295ELNS1_3gpuE0ELNS1_3repE0EEENS1_30default_config_static_selectorELNS0_4arch9wavefront6targetE1EEEvSM_.uses_flat_scratch, 0
	.set _ZN7rocprim17ROCPRIM_400000_NS6detail17trampoline_kernelINS0_14default_configENS1_22reduce_config_selectorIbEEZNS1_11reduce_implILb1ES3_N6hipcub16HIPCUB_304000_NS22TransformInputIteratorIb7NonZeroIfEPflEEPllNS8_6detail34convert_binary_result_type_wrapperINS8_3SumESD_lEEEE10hipError_tPvRmT1_T2_T3_mT4_P12ihipStream_tbEUlT_E1_NS1_11comp_targetILNS1_3genE0ELNS1_11target_archE4294967295ELNS1_3gpuE0ELNS1_3repE0EEENS1_30default_config_static_selectorELNS0_4arch9wavefront6targetE1EEEvSM_.has_dyn_sized_stack, 0
	.set _ZN7rocprim17ROCPRIM_400000_NS6detail17trampoline_kernelINS0_14default_configENS1_22reduce_config_selectorIbEEZNS1_11reduce_implILb1ES3_N6hipcub16HIPCUB_304000_NS22TransformInputIteratorIb7NonZeroIfEPflEEPllNS8_6detail34convert_binary_result_type_wrapperINS8_3SumESD_lEEEE10hipError_tPvRmT1_T2_T3_mT4_P12ihipStream_tbEUlT_E1_NS1_11comp_targetILNS1_3genE0ELNS1_11target_archE4294967295ELNS1_3gpuE0ELNS1_3repE0EEENS1_30default_config_static_selectorELNS0_4arch9wavefront6targetE1EEEvSM_.has_recursion, 0
	.set _ZN7rocprim17ROCPRIM_400000_NS6detail17trampoline_kernelINS0_14default_configENS1_22reduce_config_selectorIbEEZNS1_11reduce_implILb1ES3_N6hipcub16HIPCUB_304000_NS22TransformInputIteratorIb7NonZeroIfEPflEEPllNS8_6detail34convert_binary_result_type_wrapperINS8_3SumESD_lEEEE10hipError_tPvRmT1_T2_T3_mT4_P12ihipStream_tbEUlT_E1_NS1_11comp_targetILNS1_3genE0ELNS1_11target_archE4294967295ELNS1_3gpuE0ELNS1_3repE0EEENS1_30default_config_static_selectorELNS0_4arch9wavefront6targetE1EEEvSM_.has_indirect_call, 0
	.section	.AMDGPU.csdata,"",@progbits
; Kernel info:
; codeLenInByte = 0
; TotalNumSgprs: 4
; NumVgprs: 0
; ScratchSize: 0
; MemoryBound: 0
; FloatMode: 240
; IeeeMode: 1
; LDSByteSize: 0 bytes/workgroup (compile time only)
; SGPRBlocks: 0
; VGPRBlocks: 0
; NumSGPRsForWavesPerEU: 4
; NumVGPRsForWavesPerEU: 1
; Occupancy: 10
; WaveLimiterHint : 0
; COMPUTE_PGM_RSRC2:SCRATCH_EN: 0
; COMPUTE_PGM_RSRC2:USER_SGPR: 6
; COMPUTE_PGM_RSRC2:TRAP_HANDLER: 0
; COMPUTE_PGM_RSRC2:TGID_X_EN: 1
; COMPUTE_PGM_RSRC2:TGID_Y_EN: 0
; COMPUTE_PGM_RSRC2:TGID_Z_EN: 0
; COMPUTE_PGM_RSRC2:TIDIG_COMP_CNT: 0
	.section	.text._ZN7rocprim17ROCPRIM_400000_NS6detail17trampoline_kernelINS0_14default_configENS1_22reduce_config_selectorIbEEZNS1_11reduce_implILb1ES3_N6hipcub16HIPCUB_304000_NS22TransformInputIteratorIb7NonZeroIfEPflEEPllNS8_6detail34convert_binary_result_type_wrapperINS8_3SumESD_lEEEE10hipError_tPvRmT1_T2_T3_mT4_P12ihipStream_tbEUlT_E1_NS1_11comp_targetILNS1_3genE5ELNS1_11target_archE942ELNS1_3gpuE9ELNS1_3repE0EEENS1_30default_config_static_selectorELNS0_4arch9wavefront6targetE1EEEvSM_,"axG",@progbits,_ZN7rocprim17ROCPRIM_400000_NS6detail17trampoline_kernelINS0_14default_configENS1_22reduce_config_selectorIbEEZNS1_11reduce_implILb1ES3_N6hipcub16HIPCUB_304000_NS22TransformInputIteratorIb7NonZeroIfEPflEEPllNS8_6detail34convert_binary_result_type_wrapperINS8_3SumESD_lEEEE10hipError_tPvRmT1_T2_T3_mT4_P12ihipStream_tbEUlT_E1_NS1_11comp_targetILNS1_3genE5ELNS1_11target_archE942ELNS1_3gpuE9ELNS1_3repE0EEENS1_30default_config_static_selectorELNS0_4arch9wavefront6targetE1EEEvSM_,comdat
	.protected	_ZN7rocprim17ROCPRIM_400000_NS6detail17trampoline_kernelINS0_14default_configENS1_22reduce_config_selectorIbEEZNS1_11reduce_implILb1ES3_N6hipcub16HIPCUB_304000_NS22TransformInputIteratorIb7NonZeroIfEPflEEPllNS8_6detail34convert_binary_result_type_wrapperINS8_3SumESD_lEEEE10hipError_tPvRmT1_T2_T3_mT4_P12ihipStream_tbEUlT_E1_NS1_11comp_targetILNS1_3genE5ELNS1_11target_archE942ELNS1_3gpuE9ELNS1_3repE0EEENS1_30default_config_static_selectorELNS0_4arch9wavefront6targetE1EEEvSM_ ; -- Begin function _ZN7rocprim17ROCPRIM_400000_NS6detail17trampoline_kernelINS0_14default_configENS1_22reduce_config_selectorIbEEZNS1_11reduce_implILb1ES3_N6hipcub16HIPCUB_304000_NS22TransformInputIteratorIb7NonZeroIfEPflEEPllNS8_6detail34convert_binary_result_type_wrapperINS8_3SumESD_lEEEE10hipError_tPvRmT1_T2_T3_mT4_P12ihipStream_tbEUlT_E1_NS1_11comp_targetILNS1_3genE5ELNS1_11target_archE942ELNS1_3gpuE9ELNS1_3repE0EEENS1_30default_config_static_selectorELNS0_4arch9wavefront6targetE1EEEvSM_
	.globl	_ZN7rocprim17ROCPRIM_400000_NS6detail17trampoline_kernelINS0_14default_configENS1_22reduce_config_selectorIbEEZNS1_11reduce_implILb1ES3_N6hipcub16HIPCUB_304000_NS22TransformInputIteratorIb7NonZeroIfEPflEEPllNS8_6detail34convert_binary_result_type_wrapperINS8_3SumESD_lEEEE10hipError_tPvRmT1_T2_T3_mT4_P12ihipStream_tbEUlT_E1_NS1_11comp_targetILNS1_3genE5ELNS1_11target_archE942ELNS1_3gpuE9ELNS1_3repE0EEENS1_30default_config_static_selectorELNS0_4arch9wavefront6targetE1EEEvSM_
	.p2align	8
	.type	_ZN7rocprim17ROCPRIM_400000_NS6detail17trampoline_kernelINS0_14default_configENS1_22reduce_config_selectorIbEEZNS1_11reduce_implILb1ES3_N6hipcub16HIPCUB_304000_NS22TransformInputIteratorIb7NonZeroIfEPflEEPllNS8_6detail34convert_binary_result_type_wrapperINS8_3SumESD_lEEEE10hipError_tPvRmT1_T2_T3_mT4_P12ihipStream_tbEUlT_E1_NS1_11comp_targetILNS1_3genE5ELNS1_11target_archE942ELNS1_3gpuE9ELNS1_3repE0EEENS1_30default_config_static_selectorELNS0_4arch9wavefront6targetE1EEEvSM_,@function
_ZN7rocprim17ROCPRIM_400000_NS6detail17trampoline_kernelINS0_14default_configENS1_22reduce_config_selectorIbEEZNS1_11reduce_implILb1ES3_N6hipcub16HIPCUB_304000_NS22TransformInputIteratorIb7NonZeroIfEPflEEPllNS8_6detail34convert_binary_result_type_wrapperINS8_3SumESD_lEEEE10hipError_tPvRmT1_T2_T3_mT4_P12ihipStream_tbEUlT_E1_NS1_11comp_targetILNS1_3genE5ELNS1_11target_archE942ELNS1_3gpuE9ELNS1_3repE0EEENS1_30default_config_static_selectorELNS0_4arch9wavefront6targetE1EEEvSM_: ; @_ZN7rocprim17ROCPRIM_400000_NS6detail17trampoline_kernelINS0_14default_configENS1_22reduce_config_selectorIbEEZNS1_11reduce_implILb1ES3_N6hipcub16HIPCUB_304000_NS22TransformInputIteratorIb7NonZeroIfEPflEEPllNS8_6detail34convert_binary_result_type_wrapperINS8_3SumESD_lEEEE10hipError_tPvRmT1_T2_T3_mT4_P12ihipStream_tbEUlT_E1_NS1_11comp_targetILNS1_3genE5ELNS1_11target_archE942ELNS1_3gpuE9ELNS1_3repE0EEENS1_30default_config_static_selectorELNS0_4arch9wavefront6targetE1EEEvSM_
; %bb.0:
	.section	.rodata,"a",@progbits
	.p2align	6, 0x0
	.amdhsa_kernel _ZN7rocprim17ROCPRIM_400000_NS6detail17trampoline_kernelINS0_14default_configENS1_22reduce_config_selectorIbEEZNS1_11reduce_implILb1ES3_N6hipcub16HIPCUB_304000_NS22TransformInputIteratorIb7NonZeroIfEPflEEPllNS8_6detail34convert_binary_result_type_wrapperINS8_3SumESD_lEEEE10hipError_tPvRmT1_T2_T3_mT4_P12ihipStream_tbEUlT_E1_NS1_11comp_targetILNS1_3genE5ELNS1_11target_archE942ELNS1_3gpuE9ELNS1_3repE0EEENS1_30default_config_static_selectorELNS0_4arch9wavefront6targetE1EEEvSM_
		.amdhsa_group_segment_fixed_size 0
		.amdhsa_private_segment_fixed_size 0
		.amdhsa_kernarg_size 56
		.amdhsa_user_sgpr_count 6
		.amdhsa_user_sgpr_private_segment_buffer 1
		.amdhsa_user_sgpr_dispatch_ptr 0
		.amdhsa_user_sgpr_queue_ptr 0
		.amdhsa_user_sgpr_kernarg_segment_ptr 1
		.amdhsa_user_sgpr_dispatch_id 0
		.amdhsa_user_sgpr_flat_scratch_init 0
		.amdhsa_user_sgpr_private_segment_size 0
		.amdhsa_uses_dynamic_stack 0
		.amdhsa_system_sgpr_private_segment_wavefront_offset 0
		.amdhsa_system_sgpr_workgroup_id_x 1
		.amdhsa_system_sgpr_workgroup_id_y 0
		.amdhsa_system_sgpr_workgroup_id_z 0
		.amdhsa_system_sgpr_workgroup_info 0
		.amdhsa_system_vgpr_workitem_id 0
		.amdhsa_next_free_vgpr 1
		.amdhsa_next_free_sgpr 0
		.amdhsa_reserve_vcc 0
		.amdhsa_reserve_flat_scratch 0
		.amdhsa_float_round_mode_32 0
		.amdhsa_float_round_mode_16_64 0
		.amdhsa_float_denorm_mode_32 3
		.amdhsa_float_denorm_mode_16_64 3
		.amdhsa_dx10_clamp 1
		.amdhsa_ieee_mode 1
		.amdhsa_fp16_overflow 0
		.amdhsa_exception_fp_ieee_invalid_op 0
		.amdhsa_exception_fp_denorm_src 0
		.amdhsa_exception_fp_ieee_div_zero 0
		.amdhsa_exception_fp_ieee_overflow 0
		.amdhsa_exception_fp_ieee_underflow 0
		.amdhsa_exception_fp_ieee_inexact 0
		.amdhsa_exception_int_div_zero 0
	.end_amdhsa_kernel
	.section	.text._ZN7rocprim17ROCPRIM_400000_NS6detail17trampoline_kernelINS0_14default_configENS1_22reduce_config_selectorIbEEZNS1_11reduce_implILb1ES3_N6hipcub16HIPCUB_304000_NS22TransformInputIteratorIb7NonZeroIfEPflEEPllNS8_6detail34convert_binary_result_type_wrapperINS8_3SumESD_lEEEE10hipError_tPvRmT1_T2_T3_mT4_P12ihipStream_tbEUlT_E1_NS1_11comp_targetILNS1_3genE5ELNS1_11target_archE942ELNS1_3gpuE9ELNS1_3repE0EEENS1_30default_config_static_selectorELNS0_4arch9wavefront6targetE1EEEvSM_,"axG",@progbits,_ZN7rocprim17ROCPRIM_400000_NS6detail17trampoline_kernelINS0_14default_configENS1_22reduce_config_selectorIbEEZNS1_11reduce_implILb1ES3_N6hipcub16HIPCUB_304000_NS22TransformInputIteratorIb7NonZeroIfEPflEEPllNS8_6detail34convert_binary_result_type_wrapperINS8_3SumESD_lEEEE10hipError_tPvRmT1_T2_T3_mT4_P12ihipStream_tbEUlT_E1_NS1_11comp_targetILNS1_3genE5ELNS1_11target_archE942ELNS1_3gpuE9ELNS1_3repE0EEENS1_30default_config_static_selectorELNS0_4arch9wavefront6targetE1EEEvSM_,comdat
.Lfunc_end245:
	.size	_ZN7rocprim17ROCPRIM_400000_NS6detail17trampoline_kernelINS0_14default_configENS1_22reduce_config_selectorIbEEZNS1_11reduce_implILb1ES3_N6hipcub16HIPCUB_304000_NS22TransformInputIteratorIb7NonZeroIfEPflEEPllNS8_6detail34convert_binary_result_type_wrapperINS8_3SumESD_lEEEE10hipError_tPvRmT1_T2_T3_mT4_P12ihipStream_tbEUlT_E1_NS1_11comp_targetILNS1_3genE5ELNS1_11target_archE942ELNS1_3gpuE9ELNS1_3repE0EEENS1_30default_config_static_selectorELNS0_4arch9wavefront6targetE1EEEvSM_, .Lfunc_end245-_ZN7rocprim17ROCPRIM_400000_NS6detail17trampoline_kernelINS0_14default_configENS1_22reduce_config_selectorIbEEZNS1_11reduce_implILb1ES3_N6hipcub16HIPCUB_304000_NS22TransformInputIteratorIb7NonZeroIfEPflEEPllNS8_6detail34convert_binary_result_type_wrapperINS8_3SumESD_lEEEE10hipError_tPvRmT1_T2_T3_mT4_P12ihipStream_tbEUlT_E1_NS1_11comp_targetILNS1_3genE5ELNS1_11target_archE942ELNS1_3gpuE9ELNS1_3repE0EEENS1_30default_config_static_selectorELNS0_4arch9wavefront6targetE1EEEvSM_
                                        ; -- End function
	.set _ZN7rocprim17ROCPRIM_400000_NS6detail17trampoline_kernelINS0_14default_configENS1_22reduce_config_selectorIbEEZNS1_11reduce_implILb1ES3_N6hipcub16HIPCUB_304000_NS22TransformInputIteratorIb7NonZeroIfEPflEEPllNS8_6detail34convert_binary_result_type_wrapperINS8_3SumESD_lEEEE10hipError_tPvRmT1_T2_T3_mT4_P12ihipStream_tbEUlT_E1_NS1_11comp_targetILNS1_3genE5ELNS1_11target_archE942ELNS1_3gpuE9ELNS1_3repE0EEENS1_30default_config_static_selectorELNS0_4arch9wavefront6targetE1EEEvSM_.num_vgpr, 0
	.set _ZN7rocprim17ROCPRIM_400000_NS6detail17trampoline_kernelINS0_14default_configENS1_22reduce_config_selectorIbEEZNS1_11reduce_implILb1ES3_N6hipcub16HIPCUB_304000_NS22TransformInputIteratorIb7NonZeroIfEPflEEPllNS8_6detail34convert_binary_result_type_wrapperINS8_3SumESD_lEEEE10hipError_tPvRmT1_T2_T3_mT4_P12ihipStream_tbEUlT_E1_NS1_11comp_targetILNS1_3genE5ELNS1_11target_archE942ELNS1_3gpuE9ELNS1_3repE0EEENS1_30default_config_static_selectorELNS0_4arch9wavefront6targetE1EEEvSM_.num_agpr, 0
	.set _ZN7rocprim17ROCPRIM_400000_NS6detail17trampoline_kernelINS0_14default_configENS1_22reduce_config_selectorIbEEZNS1_11reduce_implILb1ES3_N6hipcub16HIPCUB_304000_NS22TransformInputIteratorIb7NonZeroIfEPflEEPllNS8_6detail34convert_binary_result_type_wrapperINS8_3SumESD_lEEEE10hipError_tPvRmT1_T2_T3_mT4_P12ihipStream_tbEUlT_E1_NS1_11comp_targetILNS1_3genE5ELNS1_11target_archE942ELNS1_3gpuE9ELNS1_3repE0EEENS1_30default_config_static_selectorELNS0_4arch9wavefront6targetE1EEEvSM_.numbered_sgpr, 0
	.set _ZN7rocprim17ROCPRIM_400000_NS6detail17trampoline_kernelINS0_14default_configENS1_22reduce_config_selectorIbEEZNS1_11reduce_implILb1ES3_N6hipcub16HIPCUB_304000_NS22TransformInputIteratorIb7NonZeroIfEPflEEPllNS8_6detail34convert_binary_result_type_wrapperINS8_3SumESD_lEEEE10hipError_tPvRmT1_T2_T3_mT4_P12ihipStream_tbEUlT_E1_NS1_11comp_targetILNS1_3genE5ELNS1_11target_archE942ELNS1_3gpuE9ELNS1_3repE0EEENS1_30default_config_static_selectorELNS0_4arch9wavefront6targetE1EEEvSM_.num_named_barrier, 0
	.set _ZN7rocprim17ROCPRIM_400000_NS6detail17trampoline_kernelINS0_14default_configENS1_22reduce_config_selectorIbEEZNS1_11reduce_implILb1ES3_N6hipcub16HIPCUB_304000_NS22TransformInputIteratorIb7NonZeroIfEPflEEPllNS8_6detail34convert_binary_result_type_wrapperINS8_3SumESD_lEEEE10hipError_tPvRmT1_T2_T3_mT4_P12ihipStream_tbEUlT_E1_NS1_11comp_targetILNS1_3genE5ELNS1_11target_archE942ELNS1_3gpuE9ELNS1_3repE0EEENS1_30default_config_static_selectorELNS0_4arch9wavefront6targetE1EEEvSM_.private_seg_size, 0
	.set _ZN7rocprim17ROCPRIM_400000_NS6detail17trampoline_kernelINS0_14default_configENS1_22reduce_config_selectorIbEEZNS1_11reduce_implILb1ES3_N6hipcub16HIPCUB_304000_NS22TransformInputIteratorIb7NonZeroIfEPflEEPllNS8_6detail34convert_binary_result_type_wrapperINS8_3SumESD_lEEEE10hipError_tPvRmT1_T2_T3_mT4_P12ihipStream_tbEUlT_E1_NS1_11comp_targetILNS1_3genE5ELNS1_11target_archE942ELNS1_3gpuE9ELNS1_3repE0EEENS1_30default_config_static_selectorELNS0_4arch9wavefront6targetE1EEEvSM_.uses_vcc, 0
	.set _ZN7rocprim17ROCPRIM_400000_NS6detail17trampoline_kernelINS0_14default_configENS1_22reduce_config_selectorIbEEZNS1_11reduce_implILb1ES3_N6hipcub16HIPCUB_304000_NS22TransformInputIteratorIb7NonZeroIfEPflEEPllNS8_6detail34convert_binary_result_type_wrapperINS8_3SumESD_lEEEE10hipError_tPvRmT1_T2_T3_mT4_P12ihipStream_tbEUlT_E1_NS1_11comp_targetILNS1_3genE5ELNS1_11target_archE942ELNS1_3gpuE9ELNS1_3repE0EEENS1_30default_config_static_selectorELNS0_4arch9wavefront6targetE1EEEvSM_.uses_flat_scratch, 0
	.set _ZN7rocprim17ROCPRIM_400000_NS6detail17trampoline_kernelINS0_14default_configENS1_22reduce_config_selectorIbEEZNS1_11reduce_implILb1ES3_N6hipcub16HIPCUB_304000_NS22TransformInputIteratorIb7NonZeroIfEPflEEPllNS8_6detail34convert_binary_result_type_wrapperINS8_3SumESD_lEEEE10hipError_tPvRmT1_T2_T3_mT4_P12ihipStream_tbEUlT_E1_NS1_11comp_targetILNS1_3genE5ELNS1_11target_archE942ELNS1_3gpuE9ELNS1_3repE0EEENS1_30default_config_static_selectorELNS0_4arch9wavefront6targetE1EEEvSM_.has_dyn_sized_stack, 0
	.set _ZN7rocprim17ROCPRIM_400000_NS6detail17trampoline_kernelINS0_14default_configENS1_22reduce_config_selectorIbEEZNS1_11reduce_implILb1ES3_N6hipcub16HIPCUB_304000_NS22TransformInputIteratorIb7NonZeroIfEPflEEPllNS8_6detail34convert_binary_result_type_wrapperINS8_3SumESD_lEEEE10hipError_tPvRmT1_T2_T3_mT4_P12ihipStream_tbEUlT_E1_NS1_11comp_targetILNS1_3genE5ELNS1_11target_archE942ELNS1_3gpuE9ELNS1_3repE0EEENS1_30default_config_static_selectorELNS0_4arch9wavefront6targetE1EEEvSM_.has_recursion, 0
	.set _ZN7rocprim17ROCPRIM_400000_NS6detail17trampoline_kernelINS0_14default_configENS1_22reduce_config_selectorIbEEZNS1_11reduce_implILb1ES3_N6hipcub16HIPCUB_304000_NS22TransformInputIteratorIb7NonZeroIfEPflEEPllNS8_6detail34convert_binary_result_type_wrapperINS8_3SumESD_lEEEE10hipError_tPvRmT1_T2_T3_mT4_P12ihipStream_tbEUlT_E1_NS1_11comp_targetILNS1_3genE5ELNS1_11target_archE942ELNS1_3gpuE9ELNS1_3repE0EEENS1_30default_config_static_selectorELNS0_4arch9wavefront6targetE1EEEvSM_.has_indirect_call, 0
	.section	.AMDGPU.csdata,"",@progbits
; Kernel info:
; codeLenInByte = 0
; TotalNumSgprs: 4
; NumVgprs: 0
; ScratchSize: 0
; MemoryBound: 0
; FloatMode: 240
; IeeeMode: 1
; LDSByteSize: 0 bytes/workgroup (compile time only)
; SGPRBlocks: 0
; VGPRBlocks: 0
; NumSGPRsForWavesPerEU: 4
; NumVGPRsForWavesPerEU: 1
; Occupancy: 10
; WaveLimiterHint : 0
; COMPUTE_PGM_RSRC2:SCRATCH_EN: 0
; COMPUTE_PGM_RSRC2:USER_SGPR: 6
; COMPUTE_PGM_RSRC2:TRAP_HANDLER: 0
; COMPUTE_PGM_RSRC2:TGID_X_EN: 1
; COMPUTE_PGM_RSRC2:TGID_Y_EN: 0
; COMPUTE_PGM_RSRC2:TGID_Z_EN: 0
; COMPUTE_PGM_RSRC2:TIDIG_COMP_CNT: 0
	.section	.text._ZN7rocprim17ROCPRIM_400000_NS6detail17trampoline_kernelINS0_14default_configENS1_22reduce_config_selectorIbEEZNS1_11reduce_implILb1ES3_N6hipcub16HIPCUB_304000_NS22TransformInputIteratorIb7NonZeroIfEPflEEPllNS8_6detail34convert_binary_result_type_wrapperINS8_3SumESD_lEEEE10hipError_tPvRmT1_T2_T3_mT4_P12ihipStream_tbEUlT_E1_NS1_11comp_targetILNS1_3genE4ELNS1_11target_archE910ELNS1_3gpuE8ELNS1_3repE0EEENS1_30default_config_static_selectorELNS0_4arch9wavefront6targetE1EEEvSM_,"axG",@progbits,_ZN7rocprim17ROCPRIM_400000_NS6detail17trampoline_kernelINS0_14default_configENS1_22reduce_config_selectorIbEEZNS1_11reduce_implILb1ES3_N6hipcub16HIPCUB_304000_NS22TransformInputIteratorIb7NonZeroIfEPflEEPllNS8_6detail34convert_binary_result_type_wrapperINS8_3SumESD_lEEEE10hipError_tPvRmT1_T2_T3_mT4_P12ihipStream_tbEUlT_E1_NS1_11comp_targetILNS1_3genE4ELNS1_11target_archE910ELNS1_3gpuE8ELNS1_3repE0EEENS1_30default_config_static_selectorELNS0_4arch9wavefront6targetE1EEEvSM_,comdat
	.protected	_ZN7rocprim17ROCPRIM_400000_NS6detail17trampoline_kernelINS0_14default_configENS1_22reduce_config_selectorIbEEZNS1_11reduce_implILb1ES3_N6hipcub16HIPCUB_304000_NS22TransformInputIteratorIb7NonZeroIfEPflEEPllNS8_6detail34convert_binary_result_type_wrapperINS8_3SumESD_lEEEE10hipError_tPvRmT1_T2_T3_mT4_P12ihipStream_tbEUlT_E1_NS1_11comp_targetILNS1_3genE4ELNS1_11target_archE910ELNS1_3gpuE8ELNS1_3repE0EEENS1_30default_config_static_selectorELNS0_4arch9wavefront6targetE1EEEvSM_ ; -- Begin function _ZN7rocprim17ROCPRIM_400000_NS6detail17trampoline_kernelINS0_14default_configENS1_22reduce_config_selectorIbEEZNS1_11reduce_implILb1ES3_N6hipcub16HIPCUB_304000_NS22TransformInputIteratorIb7NonZeroIfEPflEEPllNS8_6detail34convert_binary_result_type_wrapperINS8_3SumESD_lEEEE10hipError_tPvRmT1_T2_T3_mT4_P12ihipStream_tbEUlT_E1_NS1_11comp_targetILNS1_3genE4ELNS1_11target_archE910ELNS1_3gpuE8ELNS1_3repE0EEENS1_30default_config_static_selectorELNS0_4arch9wavefront6targetE1EEEvSM_
	.globl	_ZN7rocprim17ROCPRIM_400000_NS6detail17trampoline_kernelINS0_14default_configENS1_22reduce_config_selectorIbEEZNS1_11reduce_implILb1ES3_N6hipcub16HIPCUB_304000_NS22TransformInputIteratorIb7NonZeroIfEPflEEPllNS8_6detail34convert_binary_result_type_wrapperINS8_3SumESD_lEEEE10hipError_tPvRmT1_T2_T3_mT4_P12ihipStream_tbEUlT_E1_NS1_11comp_targetILNS1_3genE4ELNS1_11target_archE910ELNS1_3gpuE8ELNS1_3repE0EEENS1_30default_config_static_selectorELNS0_4arch9wavefront6targetE1EEEvSM_
	.p2align	8
	.type	_ZN7rocprim17ROCPRIM_400000_NS6detail17trampoline_kernelINS0_14default_configENS1_22reduce_config_selectorIbEEZNS1_11reduce_implILb1ES3_N6hipcub16HIPCUB_304000_NS22TransformInputIteratorIb7NonZeroIfEPflEEPllNS8_6detail34convert_binary_result_type_wrapperINS8_3SumESD_lEEEE10hipError_tPvRmT1_T2_T3_mT4_P12ihipStream_tbEUlT_E1_NS1_11comp_targetILNS1_3genE4ELNS1_11target_archE910ELNS1_3gpuE8ELNS1_3repE0EEENS1_30default_config_static_selectorELNS0_4arch9wavefront6targetE1EEEvSM_,@function
_ZN7rocprim17ROCPRIM_400000_NS6detail17trampoline_kernelINS0_14default_configENS1_22reduce_config_selectorIbEEZNS1_11reduce_implILb1ES3_N6hipcub16HIPCUB_304000_NS22TransformInputIteratorIb7NonZeroIfEPflEEPllNS8_6detail34convert_binary_result_type_wrapperINS8_3SumESD_lEEEE10hipError_tPvRmT1_T2_T3_mT4_P12ihipStream_tbEUlT_E1_NS1_11comp_targetILNS1_3genE4ELNS1_11target_archE910ELNS1_3gpuE8ELNS1_3repE0EEENS1_30default_config_static_selectorELNS0_4arch9wavefront6targetE1EEEvSM_: ; @_ZN7rocprim17ROCPRIM_400000_NS6detail17trampoline_kernelINS0_14default_configENS1_22reduce_config_selectorIbEEZNS1_11reduce_implILb1ES3_N6hipcub16HIPCUB_304000_NS22TransformInputIteratorIb7NonZeroIfEPflEEPllNS8_6detail34convert_binary_result_type_wrapperINS8_3SumESD_lEEEE10hipError_tPvRmT1_T2_T3_mT4_P12ihipStream_tbEUlT_E1_NS1_11comp_targetILNS1_3genE4ELNS1_11target_archE910ELNS1_3gpuE8ELNS1_3repE0EEENS1_30default_config_static_selectorELNS0_4arch9wavefront6targetE1EEEvSM_
; %bb.0:
	.section	.rodata,"a",@progbits
	.p2align	6, 0x0
	.amdhsa_kernel _ZN7rocprim17ROCPRIM_400000_NS6detail17trampoline_kernelINS0_14default_configENS1_22reduce_config_selectorIbEEZNS1_11reduce_implILb1ES3_N6hipcub16HIPCUB_304000_NS22TransformInputIteratorIb7NonZeroIfEPflEEPllNS8_6detail34convert_binary_result_type_wrapperINS8_3SumESD_lEEEE10hipError_tPvRmT1_T2_T3_mT4_P12ihipStream_tbEUlT_E1_NS1_11comp_targetILNS1_3genE4ELNS1_11target_archE910ELNS1_3gpuE8ELNS1_3repE0EEENS1_30default_config_static_selectorELNS0_4arch9wavefront6targetE1EEEvSM_
		.amdhsa_group_segment_fixed_size 0
		.amdhsa_private_segment_fixed_size 0
		.amdhsa_kernarg_size 56
		.amdhsa_user_sgpr_count 6
		.amdhsa_user_sgpr_private_segment_buffer 1
		.amdhsa_user_sgpr_dispatch_ptr 0
		.amdhsa_user_sgpr_queue_ptr 0
		.amdhsa_user_sgpr_kernarg_segment_ptr 1
		.amdhsa_user_sgpr_dispatch_id 0
		.amdhsa_user_sgpr_flat_scratch_init 0
		.amdhsa_user_sgpr_private_segment_size 0
		.amdhsa_uses_dynamic_stack 0
		.amdhsa_system_sgpr_private_segment_wavefront_offset 0
		.amdhsa_system_sgpr_workgroup_id_x 1
		.amdhsa_system_sgpr_workgroup_id_y 0
		.amdhsa_system_sgpr_workgroup_id_z 0
		.amdhsa_system_sgpr_workgroup_info 0
		.amdhsa_system_vgpr_workitem_id 0
		.amdhsa_next_free_vgpr 1
		.amdhsa_next_free_sgpr 0
		.amdhsa_reserve_vcc 0
		.amdhsa_reserve_flat_scratch 0
		.amdhsa_float_round_mode_32 0
		.amdhsa_float_round_mode_16_64 0
		.amdhsa_float_denorm_mode_32 3
		.amdhsa_float_denorm_mode_16_64 3
		.amdhsa_dx10_clamp 1
		.amdhsa_ieee_mode 1
		.amdhsa_fp16_overflow 0
		.amdhsa_exception_fp_ieee_invalid_op 0
		.amdhsa_exception_fp_denorm_src 0
		.amdhsa_exception_fp_ieee_div_zero 0
		.amdhsa_exception_fp_ieee_overflow 0
		.amdhsa_exception_fp_ieee_underflow 0
		.amdhsa_exception_fp_ieee_inexact 0
		.amdhsa_exception_int_div_zero 0
	.end_amdhsa_kernel
	.section	.text._ZN7rocprim17ROCPRIM_400000_NS6detail17trampoline_kernelINS0_14default_configENS1_22reduce_config_selectorIbEEZNS1_11reduce_implILb1ES3_N6hipcub16HIPCUB_304000_NS22TransformInputIteratorIb7NonZeroIfEPflEEPllNS8_6detail34convert_binary_result_type_wrapperINS8_3SumESD_lEEEE10hipError_tPvRmT1_T2_T3_mT4_P12ihipStream_tbEUlT_E1_NS1_11comp_targetILNS1_3genE4ELNS1_11target_archE910ELNS1_3gpuE8ELNS1_3repE0EEENS1_30default_config_static_selectorELNS0_4arch9wavefront6targetE1EEEvSM_,"axG",@progbits,_ZN7rocprim17ROCPRIM_400000_NS6detail17trampoline_kernelINS0_14default_configENS1_22reduce_config_selectorIbEEZNS1_11reduce_implILb1ES3_N6hipcub16HIPCUB_304000_NS22TransformInputIteratorIb7NonZeroIfEPflEEPllNS8_6detail34convert_binary_result_type_wrapperINS8_3SumESD_lEEEE10hipError_tPvRmT1_T2_T3_mT4_P12ihipStream_tbEUlT_E1_NS1_11comp_targetILNS1_3genE4ELNS1_11target_archE910ELNS1_3gpuE8ELNS1_3repE0EEENS1_30default_config_static_selectorELNS0_4arch9wavefront6targetE1EEEvSM_,comdat
.Lfunc_end246:
	.size	_ZN7rocprim17ROCPRIM_400000_NS6detail17trampoline_kernelINS0_14default_configENS1_22reduce_config_selectorIbEEZNS1_11reduce_implILb1ES3_N6hipcub16HIPCUB_304000_NS22TransformInputIteratorIb7NonZeroIfEPflEEPllNS8_6detail34convert_binary_result_type_wrapperINS8_3SumESD_lEEEE10hipError_tPvRmT1_T2_T3_mT4_P12ihipStream_tbEUlT_E1_NS1_11comp_targetILNS1_3genE4ELNS1_11target_archE910ELNS1_3gpuE8ELNS1_3repE0EEENS1_30default_config_static_selectorELNS0_4arch9wavefront6targetE1EEEvSM_, .Lfunc_end246-_ZN7rocprim17ROCPRIM_400000_NS6detail17trampoline_kernelINS0_14default_configENS1_22reduce_config_selectorIbEEZNS1_11reduce_implILb1ES3_N6hipcub16HIPCUB_304000_NS22TransformInputIteratorIb7NonZeroIfEPflEEPllNS8_6detail34convert_binary_result_type_wrapperINS8_3SumESD_lEEEE10hipError_tPvRmT1_T2_T3_mT4_P12ihipStream_tbEUlT_E1_NS1_11comp_targetILNS1_3genE4ELNS1_11target_archE910ELNS1_3gpuE8ELNS1_3repE0EEENS1_30default_config_static_selectorELNS0_4arch9wavefront6targetE1EEEvSM_
                                        ; -- End function
	.set _ZN7rocprim17ROCPRIM_400000_NS6detail17trampoline_kernelINS0_14default_configENS1_22reduce_config_selectorIbEEZNS1_11reduce_implILb1ES3_N6hipcub16HIPCUB_304000_NS22TransformInputIteratorIb7NonZeroIfEPflEEPllNS8_6detail34convert_binary_result_type_wrapperINS8_3SumESD_lEEEE10hipError_tPvRmT1_T2_T3_mT4_P12ihipStream_tbEUlT_E1_NS1_11comp_targetILNS1_3genE4ELNS1_11target_archE910ELNS1_3gpuE8ELNS1_3repE0EEENS1_30default_config_static_selectorELNS0_4arch9wavefront6targetE1EEEvSM_.num_vgpr, 0
	.set _ZN7rocprim17ROCPRIM_400000_NS6detail17trampoline_kernelINS0_14default_configENS1_22reduce_config_selectorIbEEZNS1_11reduce_implILb1ES3_N6hipcub16HIPCUB_304000_NS22TransformInputIteratorIb7NonZeroIfEPflEEPllNS8_6detail34convert_binary_result_type_wrapperINS8_3SumESD_lEEEE10hipError_tPvRmT1_T2_T3_mT4_P12ihipStream_tbEUlT_E1_NS1_11comp_targetILNS1_3genE4ELNS1_11target_archE910ELNS1_3gpuE8ELNS1_3repE0EEENS1_30default_config_static_selectorELNS0_4arch9wavefront6targetE1EEEvSM_.num_agpr, 0
	.set _ZN7rocprim17ROCPRIM_400000_NS6detail17trampoline_kernelINS0_14default_configENS1_22reduce_config_selectorIbEEZNS1_11reduce_implILb1ES3_N6hipcub16HIPCUB_304000_NS22TransformInputIteratorIb7NonZeroIfEPflEEPllNS8_6detail34convert_binary_result_type_wrapperINS8_3SumESD_lEEEE10hipError_tPvRmT1_T2_T3_mT4_P12ihipStream_tbEUlT_E1_NS1_11comp_targetILNS1_3genE4ELNS1_11target_archE910ELNS1_3gpuE8ELNS1_3repE0EEENS1_30default_config_static_selectorELNS0_4arch9wavefront6targetE1EEEvSM_.numbered_sgpr, 0
	.set _ZN7rocprim17ROCPRIM_400000_NS6detail17trampoline_kernelINS0_14default_configENS1_22reduce_config_selectorIbEEZNS1_11reduce_implILb1ES3_N6hipcub16HIPCUB_304000_NS22TransformInputIteratorIb7NonZeroIfEPflEEPllNS8_6detail34convert_binary_result_type_wrapperINS8_3SumESD_lEEEE10hipError_tPvRmT1_T2_T3_mT4_P12ihipStream_tbEUlT_E1_NS1_11comp_targetILNS1_3genE4ELNS1_11target_archE910ELNS1_3gpuE8ELNS1_3repE0EEENS1_30default_config_static_selectorELNS0_4arch9wavefront6targetE1EEEvSM_.num_named_barrier, 0
	.set _ZN7rocprim17ROCPRIM_400000_NS6detail17trampoline_kernelINS0_14default_configENS1_22reduce_config_selectorIbEEZNS1_11reduce_implILb1ES3_N6hipcub16HIPCUB_304000_NS22TransformInputIteratorIb7NonZeroIfEPflEEPllNS8_6detail34convert_binary_result_type_wrapperINS8_3SumESD_lEEEE10hipError_tPvRmT1_T2_T3_mT4_P12ihipStream_tbEUlT_E1_NS1_11comp_targetILNS1_3genE4ELNS1_11target_archE910ELNS1_3gpuE8ELNS1_3repE0EEENS1_30default_config_static_selectorELNS0_4arch9wavefront6targetE1EEEvSM_.private_seg_size, 0
	.set _ZN7rocprim17ROCPRIM_400000_NS6detail17trampoline_kernelINS0_14default_configENS1_22reduce_config_selectorIbEEZNS1_11reduce_implILb1ES3_N6hipcub16HIPCUB_304000_NS22TransformInputIteratorIb7NonZeroIfEPflEEPllNS8_6detail34convert_binary_result_type_wrapperINS8_3SumESD_lEEEE10hipError_tPvRmT1_T2_T3_mT4_P12ihipStream_tbEUlT_E1_NS1_11comp_targetILNS1_3genE4ELNS1_11target_archE910ELNS1_3gpuE8ELNS1_3repE0EEENS1_30default_config_static_selectorELNS0_4arch9wavefront6targetE1EEEvSM_.uses_vcc, 0
	.set _ZN7rocprim17ROCPRIM_400000_NS6detail17trampoline_kernelINS0_14default_configENS1_22reduce_config_selectorIbEEZNS1_11reduce_implILb1ES3_N6hipcub16HIPCUB_304000_NS22TransformInputIteratorIb7NonZeroIfEPflEEPllNS8_6detail34convert_binary_result_type_wrapperINS8_3SumESD_lEEEE10hipError_tPvRmT1_T2_T3_mT4_P12ihipStream_tbEUlT_E1_NS1_11comp_targetILNS1_3genE4ELNS1_11target_archE910ELNS1_3gpuE8ELNS1_3repE0EEENS1_30default_config_static_selectorELNS0_4arch9wavefront6targetE1EEEvSM_.uses_flat_scratch, 0
	.set _ZN7rocprim17ROCPRIM_400000_NS6detail17trampoline_kernelINS0_14default_configENS1_22reduce_config_selectorIbEEZNS1_11reduce_implILb1ES3_N6hipcub16HIPCUB_304000_NS22TransformInputIteratorIb7NonZeroIfEPflEEPllNS8_6detail34convert_binary_result_type_wrapperINS8_3SumESD_lEEEE10hipError_tPvRmT1_T2_T3_mT4_P12ihipStream_tbEUlT_E1_NS1_11comp_targetILNS1_3genE4ELNS1_11target_archE910ELNS1_3gpuE8ELNS1_3repE0EEENS1_30default_config_static_selectorELNS0_4arch9wavefront6targetE1EEEvSM_.has_dyn_sized_stack, 0
	.set _ZN7rocprim17ROCPRIM_400000_NS6detail17trampoline_kernelINS0_14default_configENS1_22reduce_config_selectorIbEEZNS1_11reduce_implILb1ES3_N6hipcub16HIPCUB_304000_NS22TransformInputIteratorIb7NonZeroIfEPflEEPllNS8_6detail34convert_binary_result_type_wrapperINS8_3SumESD_lEEEE10hipError_tPvRmT1_T2_T3_mT4_P12ihipStream_tbEUlT_E1_NS1_11comp_targetILNS1_3genE4ELNS1_11target_archE910ELNS1_3gpuE8ELNS1_3repE0EEENS1_30default_config_static_selectorELNS0_4arch9wavefront6targetE1EEEvSM_.has_recursion, 0
	.set _ZN7rocprim17ROCPRIM_400000_NS6detail17trampoline_kernelINS0_14default_configENS1_22reduce_config_selectorIbEEZNS1_11reduce_implILb1ES3_N6hipcub16HIPCUB_304000_NS22TransformInputIteratorIb7NonZeroIfEPflEEPllNS8_6detail34convert_binary_result_type_wrapperINS8_3SumESD_lEEEE10hipError_tPvRmT1_T2_T3_mT4_P12ihipStream_tbEUlT_E1_NS1_11comp_targetILNS1_3genE4ELNS1_11target_archE910ELNS1_3gpuE8ELNS1_3repE0EEENS1_30default_config_static_selectorELNS0_4arch9wavefront6targetE1EEEvSM_.has_indirect_call, 0
	.section	.AMDGPU.csdata,"",@progbits
; Kernel info:
; codeLenInByte = 0
; TotalNumSgprs: 4
; NumVgprs: 0
; ScratchSize: 0
; MemoryBound: 0
; FloatMode: 240
; IeeeMode: 1
; LDSByteSize: 0 bytes/workgroup (compile time only)
; SGPRBlocks: 0
; VGPRBlocks: 0
; NumSGPRsForWavesPerEU: 4
; NumVGPRsForWavesPerEU: 1
; Occupancy: 10
; WaveLimiterHint : 0
; COMPUTE_PGM_RSRC2:SCRATCH_EN: 0
; COMPUTE_PGM_RSRC2:USER_SGPR: 6
; COMPUTE_PGM_RSRC2:TRAP_HANDLER: 0
; COMPUTE_PGM_RSRC2:TGID_X_EN: 1
; COMPUTE_PGM_RSRC2:TGID_Y_EN: 0
; COMPUTE_PGM_RSRC2:TGID_Z_EN: 0
; COMPUTE_PGM_RSRC2:TIDIG_COMP_CNT: 0
	.section	.text._ZN7rocprim17ROCPRIM_400000_NS6detail17trampoline_kernelINS0_14default_configENS1_22reduce_config_selectorIbEEZNS1_11reduce_implILb1ES3_N6hipcub16HIPCUB_304000_NS22TransformInputIteratorIb7NonZeroIfEPflEEPllNS8_6detail34convert_binary_result_type_wrapperINS8_3SumESD_lEEEE10hipError_tPvRmT1_T2_T3_mT4_P12ihipStream_tbEUlT_E1_NS1_11comp_targetILNS1_3genE3ELNS1_11target_archE908ELNS1_3gpuE7ELNS1_3repE0EEENS1_30default_config_static_selectorELNS0_4arch9wavefront6targetE1EEEvSM_,"axG",@progbits,_ZN7rocprim17ROCPRIM_400000_NS6detail17trampoline_kernelINS0_14default_configENS1_22reduce_config_selectorIbEEZNS1_11reduce_implILb1ES3_N6hipcub16HIPCUB_304000_NS22TransformInputIteratorIb7NonZeroIfEPflEEPllNS8_6detail34convert_binary_result_type_wrapperINS8_3SumESD_lEEEE10hipError_tPvRmT1_T2_T3_mT4_P12ihipStream_tbEUlT_E1_NS1_11comp_targetILNS1_3genE3ELNS1_11target_archE908ELNS1_3gpuE7ELNS1_3repE0EEENS1_30default_config_static_selectorELNS0_4arch9wavefront6targetE1EEEvSM_,comdat
	.protected	_ZN7rocprim17ROCPRIM_400000_NS6detail17trampoline_kernelINS0_14default_configENS1_22reduce_config_selectorIbEEZNS1_11reduce_implILb1ES3_N6hipcub16HIPCUB_304000_NS22TransformInputIteratorIb7NonZeroIfEPflEEPllNS8_6detail34convert_binary_result_type_wrapperINS8_3SumESD_lEEEE10hipError_tPvRmT1_T2_T3_mT4_P12ihipStream_tbEUlT_E1_NS1_11comp_targetILNS1_3genE3ELNS1_11target_archE908ELNS1_3gpuE7ELNS1_3repE0EEENS1_30default_config_static_selectorELNS0_4arch9wavefront6targetE1EEEvSM_ ; -- Begin function _ZN7rocprim17ROCPRIM_400000_NS6detail17trampoline_kernelINS0_14default_configENS1_22reduce_config_selectorIbEEZNS1_11reduce_implILb1ES3_N6hipcub16HIPCUB_304000_NS22TransformInputIteratorIb7NonZeroIfEPflEEPllNS8_6detail34convert_binary_result_type_wrapperINS8_3SumESD_lEEEE10hipError_tPvRmT1_T2_T3_mT4_P12ihipStream_tbEUlT_E1_NS1_11comp_targetILNS1_3genE3ELNS1_11target_archE908ELNS1_3gpuE7ELNS1_3repE0EEENS1_30default_config_static_selectorELNS0_4arch9wavefront6targetE1EEEvSM_
	.globl	_ZN7rocprim17ROCPRIM_400000_NS6detail17trampoline_kernelINS0_14default_configENS1_22reduce_config_selectorIbEEZNS1_11reduce_implILb1ES3_N6hipcub16HIPCUB_304000_NS22TransformInputIteratorIb7NonZeroIfEPflEEPllNS8_6detail34convert_binary_result_type_wrapperINS8_3SumESD_lEEEE10hipError_tPvRmT1_T2_T3_mT4_P12ihipStream_tbEUlT_E1_NS1_11comp_targetILNS1_3genE3ELNS1_11target_archE908ELNS1_3gpuE7ELNS1_3repE0EEENS1_30default_config_static_selectorELNS0_4arch9wavefront6targetE1EEEvSM_
	.p2align	8
	.type	_ZN7rocprim17ROCPRIM_400000_NS6detail17trampoline_kernelINS0_14default_configENS1_22reduce_config_selectorIbEEZNS1_11reduce_implILb1ES3_N6hipcub16HIPCUB_304000_NS22TransformInputIteratorIb7NonZeroIfEPflEEPllNS8_6detail34convert_binary_result_type_wrapperINS8_3SumESD_lEEEE10hipError_tPvRmT1_T2_T3_mT4_P12ihipStream_tbEUlT_E1_NS1_11comp_targetILNS1_3genE3ELNS1_11target_archE908ELNS1_3gpuE7ELNS1_3repE0EEENS1_30default_config_static_selectorELNS0_4arch9wavefront6targetE1EEEvSM_,@function
_ZN7rocprim17ROCPRIM_400000_NS6detail17trampoline_kernelINS0_14default_configENS1_22reduce_config_selectorIbEEZNS1_11reduce_implILb1ES3_N6hipcub16HIPCUB_304000_NS22TransformInputIteratorIb7NonZeroIfEPflEEPllNS8_6detail34convert_binary_result_type_wrapperINS8_3SumESD_lEEEE10hipError_tPvRmT1_T2_T3_mT4_P12ihipStream_tbEUlT_E1_NS1_11comp_targetILNS1_3genE3ELNS1_11target_archE908ELNS1_3gpuE7ELNS1_3repE0EEENS1_30default_config_static_selectorELNS0_4arch9wavefront6targetE1EEEvSM_: ; @_ZN7rocprim17ROCPRIM_400000_NS6detail17trampoline_kernelINS0_14default_configENS1_22reduce_config_selectorIbEEZNS1_11reduce_implILb1ES3_N6hipcub16HIPCUB_304000_NS22TransformInputIteratorIb7NonZeroIfEPflEEPllNS8_6detail34convert_binary_result_type_wrapperINS8_3SumESD_lEEEE10hipError_tPvRmT1_T2_T3_mT4_P12ihipStream_tbEUlT_E1_NS1_11comp_targetILNS1_3genE3ELNS1_11target_archE908ELNS1_3gpuE7ELNS1_3repE0EEENS1_30default_config_static_selectorELNS0_4arch9wavefront6targetE1EEEvSM_
; %bb.0:
	.section	.rodata,"a",@progbits
	.p2align	6, 0x0
	.amdhsa_kernel _ZN7rocprim17ROCPRIM_400000_NS6detail17trampoline_kernelINS0_14default_configENS1_22reduce_config_selectorIbEEZNS1_11reduce_implILb1ES3_N6hipcub16HIPCUB_304000_NS22TransformInputIteratorIb7NonZeroIfEPflEEPllNS8_6detail34convert_binary_result_type_wrapperINS8_3SumESD_lEEEE10hipError_tPvRmT1_T2_T3_mT4_P12ihipStream_tbEUlT_E1_NS1_11comp_targetILNS1_3genE3ELNS1_11target_archE908ELNS1_3gpuE7ELNS1_3repE0EEENS1_30default_config_static_selectorELNS0_4arch9wavefront6targetE1EEEvSM_
		.amdhsa_group_segment_fixed_size 0
		.amdhsa_private_segment_fixed_size 0
		.amdhsa_kernarg_size 56
		.amdhsa_user_sgpr_count 6
		.amdhsa_user_sgpr_private_segment_buffer 1
		.amdhsa_user_sgpr_dispatch_ptr 0
		.amdhsa_user_sgpr_queue_ptr 0
		.amdhsa_user_sgpr_kernarg_segment_ptr 1
		.amdhsa_user_sgpr_dispatch_id 0
		.amdhsa_user_sgpr_flat_scratch_init 0
		.amdhsa_user_sgpr_private_segment_size 0
		.amdhsa_uses_dynamic_stack 0
		.amdhsa_system_sgpr_private_segment_wavefront_offset 0
		.amdhsa_system_sgpr_workgroup_id_x 1
		.amdhsa_system_sgpr_workgroup_id_y 0
		.amdhsa_system_sgpr_workgroup_id_z 0
		.amdhsa_system_sgpr_workgroup_info 0
		.amdhsa_system_vgpr_workitem_id 0
		.amdhsa_next_free_vgpr 1
		.amdhsa_next_free_sgpr 0
		.amdhsa_reserve_vcc 0
		.amdhsa_reserve_flat_scratch 0
		.amdhsa_float_round_mode_32 0
		.amdhsa_float_round_mode_16_64 0
		.amdhsa_float_denorm_mode_32 3
		.amdhsa_float_denorm_mode_16_64 3
		.amdhsa_dx10_clamp 1
		.amdhsa_ieee_mode 1
		.amdhsa_fp16_overflow 0
		.amdhsa_exception_fp_ieee_invalid_op 0
		.amdhsa_exception_fp_denorm_src 0
		.amdhsa_exception_fp_ieee_div_zero 0
		.amdhsa_exception_fp_ieee_overflow 0
		.amdhsa_exception_fp_ieee_underflow 0
		.amdhsa_exception_fp_ieee_inexact 0
		.amdhsa_exception_int_div_zero 0
	.end_amdhsa_kernel
	.section	.text._ZN7rocprim17ROCPRIM_400000_NS6detail17trampoline_kernelINS0_14default_configENS1_22reduce_config_selectorIbEEZNS1_11reduce_implILb1ES3_N6hipcub16HIPCUB_304000_NS22TransformInputIteratorIb7NonZeroIfEPflEEPllNS8_6detail34convert_binary_result_type_wrapperINS8_3SumESD_lEEEE10hipError_tPvRmT1_T2_T3_mT4_P12ihipStream_tbEUlT_E1_NS1_11comp_targetILNS1_3genE3ELNS1_11target_archE908ELNS1_3gpuE7ELNS1_3repE0EEENS1_30default_config_static_selectorELNS0_4arch9wavefront6targetE1EEEvSM_,"axG",@progbits,_ZN7rocprim17ROCPRIM_400000_NS6detail17trampoline_kernelINS0_14default_configENS1_22reduce_config_selectorIbEEZNS1_11reduce_implILb1ES3_N6hipcub16HIPCUB_304000_NS22TransformInputIteratorIb7NonZeroIfEPflEEPllNS8_6detail34convert_binary_result_type_wrapperINS8_3SumESD_lEEEE10hipError_tPvRmT1_T2_T3_mT4_P12ihipStream_tbEUlT_E1_NS1_11comp_targetILNS1_3genE3ELNS1_11target_archE908ELNS1_3gpuE7ELNS1_3repE0EEENS1_30default_config_static_selectorELNS0_4arch9wavefront6targetE1EEEvSM_,comdat
.Lfunc_end247:
	.size	_ZN7rocprim17ROCPRIM_400000_NS6detail17trampoline_kernelINS0_14default_configENS1_22reduce_config_selectorIbEEZNS1_11reduce_implILb1ES3_N6hipcub16HIPCUB_304000_NS22TransformInputIteratorIb7NonZeroIfEPflEEPllNS8_6detail34convert_binary_result_type_wrapperINS8_3SumESD_lEEEE10hipError_tPvRmT1_T2_T3_mT4_P12ihipStream_tbEUlT_E1_NS1_11comp_targetILNS1_3genE3ELNS1_11target_archE908ELNS1_3gpuE7ELNS1_3repE0EEENS1_30default_config_static_selectorELNS0_4arch9wavefront6targetE1EEEvSM_, .Lfunc_end247-_ZN7rocprim17ROCPRIM_400000_NS6detail17trampoline_kernelINS0_14default_configENS1_22reduce_config_selectorIbEEZNS1_11reduce_implILb1ES3_N6hipcub16HIPCUB_304000_NS22TransformInputIteratorIb7NonZeroIfEPflEEPllNS8_6detail34convert_binary_result_type_wrapperINS8_3SumESD_lEEEE10hipError_tPvRmT1_T2_T3_mT4_P12ihipStream_tbEUlT_E1_NS1_11comp_targetILNS1_3genE3ELNS1_11target_archE908ELNS1_3gpuE7ELNS1_3repE0EEENS1_30default_config_static_selectorELNS0_4arch9wavefront6targetE1EEEvSM_
                                        ; -- End function
	.set _ZN7rocprim17ROCPRIM_400000_NS6detail17trampoline_kernelINS0_14default_configENS1_22reduce_config_selectorIbEEZNS1_11reduce_implILb1ES3_N6hipcub16HIPCUB_304000_NS22TransformInputIteratorIb7NonZeroIfEPflEEPllNS8_6detail34convert_binary_result_type_wrapperINS8_3SumESD_lEEEE10hipError_tPvRmT1_T2_T3_mT4_P12ihipStream_tbEUlT_E1_NS1_11comp_targetILNS1_3genE3ELNS1_11target_archE908ELNS1_3gpuE7ELNS1_3repE0EEENS1_30default_config_static_selectorELNS0_4arch9wavefront6targetE1EEEvSM_.num_vgpr, 0
	.set _ZN7rocprim17ROCPRIM_400000_NS6detail17trampoline_kernelINS0_14default_configENS1_22reduce_config_selectorIbEEZNS1_11reduce_implILb1ES3_N6hipcub16HIPCUB_304000_NS22TransformInputIteratorIb7NonZeroIfEPflEEPllNS8_6detail34convert_binary_result_type_wrapperINS8_3SumESD_lEEEE10hipError_tPvRmT1_T2_T3_mT4_P12ihipStream_tbEUlT_E1_NS1_11comp_targetILNS1_3genE3ELNS1_11target_archE908ELNS1_3gpuE7ELNS1_3repE0EEENS1_30default_config_static_selectorELNS0_4arch9wavefront6targetE1EEEvSM_.num_agpr, 0
	.set _ZN7rocprim17ROCPRIM_400000_NS6detail17trampoline_kernelINS0_14default_configENS1_22reduce_config_selectorIbEEZNS1_11reduce_implILb1ES3_N6hipcub16HIPCUB_304000_NS22TransformInputIteratorIb7NonZeroIfEPflEEPllNS8_6detail34convert_binary_result_type_wrapperINS8_3SumESD_lEEEE10hipError_tPvRmT1_T2_T3_mT4_P12ihipStream_tbEUlT_E1_NS1_11comp_targetILNS1_3genE3ELNS1_11target_archE908ELNS1_3gpuE7ELNS1_3repE0EEENS1_30default_config_static_selectorELNS0_4arch9wavefront6targetE1EEEvSM_.numbered_sgpr, 0
	.set _ZN7rocprim17ROCPRIM_400000_NS6detail17trampoline_kernelINS0_14default_configENS1_22reduce_config_selectorIbEEZNS1_11reduce_implILb1ES3_N6hipcub16HIPCUB_304000_NS22TransformInputIteratorIb7NonZeroIfEPflEEPllNS8_6detail34convert_binary_result_type_wrapperINS8_3SumESD_lEEEE10hipError_tPvRmT1_T2_T3_mT4_P12ihipStream_tbEUlT_E1_NS1_11comp_targetILNS1_3genE3ELNS1_11target_archE908ELNS1_3gpuE7ELNS1_3repE0EEENS1_30default_config_static_selectorELNS0_4arch9wavefront6targetE1EEEvSM_.num_named_barrier, 0
	.set _ZN7rocprim17ROCPRIM_400000_NS6detail17trampoline_kernelINS0_14default_configENS1_22reduce_config_selectorIbEEZNS1_11reduce_implILb1ES3_N6hipcub16HIPCUB_304000_NS22TransformInputIteratorIb7NonZeroIfEPflEEPllNS8_6detail34convert_binary_result_type_wrapperINS8_3SumESD_lEEEE10hipError_tPvRmT1_T2_T3_mT4_P12ihipStream_tbEUlT_E1_NS1_11comp_targetILNS1_3genE3ELNS1_11target_archE908ELNS1_3gpuE7ELNS1_3repE0EEENS1_30default_config_static_selectorELNS0_4arch9wavefront6targetE1EEEvSM_.private_seg_size, 0
	.set _ZN7rocprim17ROCPRIM_400000_NS6detail17trampoline_kernelINS0_14default_configENS1_22reduce_config_selectorIbEEZNS1_11reduce_implILb1ES3_N6hipcub16HIPCUB_304000_NS22TransformInputIteratorIb7NonZeroIfEPflEEPllNS8_6detail34convert_binary_result_type_wrapperINS8_3SumESD_lEEEE10hipError_tPvRmT1_T2_T3_mT4_P12ihipStream_tbEUlT_E1_NS1_11comp_targetILNS1_3genE3ELNS1_11target_archE908ELNS1_3gpuE7ELNS1_3repE0EEENS1_30default_config_static_selectorELNS0_4arch9wavefront6targetE1EEEvSM_.uses_vcc, 0
	.set _ZN7rocprim17ROCPRIM_400000_NS6detail17trampoline_kernelINS0_14default_configENS1_22reduce_config_selectorIbEEZNS1_11reduce_implILb1ES3_N6hipcub16HIPCUB_304000_NS22TransformInputIteratorIb7NonZeroIfEPflEEPllNS8_6detail34convert_binary_result_type_wrapperINS8_3SumESD_lEEEE10hipError_tPvRmT1_T2_T3_mT4_P12ihipStream_tbEUlT_E1_NS1_11comp_targetILNS1_3genE3ELNS1_11target_archE908ELNS1_3gpuE7ELNS1_3repE0EEENS1_30default_config_static_selectorELNS0_4arch9wavefront6targetE1EEEvSM_.uses_flat_scratch, 0
	.set _ZN7rocprim17ROCPRIM_400000_NS6detail17trampoline_kernelINS0_14default_configENS1_22reduce_config_selectorIbEEZNS1_11reduce_implILb1ES3_N6hipcub16HIPCUB_304000_NS22TransformInputIteratorIb7NonZeroIfEPflEEPllNS8_6detail34convert_binary_result_type_wrapperINS8_3SumESD_lEEEE10hipError_tPvRmT1_T2_T3_mT4_P12ihipStream_tbEUlT_E1_NS1_11comp_targetILNS1_3genE3ELNS1_11target_archE908ELNS1_3gpuE7ELNS1_3repE0EEENS1_30default_config_static_selectorELNS0_4arch9wavefront6targetE1EEEvSM_.has_dyn_sized_stack, 0
	.set _ZN7rocprim17ROCPRIM_400000_NS6detail17trampoline_kernelINS0_14default_configENS1_22reduce_config_selectorIbEEZNS1_11reduce_implILb1ES3_N6hipcub16HIPCUB_304000_NS22TransformInputIteratorIb7NonZeroIfEPflEEPllNS8_6detail34convert_binary_result_type_wrapperINS8_3SumESD_lEEEE10hipError_tPvRmT1_T2_T3_mT4_P12ihipStream_tbEUlT_E1_NS1_11comp_targetILNS1_3genE3ELNS1_11target_archE908ELNS1_3gpuE7ELNS1_3repE0EEENS1_30default_config_static_selectorELNS0_4arch9wavefront6targetE1EEEvSM_.has_recursion, 0
	.set _ZN7rocprim17ROCPRIM_400000_NS6detail17trampoline_kernelINS0_14default_configENS1_22reduce_config_selectorIbEEZNS1_11reduce_implILb1ES3_N6hipcub16HIPCUB_304000_NS22TransformInputIteratorIb7NonZeroIfEPflEEPllNS8_6detail34convert_binary_result_type_wrapperINS8_3SumESD_lEEEE10hipError_tPvRmT1_T2_T3_mT4_P12ihipStream_tbEUlT_E1_NS1_11comp_targetILNS1_3genE3ELNS1_11target_archE908ELNS1_3gpuE7ELNS1_3repE0EEENS1_30default_config_static_selectorELNS0_4arch9wavefront6targetE1EEEvSM_.has_indirect_call, 0
	.section	.AMDGPU.csdata,"",@progbits
; Kernel info:
; codeLenInByte = 0
; TotalNumSgprs: 4
; NumVgprs: 0
; ScratchSize: 0
; MemoryBound: 0
; FloatMode: 240
; IeeeMode: 1
; LDSByteSize: 0 bytes/workgroup (compile time only)
; SGPRBlocks: 0
; VGPRBlocks: 0
; NumSGPRsForWavesPerEU: 4
; NumVGPRsForWavesPerEU: 1
; Occupancy: 10
; WaveLimiterHint : 0
; COMPUTE_PGM_RSRC2:SCRATCH_EN: 0
; COMPUTE_PGM_RSRC2:USER_SGPR: 6
; COMPUTE_PGM_RSRC2:TRAP_HANDLER: 0
; COMPUTE_PGM_RSRC2:TGID_X_EN: 1
; COMPUTE_PGM_RSRC2:TGID_Y_EN: 0
; COMPUTE_PGM_RSRC2:TGID_Z_EN: 0
; COMPUTE_PGM_RSRC2:TIDIG_COMP_CNT: 0
	.section	.text._ZN7rocprim17ROCPRIM_400000_NS6detail17trampoline_kernelINS0_14default_configENS1_22reduce_config_selectorIbEEZNS1_11reduce_implILb1ES3_N6hipcub16HIPCUB_304000_NS22TransformInputIteratorIb7NonZeroIfEPflEEPllNS8_6detail34convert_binary_result_type_wrapperINS8_3SumESD_lEEEE10hipError_tPvRmT1_T2_T3_mT4_P12ihipStream_tbEUlT_E1_NS1_11comp_targetILNS1_3genE2ELNS1_11target_archE906ELNS1_3gpuE6ELNS1_3repE0EEENS1_30default_config_static_selectorELNS0_4arch9wavefront6targetE1EEEvSM_,"axG",@progbits,_ZN7rocprim17ROCPRIM_400000_NS6detail17trampoline_kernelINS0_14default_configENS1_22reduce_config_selectorIbEEZNS1_11reduce_implILb1ES3_N6hipcub16HIPCUB_304000_NS22TransformInputIteratorIb7NonZeroIfEPflEEPllNS8_6detail34convert_binary_result_type_wrapperINS8_3SumESD_lEEEE10hipError_tPvRmT1_T2_T3_mT4_P12ihipStream_tbEUlT_E1_NS1_11comp_targetILNS1_3genE2ELNS1_11target_archE906ELNS1_3gpuE6ELNS1_3repE0EEENS1_30default_config_static_selectorELNS0_4arch9wavefront6targetE1EEEvSM_,comdat
	.protected	_ZN7rocprim17ROCPRIM_400000_NS6detail17trampoline_kernelINS0_14default_configENS1_22reduce_config_selectorIbEEZNS1_11reduce_implILb1ES3_N6hipcub16HIPCUB_304000_NS22TransformInputIteratorIb7NonZeroIfEPflEEPllNS8_6detail34convert_binary_result_type_wrapperINS8_3SumESD_lEEEE10hipError_tPvRmT1_T2_T3_mT4_P12ihipStream_tbEUlT_E1_NS1_11comp_targetILNS1_3genE2ELNS1_11target_archE906ELNS1_3gpuE6ELNS1_3repE0EEENS1_30default_config_static_selectorELNS0_4arch9wavefront6targetE1EEEvSM_ ; -- Begin function _ZN7rocprim17ROCPRIM_400000_NS6detail17trampoline_kernelINS0_14default_configENS1_22reduce_config_selectorIbEEZNS1_11reduce_implILb1ES3_N6hipcub16HIPCUB_304000_NS22TransformInputIteratorIb7NonZeroIfEPflEEPllNS8_6detail34convert_binary_result_type_wrapperINS8_3SumESD_lEEEE10hipError_tPvRmT1_T2_T3_mT4_P12ihipStream_tbEUlT_E1_NS1_11comp_targetILNS1_3genE2ELNS1_11target_archE906ELNS1_3gpuE6ELNS1_3repE0EEENS1_30default_config_static_selectorELNS0_4arch9wavefront6targetE1EEEvSM_
	.globl	_ZN7rocprim17ROCPRIM_400000_NS6detail17trampoline_kernelINS0_14default_configENS1_22reduce_config_selectorIbEEZNS1_11reduce_implILb1ES3_N6hipcub16HIPCUB_304000_NS22TransformInputIteratorIb7NonZeroIfEPflEEPllNS8_6detail34convert_binary_result_type_wrapperINS8_3SumESD_lEEEE10hipError_tPvRmT1_T2_T3_mT4_P12ihipStream_tbEUlT_E1_NS1_11comp_targetILNS1_3genE2ELNS1_11target_archE906ELNS1_3gpuE6ELNS1_3repE0EEENS1_30default_config_static_selectorELNS0_4arch9wavefront6targetE1EEEvSM_
	.p2align	8
	.type	_ZN7rocprim17ROCPRIM_400000_NS6detail17trampoline_kernelINS0_14default_configENS1_22reduce_config_selectorIbEEZNS1_11reduce_implILb1ES3_N6hipcub16HIPCUB_304000_NS22TransformInputIteratorIb7NonZeroIfEPflEEPllNS8_6detail34convert_binary_result_type_wrapperINS8_3SumESD_lEEEE10hipError_tPvRmT1_T2_T3_mT4_P12ihipStream_tbEUlT_E1_NS1_11comp_targetILNS1_3genE2ELNS1_11target_archE906ELNS1_3gpuE6ELNS1_3repE0EEENS1_30default_config_static_selectorELNS0_4arch9wavefront6targetE1EEEvSM_,@function
_ZN7rocprim17ROCPRIM_400000_NS6detail17trampoline_kernelINS0_14default_configENS1_22reduce_config_selectorIbEEZNS1_11reduce_implILb1ES3_N6hipcub16HIPCUB_304000_NS22TransformInputIteratorIb7NonZeroIfEPflEEPllNS8_6detail34convert_binary_result_type_wrapperINS8_3SumESD_lEEEE10hipError_tPvRmT1_T2_T3_mT4_P12ihipStream_tbEUlT_E1_NS1_11comp_targetILNS1_3genE2ELNS1_11target_archE906ELNS1_3gpuE6ELNS1_3repE0EEENS1_30default_config_static_selectorELNS0_4arch9wavefront6targetE1EEEvSM_: ; @_ZN7rocprim17ROCPRIM_400000_NS6detail17trampoline_kernelINS0_14default_configENS1_22reduce_config_selectorIbEEZNS1_11reduce_implILb1ES3_N6hipcub16HIPCUB_304000_NS22TransformInputIteratorIb7NonZeroIfEPflEEPllNS8_6detail34convert_binary_result_type_wrapperINS8_3SumESD_lEEEE10hipError_tPvRmT1_T2_T3_mT4_P12ihipStream_tbEUlT_E1_NS1_11comp_targetILNS1_3genE2ELNS1_11target_archE906ELNS1_3gpuE6ELNS1_3repE0EEENS1_30default_config_static_selectorELNS0_4arch9wavefront6targetE1EEEvSM_
; %bb.0:
	s_mov_b64 s[38:39], s[2:3]
	s_mov_b64 s[36:37], s[0:1]
	s_load_dword s26, s[4:5], 0x4
	s_load_dwordx2 s[18:19], s[4:5], 0x8
	s_load_dwordx4 s[20:23], s[4:5], 0x18
	s_add_u32 s36, s36, s7
	s_addc_u32 s37, s37, 0
	s_waitcnt lgkmcnt(0)
	s_cmp_lt_i32 s26, 16
	s_cbranch_scc1 .LBB248_10
; %bb.1:
	s_cmp_gt_i32 s26, 63
	s_cbranch_scc0 .LBB248_11
; %bb.2:
	s_cmpk_gt_i32 s26, 0x7f
	s_cbranch_scc0 .LBB248_12
; %bb.3:
	s_mov_b64 s[0:1], 0
	s_cmpk_eq_i32 s26, 0x80
	s_mov_b64 s[2:3], 0
                                        ; implicit-def: $vgpr1_vgpr2
                                        ; implicit-def: $vgpr3_vgpr4
	s_cbranch_scc0 .LBB248_13
; %bb.4:
	s_mov_b32 s7, 0
	s_lshl_b32 s8, s6, 14
	s_mov_b32 s9, s7
	s_lshr_b64 s[10:11], s[20:21], 14
	s_lshl_b64 s[2:3], s[8:9], 2
	s_add_u32 s2, s18, s2
	s_addc_u32 s3, s19, s3
	s_cmp_lg_u64 s[10:11], s[6:7]
	s_cbranch_scc0 .LBB248_21
; %bb.5:
	v_lshlrev_b32_e32 v7, 2, v0
	v_mov_b32_e32 v1, s3
	v_add_co_u32_e32 v5, vcc, s2, v7
	v_addc_co_u32_e32 v6, vcc, 0, v1, vcc
	s_movk_i32 s10, 0x2000
	v_add_co_u32_e32 v1, vcc, s10, v5
	global_load_dword v13, v7, s[2:3] offset:1536
	global_load_dword v14, v7, s[2:3] offset:2048
	;; [unrolled: 1-line block ×5, first 2 shown]
	v_addc_co_u32_e32 v2, vcc, 0, v6, vcc
	global_load_dword v18, v[1:2], off offset:-4096
	s_movk_i32 s9, 0x1000
	v_add_co_u32_e32 v3, vcc, s9, v5
	v_addc_co_u32_e32 v4, vcc, 0, v6, vcc
	global_load_dword v19, v[3:4], off offset:512
	global_load_dword v20, v[3:4], off offset:1024
	;; [unrolled: 1-line block ×7, first 2 shown]
	global_load_dword v26, v[1:2], off
	global_load_dword v27, v[1:2], off offset:512
	global_load_dword v28, v[1:2], off offset:1024
	;; [unrolled: 1-line block ×7, first 2 shown]
                                        ; kill: killed $vgpr3 killed $vgpr4
                                        ; kill: killed $vgpr1 killed $vgpr2
	s_nop 0
	global_load_dword v2, v7, s[2:3]
	global_load_dword v4, v7, s[2:3] offset:512
	global_load_dword v3, v7, s[2:3] offset:1024
	s_movk_i32 s10, 0x4000
	v_add_co_u32_e32 v7, vcc, s10, v5
	s_movk_i32 s9, 0x3000
	v_addc_co_u32_e32 v8, vcc, 0, v6, vcc
	v_add_co_u32_e32 v9, vcc, s9, v5
	global_load_dword v34, v[7:8], off offset:-4096
	v_addc_co_u32_e32 v10, vcc, 0, v6, vcc
	global_load_dword v35, v[9:10], off offset:512
	global_load_dword v36, v[9:10], off offset:1024
	;; [unrolled: 1-line block ×3, first 2 shown]
	s_mov_b32 s9, 0xf000
	v_add_co_u32_e32 v11, vcc, s9, v5
	v_addc_co_u32_e32 v12, vcc, 0, v6, vcc
	global_load_dword v38, v[9:10], off offset:2048
	global_load_dword v39, v[9:10], off offset:2560
	;; [unrolled: 1-line block ×5, first 2 shown]
	global_load_dword v43, v[7:8], off
	global_load_dword v44, v[7:8], off offset:512
	global_load_dword v45, v[7:8], off offset:1024
	global_load_dword v46, v[7:8], off offset:1536
	global_load_dword v47, v[7:8], off offset:2048
	global_load_dword v48, v[7:8], off offset:2560
	global_load_dword v49, v[7:8], off offset:3072
	global_load_dword v50, v[7:8], off offset:3584
	s_movk_i32 s9, 0x5000
	s_mov_b32 s10, 0xc000
	v_mov_b32_e32 v1, 0
	s_waitcnt vmcnt(40)
	v_cmp_neq_f32_e32 vcc, 0, v13
	v_cndmask_b32_e64 v13, 0, 1, vcc
	s_waitcnt vmcnt(39)
	v_cmp_neq_f32_e32 vcc, 0, v14
	v_cndmask_b32_e64 v14, 0, 1, vcc
	;; [unrolled: 3-line block ×21, first 2 shown]
	v_add_co_u32_e32 v7, vcc, s9, v5
	v_addc_co_u32_e32 v8, vcc, 0, v6, vcc
	s_movk_i32 s9, 0x6000
	v_add_co_u32_e32 v9, vcc, s9, v5
	v_addc_co_u32_e32 v10, vcc, 0, v6, vcc
	global_load_dword v51, v[9:10], off offset:-4096
	global_load_dword v52, v[7:8], off offset:512
	global_load_dword v53, v[7:8], off offset:1024
	;; [unrolled: 1-line block ×7, first 2 shown]
	s_waitcnt vmcnt(24)
	v_cmp_neq_f32_e32 vcc, 0, v34
	v_cndmask_b32_e64 v34, 0, 1, vcc
	s_waitcnt vmcnt(23)
	v_cmp_neq_f32_e32 vcc, 0, v35
	v_cndmask_b32_e64 v35, 0, 1, vcc
	;; [unrolled: 3-line block ×6, first 2 shown]
	s_waitcnt vmcnt(18)
	v_cmp_neq_f32_e32 vcc, 0, v40
	s_movk_i32 s9, 0x7000
	v_cndmask_b32_e64 v40, 0, 1, vcc
	v_add_co_u32_e32 v7, vcc, s9, v5
	v_addc_co_u32_e32 v8, vcc, 0, v6, vcc
	s_mov_b32 s9, 0x8000
	global_load_dword v59, v[9:10], off
	global_load_dword v60, v[9:10], off offset:512
	global_load_dword v61, v[9:10], off offset:1024
	global_load_dword v62, v[9:10], off offset:1536
	global_load_dword v63, v[9:10], off offset:2048
	global_load_dword v64, v[9:10], off offset:2560
	global_load_dword v65, v[9:10], off offset:3072
	global_load_dword v66, v[9:10], off offset:3584
	v_add_co_u32_e32 v9, vcc, s9, v5
	v_addc_co_u32_e32 v10, vcc, 0, v6, vcc
	global_load_dword v67, v[9:10], off offset:-4096
	global_load_dword v68, v[7:8], off offset:512
	global_load_dword v69, v[7:8], off offset:1024
	;; [unrolled: 1-line block ×4, first 2 shown]
	s_waitcnt vmcnt(29)
	v_cmp_neq_f32_e32 vcc, 0, v42
	v_cndmask_b32_e64 v42, 0, 1, vcc
	s_waitcnt vmcnt(28)
	v_cmp_neq_f32_e32 vcc, 0, v43
	global_load_dword v72, v[7:8], off offset:2560
	global_load_dword v73, v[7:8], off offset:3072
	v_cndmask_b32_e64 v43, 0, 1, vcc
	s_waitcnt vmcnt(29)
	v_cmp_neq_f32_e32 vcc, 0, v44
	global_load_dword v74, v[7:8], off offset:3584
	global_load_dword v75, v[9:10], off
	global_load_dword v76, v[9:10], off offset:512
	global_load_dword v77, v[9:10], off offset:1024
	;; [unrolled: 1-line block ×3, first 2 shown]
	v_cndmask_b32_e64 v44, 0, 1, vcc
	s_waitcnt vmcnt(33)
	v_cmp_neq_f32_e32 vcc, 0, v45
	v_cndmask_b32_e64 v45, 0, 1, vcc
	s_waitcnt vmcnt(32)
	v_cmp_neq_f32_e32 vcc, 0, v46
	;; [unrolled: 3-line block ×6, first 2 shown]
	s_mov_b32 s9, 0xa000
	v_cndmask_b32_e64 v50, 0, 1, vcc
	v_add_co_u32_e32 v7, vcc, s9, v5
	global_load_dword v79, v[9:10], off offset:2048
	global_load_dword v80, v[9:10], off offset:2560
	global_load_dword v81, v[9:10], off offset:3072
	global_load_dword v82, v[9:10], off offset:3584
	v_addc_co_u32_e32 v8, vcc, 0, v6, vcc
	global_load_dword v83, v[7:8], off offset:-4096
	s_mov_b32 s9, 0x9000
	v_mov_b32_dpp v1, v1 quad_perm:[1,0,3,2] row_mask:0xf bank_mask:0xf bound_ctrl:1
	s_waitcnt vmcnt(32)
	v_cmp_neq_f32_e32 vcc, 0, v51
	v_cndmask_b32_e64 v51, 0, 1, vcc
	s_waitcnt vmcnt(31)
	v_cmp_neq_f32_e32 vcc, 0, v52
	v_cndmask_b32_e64 v52, 0, 1, vcc
	;; [unrolled: 3-line block ×7, first 2 shown]
	v_add_co_u32_e32 v9, vcc, s9, v5
	v_addc_co_u32_e32 v10, vcc, 0, v6, vcc
	global_load_dword v84, v[9:10], off offset:512
	global_load_dword v85, v[9:10], off offset:1024
	;; [unrolled: 1-line block ×7, first 2 shown]
	global_load_dword v91, v[7:8], off
	global_load_dword v92, v[7:8], off offset:512
	global_load_dword v93, v[7:8], off offset:1024
	;; [unrolled: 1-line block ×3, first 2 shown]
	s_waitcnt vmcnt(36)
	v_cmp_neq_f32_e32 vcc, 0, v58
	v_cndmask_b32_e64 v58, 0, 1, vcc
	s_waitcnt vmcnt(35)
	v_cmp_neq_f32_e32 vcc, 0, v59
	v_cndmask_b32_e64 v59, 0, 1, vcc
	;; [unrolled: 3-line block ×25, first 2 shown]
	s_waitcnt vmcnt(11)
	v_cmp_neq_f32_e32 vcc, 0, v83
	global_load_dword v95, v[7:8], off offset:2048
	global_load_dword v96, v[7:8], off offset:2560
	v_cndmask_b32_e64 v83, 0, 1, vcc
	v_add_co_u32_e32 v9, vcc, s10, v5
	s_mov_b32 s9, 0xb000
	v_addc_co_u32_e32 v10, vcc, 0, v6, vcc
	global_load_dword v97, v[7:8], off offset:3072
	global_load_dword v98, v[7:8], off offset:3584
	global_load_dword v99, v[9:10], off offset:-4096
	v_add_co_u32_e32 v7, vcc, s9, v5
	v_addc_co_u32_e32 v8, vcc, 0, v6, vcc
	global_load_dword v100, v[7:8], off offset:512
	global_load_dword v101, v[7:8], off offset:1024
	;; [unrolled: 1-line block ×7, first 2 shown]
	global_load_dword v107, v[9:10], off
	global_load_dword v108, v[9:10], off offset:512
	global_load_dword v109, v[9:10], off offset:1024
	;; [unrolled: 1-line block ×4, first 2 shown]
	s_mov_b32 s10, 0xe000
	s_mov_b32 s9, 0xd000
	s_waitcnt vmcnt(27)
	v_cmp_neq_f32_e32 vcc, 0, v84
	v_cndmask_b32_e64 v84, 0, 1, vcc
	s_waitcnt vmcnt(26)
	v_cmp_neq_f32_e32 vcc, 0, v85
	v_cndmask_b32_e64 v85, 0, 1, vcc
	;; [unrolled: 3-line block ×3, first 2 shown]
	v_add_co_u32_e32 v7, vcc, s10, v5
	v_addc_co_u32_e32 v8, vcc, 0, v6, vcc
	global_load_dword v112, v[9:10], off offset:2560
	global_load_dword v113, v[9:10], off offset:3072
	;; [unrolled: 1-line block ×3, first 2 shown]
	global_load_dword v115, v[7:8], off offset:-4096
	v_add_co_u32_e32 v5, vcc, s9, v5
	v_addc_co_u32_e32 v6, vcc, 0, v6, vcc
	global_load_dword v9, v[5:6], off offset:512
	global_load_dword v10, v[5:6], off offset:1024
	;; [unrolled: 1-line block ×6, first 2 shown]
	s_waitcnt vmcnt(34)
	v_cmp_neq_f32_e32 vcc, 0, v87
	v_cndmask_b32_e64 v87, 0, 1, vcc
	s_waitcnt vmcnt(33)
	v_cmp_neq_f32_e32 vcc, 0, v88
	global_load_dword v120, v[5:6], off offset:3584
	global_load_dword v121, v[7:8], off
	v_cndmask_b32_e64 v88, 0, 1, vcc
	s_waitcnt vmcnt(34)
	v_cmp_neq_f32_e32 vcc, 0, v89
	v_cndmask_b32_e64 v89, 0, 1, vcc
	s_waitcnt vmcnt(33)
	v_cmp_neq_f32_e32 vcc, 0, v90
	global_load_dword v6, v[7:8], off offset:512
	global_load_dword v90, v[7:8], off offset:1024
	;; [unrolled: 1-line block ×6, first 2 shown]
	v_cndmask_b32_e64 v5, 0, 1, vcc
	s_waitcnt vmcnt(38)
	v_cmp_neq_f32_e32 vcc, 0, v91
	v_cndmask_b32_e64 v91, 0, 1, vcc
	s_waitcnt vmcnt(37)
	v_cmp_neq_f32_e32 vcc, 0, v92
	global_load_dword v126, v[7:8], off offset:3584
	global_load_dword v127, v[11:12], off
	v_cndmask_b32_e64 v92, 0, 1, vcc
	s_waitcnt vmcnt(38)
	v_cmp_neq_f32_e32 vcc, 0, v93
	v_cndmask_b32_e64 v93, 0, 1, vcc
	s_waitcnt vmcnt(37)
	v_cmp_neq_f32_e32 vcc, 0, v94
	global_load_dword v8, v[11:12], off offset:512
	global_load_dword v94, v[11:12], off offset:1024
	;; [unrolled: 1-line block ×5, first 2 shown]
	s_nop 0
	global_load_dword v11, v[11:12], off offset:3072
	v_cndmask_b32_e64 v7, 0, 1, vcc
	s_waitcnt vmcnt(42)
	v_cmp_neq_f32_e32 vcc, 0, v95
	v_cndmask_b32_e64 v95, 0, 1, vcc
	s_waitcnt vmcnt(41)
	v_cmp_neq_f32_e32 vcc, 0, v96
	;; [unrolled: 3-line block ×43, first 2 shown]
	v_cndmask_b32_e64 v11, 0, 1, vcc
	v_cmp_neq_f32_e32 vcc, 0, v41
	v_cndmask_b32_e64 v41, 0, 1, vcc
	v_cmp_neq_f32_e32 vcc, 0, v4
	;; [unrolled: 2-line block ×4, first 2 shown]
	v_addc_co_u32_e32 v2, vcc, v4, v2, vcc
	v_add_co_u32_e32 v2, vcc, v2, v13
	v_addc_co_u32_e64 v3, s[10:11], 0, 0, vcc
	v_add_co_u32_e32 v2, vcc, v2, v14
	v_addc_co_u32_e32 v3, vcc, 0, v3, vcc
	v_add_co_u32_e32 v2, vcc, v2, v15
	v_addc_co_u32_e32 v3, vcc, 0, v3, vcc
	;; [unrolled: 2-line block ×124, first 2 shown]
	s_nop 0
	v_mov_b32_dpp v5, v2 quad_perm:[1,0,3,2] row_mask:0xf bank_mask:0xf bound_ctrl:1
	v_add_co_u32_e32 v2, vcc, v2, v5
	v_addc_co_u32_e32 v4, vcc, 0, v4, vcc
	v_add_co_u32_e32 v5, vcc, 0, v2
	v_addc_co_u32_e32 v1, vcc, v1, v4, vcc
	v_mov_b32_dpp v2, v2 quad_perm:[2,3,0,1] row_mask:0xf bank_mask:0xf bound_ctrl:1
	v_add_co_u32_e32 v2, vcc, v5, v2
	v_mov_b32_dpp v4, v1 quad_perm:[2,3,0,1] row_mask:0xf bank_mask:0xf bound_ctrl:1
	v_addc_co_u32_e32 v1, vcc, 0, v1, vcc
	v_add_co_u32_e32 v5, vcc, 0, v2
	v_addc_co_u32_e32 v1, vcc, v1, v4, vcc
	v_mov_b32_dpp v2, v2 row_ror:4 row_mask:0xf bank_mask:0xf bound_ctrl:1
	v_add_co_u32_e32 v2, vcc, v5, v2
	v_mov_b32_dpp v4, v1 row_ror:4 row_mask:0xf bank_mask:0xf bound_ctrl:1
	v_addc_co_u32_e32 v1, vcc, 0, v1, vcc
	v_add_co_u32_e32 v5, vcc, 0, v2
	v_addc_co_u32_e32 v1, vcc, v1, v4, vcc
	v_mov_b32_dpp v2, v2 row_ror:8 row_mask:0xf bank_mask:0xf bound_ctrl:1
	v_add_co_u32_e32 v2, vcc, v5, v2
	v_mov_b32_dpp v4, v1 row_ror:8 row_mask:0xf bank_mask:0xf bound_ctrl:1
	v_addc_co_u32_e32 v1, vcc, 0, v1, vcc
	v_add_co_u32_e32 v5, vcc, 0, v2
	v_addc_co_u32_e32 v1, vcc, v1, v4, vcc
	v_mov_b32_dpp v2, v2 row_bcast:15 row_mask:0xf bank_mask:0xf bound_ctrl:1
	v_add_co_u32_e32 v2, vcc, v5, v2
	v_mov_b32_dpp v4, v1 row_bcast:15 row_mask:0xf bank_mask:0xf bound_ctrl:1
	v_addc_co_u32_e32 v1, vcc, 0, v1, vcc
	v_add_co_u32_e32 v5, vcc, 0, v2
	v_addc_co_u32_e32 v1, vcc, v1, v4, vcc
	v_mov_b32_dpp v2, v2 row_bcast:31 row_mask:0xf bank_mask:0xf bound_ctrl:1
	v_mbcnt_lo_u32_b32 v3, -1, 0
	v_add_co_u32_e32 v2, vcc, v5, v2
	v_mbcnt_hi_u32_b32 v3, -1, v3
	v_addc_co_u32_e32 v4, vcc, 0, v1, vcc
	v_cmp_eq_u32_e32 vcc, 0, v3
	s_nop 0
	v_add_u32_dpp v5, v1, v4 row_bcast:31 row_mask:0xf bank_mask:0xf bound_ctrl:1
	v_lshlrev_b32_e32 v4, 2, v3
	v_or_b32_e32 v6, 0xfc, v4
	ds_bpermute_b32 v1, v6, v2
	ds_bpermute_b32 v2, v6, v5
	s_and_saveexec_b64 s[10:11], vcc
	s_cbranch_execz .LBB248_7
; %bb.6:
	v_lshrrev_b32_e32 v5, 3, v0
	v_and_b32_e32 v5, 8, v5
	s_waitcnt lgkmcnt(0)
	ds_write_b64 v5, v[1:2]
.LBB248_7:
	s_or_b64 exec, exec, s[10:11]
	v_cmp_gt_u32_e32 vcc, 64, v0
	s_waitcnt lgkmcnt(0)
	s_barrier
	s_and_saveexec_b64 s[10:11], vcc
	s_cbranch_execz .LBB248_9
; %bb.8:
	v_and_b32_e32 v1, 1, v3
	v_lshlrev_b32_e32 v1, 3, v1
	ds_read_b64 v[1:2], v1
	v_or_b32_e32 v3, 4, v4
	s_waitcnt lgkmcnt(0)
	ds_bpermute_b32 v4, v3, v1
	ds_bpermute_b32 v3, v3, v2
	s_waitcnt lgkmcnt(1)
	v_add_co_u32_e32 v1, vcc, v1, v4
	v_addc_co_u32_e32 v2, vcc, 0, v2, vcc
	v_add_co_u32_e32 v1, vcc, 0, v1
	s_waitcnt lgkmcnt(0)
	v_addc_co_u32_e32 v2, vcc, v2, v3, vcc
.LBB248_9:
	s_or_b64 exec, exec, s[10:11]
	s_mov_b64 s[10:11], 0
	s_branch .LBB248_22
.LBB248_10:
	s_mov_b64 s[2:3], 0
                                        ; implicit-def: $vgpr1_vgpr2
                                        ; implicit-def: $vgpr3_vgpr4
	s_cbranch_execnz .LBB248_592
	s_branch .LBB248_731
.LBB248_11:
	s_mov_b64 s[2:3], 0
                                        ; implicit-def: $vgpr1_vgpr2
                                        ; implicit-def: $vgpr3_vgpr4
	s_cbranch_execnz .LBB248_442
	s_branch .LBB248_591
.LBB248_12:
	s_mov_b64 s[0:1], -1
	s_mov_b64 s[2:3], 0
                                        ; implicit-def: $vgpr1_vgpr2
                                        ; implicit-def: $vgpr3_vgpr4
.LBB248_13:
	s_and_b64 vcc, exec, s[0:1]
	s_cbranch_vccz .LBB248_441
.LBB248_14:
	s_cmp_eq_u32 s26, 64
                                        ; implicit-def: $vgpr1_vgpr2
                                        ; implicit-def: $vgpr3_vgpr4
	s_cbranch_scc0 .LBB248_441
; %bb.15:
	s_mov_b32 s7, 0
	s_lshl_b32 s2, s6, 13
	s_mov_b32 s3, s7
	s_lshr_b64 s[8:9], s[20:21], 13
	s_lshl_b64 s[0:1], s[2:3], 2
	s_add_u32 s0, s18, s0
	s_addc_u32 s1, s19, s1
	s_cmp_lg_u64 s[8:9], s[6:7]
	s_cbranch_scc0 .LBB248_295
; %bb.16:
	v_lshlrev_b32_e32 v5, 2, v0
	v_mov_b32_e32 v1, s1
	v_add_co_u32_e32 v9, vcc, s0, v5
	v_addc_co_u32_e32 v10, vcc, 0, v1, vcc
	s_movk_i32 s8, 0x2000
	v_add_co_u32_e32 v1, vcc, s8, v9
	global_load_dword v11, v5, s[0:1] offset:1536
	global_load_dword v12, v5, s[0:1] offset:2048
	global_load_dword v13, v5, s[0:1] offset:2560
	global_load_dword v14, v5, s[0:1] offset:3072
	global_load_dword v15, v5, s[0:1] offset:3584
	v_addc_co_u32_e32 v2, vcc, 0, v10, vcc
	global_load_dword v16, v[1:2], off offset:-4096
	s_movk_i32 s3, 0x1000
	v_add_co_u32_e32 v3, vcc, s3, v9
	v_addc_co_u32_e32 v4, vcc, 0, v10, vcc
	global_load_dword v17, v[3:4], off offset:512
	global_load_dword v18, v[3:4], off offset:1024
	global_load_dword v19, v5, s[0:1]
	global_load_dword v20, v5, s[0:1] offset:512
	global_load_dword v21, v5, s[0:1] offset:1024
	global_load_dword v23, v[3:4], off offset:1536
	global_load_dword v24, v[3:4], off offset:2048
	;; [unrolled: 1-line block ×5, first 2 shown]
	s_movk_i32 s3, 0x3000
	v_add_co_u32_e32 v5, vcc, s3, v9
	s_movk_i32 s8, 0x4000
	v_addc_co_u32_e32 v6, vcc, 0, v10, vcc
	v_add_co_u32_e32 v7, vcc, s8, v9
	s_movk_i32 s9, 0x7000
	v_addc_co_u32_e32 v8, vcc, 0, v10, vcc
	v_add_co_u32_e32 v3, vcc, s9, v9
	v_addc_co_u32_e32 v4, vcc, 0, v10, vcc
	global_load_dword v28, v[1:2], off
	global_load_dword v29, v[1:2], off offset:512
	global_load_dword v30, v[1:2], off offset:1024
	;; [unrolled: 1-line block ×14, first 2 shown]
                                        ; kill: killed $vgpr1 killed $vgpr2
                                        ; kill: killed $vgpr5 killed $vgpr6
	global_load_dword v43, v[7:8], off offset:-4096
	global_load_dword v44, v[7:8], off
	global_load_dword v45, v[3:4], off offset:1536
	global_load_dword v46, v[3:4], off offset:2048
	;; [unrolled: 1-line block ×9, first 2 shown]
	s_movk_i32 s8, 0x6000
	s_movk_i32 s3, 0x5000
	v_mov_b32_e32 v22, 0
	s_waitcnt vmcnt(41)
	v_cmp_neq_f32_e32 vcc, 0, v11
	v_cndmask_b32_e64 v11, 0, 1, vcc
	s_waitcnt vmcnt(40)
	v_cmp_neq_f32_e32 vcc, 0, v12
	v_cndmask_b32_e64 v12, 0, 1, vcc
	;; [unrolled: 3-line block ×7, first 2 shown]
	v_add_co_u32_e32 v1, vcc, s8, v9
	v_addc_co_u32_e32 v2, vcc, 0, v10, vcc
	global_load_dword v54, v[7:8], off offset:2560
	global_load_dword v55, v[7:8], off offset:3072
	;; [unrolled: 1-line block ×3, first 2 shown]
	global_load_dword v57, v[1:2], off offset:-4096
	v_add_co_u32_e32 v5, vcc, s3, v9
	v_addc_co_u32_e32 v6, vcc, 0, v10, vcc
	global_load_dword v7, v[5:6], off offset:512
	global_load_dword v8, v[5:6], off offset:1024
	s_waitcnt vmcnt(40)
	v_cmp_neq_f32_e32 vcc, 0, v18
	global_load_dword v10, v[5:6], off offset:1536
	global_load_dword v18, v[5:6], off offset:2048
	;; [unrolled: 1-line block ×4, first 2 shown]
	v_cndmask_b32_e64 v9, 0, 1, vcc
	s_waitcnt vmcnt(40)
	v_cmp_neq_f32_e32 vcc, 0, v23
	global_load_dword v60, v[5:6], off offset:3584
	global_load_dword v61, v[1:2], off
	v_cndmask_b32_e64 v23, 0, 1, vcc
	s_waitcnt vmcnt(41)
	v_cmp_neq_f32_e32 vcc, 0, v24
	v_cndmask_b32_e64 v24, 0, 1, vcc
	s_waitcnt vmcnt(40)
	v_cmp_neq_f32_e32 vcc, 0, v25
	global_load_dword v6, v[1:2], off offset:512
	global_load_dword v25, v[1:2], off offset:1024
	;; [unrolled: 1-line block ×6, first 2 shown]
	v_cndmask_b32_e64 v5, 0, 1, vcc
	s_waitcnt vmcnt(45)
	v_cmp_neq_f32_e32 vcc, 0, v26
	v_cndmask_b32_e64 v26, 0, 1, vcc
	s_waitcnt vmcnt(44)
	v_cmp_neq_f32_e32 vcc, 0, v27
	global_load_dword v66, v[1:2], off offset:3584
	global_load_dword v67, v[3:4], off
	v_cndmask_b32_e64 v27, 0, 1, vcc
	s_waitcnt vmcnt(45)
	v_cmp_neq_f32_e32 vcc, 0, v28
	v_cndmask_b32_e64 v28, 0, 1, vcc
	s_waitcnt vmcnt(44)
	v_cmp_neq_f32_e32 vcc, 0, v29
	global_load_dword v2, v[3:4], off offset:512
	global_load_dword v29, v[3:4], off offset:1024
	v_cndmask_b32_e64 v1, 0, 1, vcc
	s_waitcnt vmcnt(45)
	v_cmp_neq_f32_e32 vcc, 0, v30
	v_cndmask_b32_e64 v3, 0, 1, vcc
	s_waitcnt vmcnt(37)
	v_cmp_neq_f32_e32 vcc, 0, v38
	;; [unrolled: 3-line block ×7, first 2 shown]
	v_cndmask_b32_e64 v41, 0, 1, vcc
	v_cmp_neq_f32_e32 vcc, 0, v31
	v_cndmask_b32_e64 v31, 0, 1, vcc
	v_cmp_neq_f32_e32 vcc, 0, v32
	;; [unrolled: 2-line block ×7, first 2 shown]
	v_cndmask_b32_e64 v37, 0, 1, vcc
	s_waitcnt vmcnt(31)
	v_cmp_neq_f32_e32 vcc, 0, v44
	v_cndmask_b32_e64 v42, 0, 1, vcc
	s_waitcnt vmcnt(25)
	v_cmp_neq_f32_e32 vcc, 0, v50
	;; [unrolled: 3-line block ×27, first 2 shown]
	v_cndmask_b32_e64 v29, 0, 1, vcc
	v_cmp_neq_f32_e32 vcc, 0, v45
	v_cndmask_b32_e64 v45, 0, 1, vcc
	v_cmp_neq_f32_e32 vcc, 0, v46
	;; [unrolled: 2-line block ×8, first 2 shown]
	v_addc_co_u32_e32 v19, vcc, v20, v19, vcc
	v_add_co_u32_e32 v11, vcc, v19, v11
	v_addc_co_u32_e64 v19, s[8:9], 0, 0, vcc
	v_add_co_u32_e32 v11, vcc, v11, v12
	v_addc_co_u32_e32 v12, vcc, 0, v19, vcc
	v_add_co_u32_e32 v11, vcc, v11, v13
	v_addc_co_u32_e32 v12, vcc, 0, v12, vcc
	;; [unrolled: 2-line block ×60, first 2 shown]
	s_nop 0
	v_mov_b32_dpp v4, v1 quad_perm:[1,0,3,2] row_mask:0xf bank_mask:0xf bound_ctrl:1
	v_add_co_u32_e32 v1, vcc, v1, v4
	v_addc_co_u32_e32 v2, vcc, 0, v2, vcc
	v_mov_b32_dpp v5, v22 quad_perm:[1,0,3,2] row_mask:0xf bank_mask:0xf bound_ctrl:1
	v_add_co_u32_e32 v4, vcc, 0, v1
	v_addc_co_u32_e32 v2, vcc, v5, v2, vcc
	v_mov_b32_dpp v1, v1 quad_perm:[2,3,0,1] row_mask:0xf bank_mask:0xf bound_ctrl:1
	v_add_co_u32_e32 v1, vcc, v4, v1
	v_mov_b32_dpp v5, v2 quad_perm:[2,3,0,1] row_mask:0xf bank_mask:0xf bound_ctrl:1
	v_addc_co_u32_e32 v2, vcc, 0, v2, vcc
	v_add_co_u32_e32 v4, vcc, 0, v1
	v_addc_co_u32_e32 v2, vcc, v2, v5, vcc
	v_mov_b32_dpp v1, v1 row_ror:4 row_mask:0xf bank_mask:0xf bound_ctrl:1
	v_add_co_u32_e32 v1, vcc, v4, v1
	v_mov_b32_dpp v5, v2 row_ror:4 row_mask:0xf bank_mask:0xf bound_ctrl:1
	v_addc_co_u32_e32 v2, vcc, 0, v2, vcc
	v_add_co_u32_e32 v4, vcc, 0, v1
	v_addc_co_u32_e32 v2, vcc, v2, v5, vcc
	v_mov_b32_dpp v1, v1 row_ror:8 row_mask:0xf bank_mask:0xf bound_ctrl:1
	v_add_co_u32_e32 v1, vcc, v4, v1
	v_mov_b32_dpp v5, v2 row_ror:8 row_mask:0xf bank_mask:0xf bound_ctrl:1
	v_addc_co_u32_e32 v2, vcc, 0, v2, vcc
	v_add_co_u32_e32 v4, vcc, 0, v1
	v_addc_co_u32_e32 v2, vcc, v2, v5, vcc
	v_mov_b32_dpp v1, v1 row_bcast:15 row_mask:0xf bank_mask:0xf bound_ctrl:1
	v_add_co_u32_e32 v1, vcc, v4, v1
	v_mov_b32_dpp v5, v2 row_bcast:15 row_mask:0xf bank_mask:0xf bound_ctrl:1
	v_addc_co_u32_e32 v2, vcc, 0, v2, vcc
	v_add_co_u32_e32 v4, vcc, 0, v1
	v_addc_co_u32_e32 v2, vcc, v2, v5, vcc
	v_mov_b32_dpp v1, v1 row_bcast:31 row_mask:0xf bank_mask:0xf bound_ctrl:1
	v_mbcnt_lo_u32_b32 v3, -1, 0
	v_add_co_u32_e32 v1, vcc, v4, v1
	v_mbcnt_hi_u32_b32 v3, -1, v3
	v_addc_co_u32_e32 v4, vcc, 0, v2, vcc
	v_cmp_eq_u32_e32 vcc, 0, v3
	s_nop 0
	v_add_u32_dpp v2, v2, v4 row_bcast:31 row_mask:0xf bank_mask:0xf bound_ctrl:1
	v_lshlrev_b32_e32 v4, 2, v3
	v_or_b32_e32 v5, 0xfc, v4
	ds_bpermute_b32 v1, v5, v1
	ds_bpermute_b32 v2, v5, v2
	s_and_saveexec_b64 s[8:9], vcc
	s_cbranch_execz .LBB248_18
; %bb.17:
	v_lshrrev_b32_e32 v5, 3, v0
	v_and_b32_e32 v5, 8, v5
	s_waitcnt lgkmcnt(0)
	ds_write_b64 v5, v[1:2] offset:96
.LBB248_18:
	s_or_b64 exec, exec, s[8:9]
	v_cmp_gt_u32_e32 vcc, 64, v0
	s_waitcnt lgkmcnt(0)
	s_barrier
	s_and_saveexec_b64 s[8:9], vcc
	s_cbranch_execz .LBB248_20
; %bb.19:
	v_and_b32_e32 v1, 1, v3
	v_lshlrev_b32_e32 v1, 3, v1
	ds_read_b64 v[1:2], v1 offset:96
	v_or_b32_e32 v3, 4, v4
	s_waitcnt lgkmcnt(0)
	ds_bpermute_b32 v4, v3, v1
	ds_bpermute_b32 v3, v3, v2
	s_waitcnt lgkmcnt(1)
	v_add_co_u32_e32 v1, vcc, v1, v4
	v_addc_co_u32_e32 v2, vcc, 0, v2, vcc
	v_add_co_u32_e32 v1, vcc, 0, v1
	s_waitcnt lgkmcnt(0)
	v_addc_co_u32_e32 v2, vcc, v2, v3, vcc
.LBB248_20:
	s_or_b64 exec, exec, s[8:9]
	s_mov_b64 s[8:9], 0
	s_branch .LBB248_296
.LBB248_21:
	s_mov_b64 s[10:11], -1
                                        ; implicit-def: $vgpr1_vgpr2
.LBB248_22:
	s_and_b64 vcc, exec, s[10:11]
	s_cbranch_vccz .LBB248_294
; %bb.23:
	s_sub_i32 s10, s20, s8
	v_cmp_gt_u32_e32 vcc, s10, v0
                                        ; implicit-def: $vgpr1_vgpr2
                                        ; kill: killed $vgpr1_vgpr2
	s_and_saveexec_b64 s[8:9], vcc
	s_cbranch_execz .LBB248_25
; %bb.24:
	v_lshlrev_b32_e32 v1, 2, v0
	global_load_dword v1, v1, s[2:3]
	s_mov_b32 s11, 0
	v_mov_b32_e32 v2, s11
	s_waitcnt vmcnt(0)
	v_cmp_neq_f32_e32 vcc, 0, v1
	v_cndmask_b32_e64 v1, 0, 1, vcc
	buffer_store_dword v1, off, s[36:39], 0 offset:8 ; 4-byte Folded Spill
	s_nop 0
	buffer_store_dword v2, off, s[36:39], 0 offset:12 ; 4-byte Folded Spill
.LBB248_25:
	s_or_b64 exec, exec, s[8:9]
	v_or_b32_e32 v1, 0x80, v0
	v_mov_b32_e32 v2, 0
	v_mov_b32_e32 v5, 0
	;; [unrolled: 1-line block ×4, first 2 shown]
	v_cmp_gt_u32_e32 vcc, s10, v1
	s_and_saveexec_b64 s[8:9], vcc
	s_cbranch_execz .LBB248_27
; %bb.26:
	v_lshlrev_b32_e32 v1, 2, v0
	global_load_dword v1, v1, s[2:3] offset:512
	s_mov_b32 s11, 0
	v_mov_b32_e32 v6, s11
	s_waitcnt vmcnt(0)
	v_cmp_neq_f32_e32 vcc, 0, v1
	v_cndmask_b32_e64 v5, 0, 1, vcc
.LBB248_27:
	s_or_b64 exec, exec, s[8:9]
	v_or_b32_e32 v1, 0x100, v0
	v_cmp_gt_u32_e32 vcc, s10, v1
	s_and_saveexec_b64 s[8:9], vcc
	s_cbranch_execz .LBB248_29
; %bb.28:
	v_lshlrev_b32_e32 v1, 2, v0
	global_load_dword v1, v1, s[2:3] offset:1024
	s_mov_b32 s11, 0
	v_mov_b32_e32 v3, s11
	s_waitcnt vmcnt(0)
	v_cmp_neq_f32_e32 vcc, 0, v1
	v_cndmask_b32_e64 v2, 0, 1, vcc
.LBB248_29:
	s_or_b64 exec, exec, s[8:9]
	v_or_b32_e32 v1, 0x180, v0
	v_mov_b32_e32 v7, 0
	v_mov_b32_e32 v9, 0
	;; [unrolled: 1-line block ×4, first 2 shown]
	v_cmp_gt_u32_e32 vcc, s10, v1
	buffer_store_dword v7, off, s[36:39], 0 ; 4-byte Folded Spill
	s_nop 0
	buffer_store_dword v8, off, s[36:39], 0 offset:4 ; 4-byte Folded Spill
	s_and_saveexec_b64 s[8:9], vcc
	s_cbranch_execz .LBB248_31
; %bb.30:
	v_lshlrev_b32_e32 v1, 2, v0
	global_load_dword v1, v1, s[2:3] offset:1536
	s_mov_b32 s11, 0
	v_mov_b32_e32 v10, s11
	s_waitcnt vmcnt(0)
	v_cmp_neq_f32_e32 vcc, 0, v1
	v_cndmask_b32_e64 v9, 0, 1, vcc
.LBB248_31:
	s_or_b64 exec, exec, s[8:9]
	v_or_b32_e32 v1, 0x200, v0
	v_cmp_gt_u32_e32 vcc, s10, v1
	s_and_saveexec_b64 s[8:9], vcc
	s_cbranch_execz .LBB248_33
; %bb.32:
	v_lshlrev_b32_e32 v1, 2, v0
	global_load_dword v1, v1, s[2:3] offset:2048
	s_mov_b32 s11, 0
	v_mov_b32_e32 v8, s11
	s_waitcnt vmcnt(0)
	v_cmp_neq_f32_e32 vcc, 0, v1
	v_cndmask_b32_e64 v7, 0, 1, vcc
	buffer_store_dword v7, off, s[36:39], 0 ; 4-byte Folded Spill
	s_nop 0
	buffer_store_dword v8, off, s[36:39], 0 offset:4 ; 4-byte Folded Spill
.LBB248_33:
	s_or_b64 exec, exec, s[8:9]
	v_or_b32_e32 v1, 0x280, v0
	v_mov_b32_e32 v11, 0
	v_mov_b32_e32 v13, 0
	;; [unrolled: 1-line block ×4, first 2 shown]
	v_cmp_gt_u32_e32 vcc, s10, v1
	s_and_saveexec_b64 s[8:9], vcc
	s_cbranch_execz .LBB248_35
; %bb.34:
	v_lshlrev_b32_e32 v1, 2, v0
	global_load_dword v1, v1, s[2:3] offset:2560
	s_mov_b32 s11, 0
	v_mov_b32_e32 v14, s11
	s_waitcnt vmcnt(0)
	v_cmp_neq_f32_e32 vcc, 0, v1
	v_cndmask_b32_e64 v13, 0, 1, vcc
.LBB248_35:
	s_or_b64 exec, exec, s[8:9]
	v_or_b32_e32 v1, 0x300, v0
	v_cmp_gt_u32_e32 vcc, s10, v1
	s_and_saveexec_b64 s[8:9], vcc
	s_cbranch_execz .LBB248_37
; %bb.36:
	v_lshlrev_b32_e32 v1, 2, v0
	global_load_dword v1, v1, s[2:3] offset:3072
	s_mov_b32 s11, 0
	v_mov_b32_e32 v12, s11
	s_waitcnt vmcnt(0)
	v_cmp_neq_f32_e32 vcc, 0, v1
	v_cndmask_b32_e64 v11, 0, 1, vcc
.LBB248_37:
	s_or_b64 exec, exec, s[8:9]
	v_or_b32_e32 v1, 0x380, v0
	v_mov_b32_e32 v15, 0
	v_mov_b32_e32 v17, 0
	v_mov_b32_e32 v16, 0
	v_mov_b32_e32 v18, 0
	v_cmp_gt_u32_e32 vcc, s10, v1
	s_and_saveexec_b64 s[8:9], vcc
	s_cbranch_execz .LBB248_39
; %bb.38:
	v_lshlrev_b32_e32 v1, 2, v0
	global_load_dword v1, v1, s[2:3] offset:3584
	s_mov_b32 s11, 0
	v_mov_b32_e32 v18, s11
	s_waitcnt vmcnt(0)
	v_cmp_neq_f32_e32 vcc, 0, v1
	v_cndmask_b32_e64 v17, 0, 1, vcc
.LBB248_39:
	s_or_b64 exec, exec, s[8:9]
	v_or_b32_e32 v1, 0x400, v0
	v_cmp_gt_u32_e32 vcc, s10, v1
	s_and_saveexec_b64 s[8:9], vcc
	s_cbranch_execz .LBB248_41
; %bb.40:
	v_lshlrev_b32_e32 v1, 2, v1
	global_load_dword v1, v1, s[2:3]
	s_mov_b32 s11, 0
	v_mov_b32_e32 v16, s11
	s_waitcnt vmcnt(0)
	v_cmp_neq_f32_e32 vcc, 0, v1
	v_cndmask_b32_e64 v15, 0, 1, vcc
.LBB248_41:
	s_or_b64 exec, exec, s[8:9]
	v_or_b32_e32 v1, 0x480, v0
	v_mov_b32_e32 v19, 0
	v_mov_b32_e32 v21, 0
	v_mov_b32_e32 v20, 0
	v_mov_b32_e32 v22, 0
	v_cmp_gt_u32_e32 vcc, s10, v1
	s_and_saveexec_b64 s[8:9], vcc
	s_cbranch_execz .LBB248_43
; %bb.42:
	v_lshlrev_b32_e32 v1, 2, v1
	global_load_dword v1, v1, s[2:3]
	s_mov_b32 s11, 0
	v_mov_b32_e32 v22, s11
	s_waitcnt vmcnt(0)
	v_cmp_neq_f32_e32 vcc, 0, v1
	v_cndmask_b32_e64 v21, 0, 1, vcc
.LBB248_43:
	s_or_b64 exec, exec, s[8:9]
	v_or_b32_e32 v1, 0x500, v0
	v_cmp_gt_u32_e32 vcc, s10, v1
	s_and_saveexec_b64 s[8:9], vcc
	s_cbranch_execz .LBB248_45
; %bb.44:
	v_lshlrev_b32_e32 v1, 2, v1
	global_load_dword v1, v1, s[2:3]
	s_mov_b32 s11, 0
	v_mov_b32_e32 v20, s11
	s_waitcnt vmcnt(0)
	v_cmp_neq_f32_e32 vcc, 0, v1
	v_cndmask_b32_e64 v19, 0, 1, vcc
.LBB248_45:
	s_or_b64 exec, exec, s[8:9]
	v_or_b32_e32 v1, 0x580, v0
	v_mov_b32_e32 v23, 0
	v_mov_b32_e32 v25, 0
	v_mov_b32_e32 v24, 0
	v_mov_b32_e32 v26, 0
	v_cmp_gt_u32_e32 vcc, s10, v1
	s_and_saveexec_b64 s[8:9], vcc
	s_cbranch_execz .LBB248_47
; %bb.46:
	v_lshlrev_b32_e32 v1, 2, v1
	global_load_dword v1, v1, s[2:3]
	s_mov_b32 s11, 0
	v_mov_b32_e32 v26, s11
	s_waitcnt vmcnt(0)
	v_cmp_neq_f32_e32 vcc, 0, v1
	v_cndmask_b32_e64 v25, 0, 1, vcc
.LBB248_47:
	;; [unrolled: 32-line block ×59, first 2 shown]
	s_or_b64 exec, exec, s[8:9]
	v_or_b32_e32 v1, 0x3f00, v0
	v_cmp_gt_u32_e32 vcc, s10, v1
	s_and_saveexec_b64 s[8:9], vcc
	s_cbranch_execz .LBB248_277
; %bb.276:
	v_lshlrev_b32_e32 v1, 2, v1
	global_load_dword v1, v1, s[2:3]
	s_mov_b32 s11, 0
	v_mov_b32_e32 v252, s11
	s_waitcnt vmcnt(0)
	v_cmp_neq_f32_e32 vcc, 0, v1
	v_cndmask_b32_e64 v251, 0, 1, vcc
.LBB248_277:
	s_or_b64 exec, exec, s[8:9]
	v_mov_b32_e32 v8, v3
	v_mov_b32_e32 v7, v2
	v_or_b32_e32 v255, 0x3f80, v0
	v_mov_b32_e32 v1, 0
	v_mov_b32_e32 v2, 0
	v_cmp_gt_u32_e32 vcc, s10, v255
	s_and_saveexec_b64 s[8:9], vcc
	s_cbranch_execz .LBB248_279
; %bb.278:
	v_lshlrev_b32_e32 v1, 2, v255
	global_load_dword v1, v1, s[2:3]
	s_mov_b32 s2, 0
	v_mov_b32_e32 v2, s2
	s_waitcnt vmcnt(0)
	v_cmp_neq_f32_e32 vcc, 0, v1
	v_cndmask_b32_e64 v1, 0, 1, vcc
.LBB248_279:
	s_or_b64 exec, exec, s[8:9]
	buffer_load_dword v3, off, s[36:39], 0 offset:8 ; 4-byte Folded Reload
	buffer_load_dword v4, off, s[36:39], 0 offset:12 ; 4-byte Folded Reload
	s_min_u32 s8, s10, 0x80
	s_waitcnt vmcnt(1)
	v_add_co_u32_e32 v5, vcc, v5, v3
	s_waitcnt vmcnt(0)
	v_addc_co_u32_e32 v6, vcc, v6, v4, vcc
	v_add_co_u32_e32 v3, vcc, v5, v7
	v_addc_co_u32_e32 v4, vcc, v6, v8, vcc
	buffer_load_dword v5, off, s[36:39], 0  ; 4-byte Folded Reload
	buffer_load_dword v6, off, s[36:39], 0 offset:4 ; 4-byte Folded Reload
	v_add_co_u32_e32 v3, vcc, v3, v9
	v_addc_co_u32_e32 v4, vcc, v4, v10, vcc
	s_waitcnt vmcnt(1)
	v_add_co_u32_e32 v3, vcc, v3, v5
	s_waitcnt vmcnt(0)
	v_addc_co_u32_e32 v4, vcc, v4, v6, vcc
	v_add_co_u32_e32 v3, vcc, v3, v13
	v_addc_co_u32_e32 v4, vcc, v4, v14, vcc
	v_add_co_u32_e32 v3, vcc, v3, v11
	;; [unrolled: 2-line block ×123, first 2 shown]
	v_mbcnt_lo_u32_b32 v3, -1, 0
	v_mbcnt_hi_u32_b32 v3, -1, v3
	v_addc_co_u32_e32 v2, vcc, v4, v2, vcc
	v_and_b32_e32 v4, 63, v3
	v_cmp_ne_u32_e32 vcc, 63, v4
	v_addc_co_u32_e32 v6, vcc, 0, v3, vcc
	v_lshlrev_b32_e32 v6, 2, v6
	ds_bpermute_b32 v8, v6, v1
	ds_bpermute_b32 v7, v6, v2
	v_and_b32_e32 v5, 64, v0
	v_sub_u32_e64 v5, s8, v5 clamp
	v_add_u32_e32 v6, 1, v4
	v_cmp_lt_u32_e32 vcc, v6, v5
	v_mov_b32_e32 v6, v1
	s_and_saveexec_b64 s[2:3], vcc
	s_cbranch_execz .LBB248_281
; %bb.280:
	s_waitcnt lgkmcnt(1)
	v_add_co_u32_e32 v6, vcc, v1, v8
	v_addc_co_u32_e32 v2, vcc, 0, v2, vcc
	v_add_co_u32_e32 v1, vcc, 0, v6
	s_waitcnt lgkmcnt(0)
	v_addc_co_u32_e32 v2, vcc, v7, v2, vcc
.LBB248_281:
	s_or_b64 exec, exec, s[2:3]
	v_cmp_gt_u32_e32 vcc, 62, v4
	s_waitcnt lgkmcnt(0)
	v_cndmask_b32_e64 v7, 0, 2, vcc
	v_add_lshl_u32 v7, v7, v3, 2
	ds_bpermute_b32 v8, v7, v6
	ds_bpermute_b32 v7, v7, v2
	v_add_u32_e32 v9, 2, v4
	v_cmp_lt_u32_e32 vcc, v9, v5
	s_and_saveexec_b64 s[2:3], vcc
	s_cbranch_execz .LBB248_283
; %bb.282:
	s_waitcnt lgkmcnt(1)
	v_add_co_u32_e32 v6, vcc, v1, v8
	v_addc_co_u32_e32 v2, vcc, 0, v2, vcc
	v_add_co_u32_e32 v1, vcc, 0, v6
	s_waitcnt lgkmcnt(0)
	v_addc_co_u32_e32 v2, vcc, v7, v2, vcc
.LBB248_283:
	s_or_b64 exec, exec, s[2:3]
	v_cmp_gt_u32_e32 vcc, 60, v4
	s_waitcnt lgkmcnt(0)
	v_cndmask_b32_e64 v7, 0, 4, vcc
	v_add_lshl_u32 v7, v7, v3, 2
	ds_bpermute_b32 v8, v7, v6
	ds_bpermute_b32 v7, v7, v2
	v_add_u32_e32 v9, 4, v4
	v_cmp_lt_u32_e32 vcc, v9, v5
	;; [unrolled: 19-line block ×4, first 2 shown]
	s_and_saveexec_b64 s[2:3], vcc
	s_cbranch_execz .LBB248_289
; %bb.288:
	s_waitcnt lgkmcnt(1)
	v_add_co_u32_e32 v6, vcc, v1, v8
	v_addc_co_u32_e32 v2, vcc, 0, v2, vcc
	v_add_co_u32_e32 v1, vcc, 0, v6
	s_waitcnt lgkmcnt(0)
	v_addc_co_u32_e32 v2, vcc, v7, v2, vcc
.LBB248_289:
	s_or_b64 exec, exec, s[2:3]
	s_waitcnt lgkmcnt(0)
	v_lshlrev_b32_e32 v7, 2, v3
	v_or_b32_e32 v8, 0x80, v7
	ds_bpermute_b32 v6, v8, v6
	ds_bpermute_b32 v8, v8, v2
	v_add_u32_e32 v4, 32, v4
	s_waitcnt lgkmcnt(1)
	v_add_co_u32_e32 v6, vcc, v1, v6
	v_addc_co_u32_e32 v9, vcc, 0, v2, vcc
	v_add_co_u32_e32 v6, vcc, 0, v6
	s_waitcnt lgkmcnt(0)
	v_addc_co_u32_e32 v8, vcc, v9, v8, vcc
	v_cmp_lt_u32_e32 vcc, v4, v5
	v_cndmask_b32_e32 v2, v2, v8, vcc
	v_cndmask_b32_e32 v1, v1, v6, vcc
	v_cmp_eq_u32_e32 vcc, 0, v3
	s_and_saveexec_b64 s[2:3], vcc
; %bb.290:
	v_lshrrev_b32_e32 v4, 3, v0
	v_and_b32_e32 v4, 8, v4
	ds_write_b64 v4, v[1:2] offset:128
; %bb.291:
	s_or_b64 exec, exec, s[2:3]
	v_cmp_gt_u32_e32 vcc, 2, v0
	s_waitcnt lgkmcnt(0)
	s_barrier
	s_and_saveexec_b64 s[2:3], vcc
	s_cbranch_execz .LBB248_293
; %bb.292:
	v_lshlrev_b32_e32 v1, 3, v3
	ds_read_b64 v[1:2], v1 offset:128
	v_or_b32_e32 v4, 4, v7
	s_add_i32 s8, s8, 63
	v_and_b32_e32 v3, 1, v3
	s_lshr_b32 s8, s8, 6
	s_waitcnt lgkmcnt(0)
	ds_bpermute_b32 v5, v4, v2
	ds_bpermute_b32 v4, v4, v1
	v_add_u32_e32 v3, 1, v3
	v_cmp_gt_u32_e32 vcc, s8, v3
	s_waitcnt lgkmcnt(1)
	v_cndmask_b32_e32 v3, 0, v5, vcc
	s_waitcnt lgkmcnt(0)
	v_cndmask_b32_e32 v4, 0, v4, vcc
	v_add_co_u32_e32 v1, vcc, v4, v1
	v_addc_co_u32_e32 v2, vcc, v3, v2, vcc
.LBB248_293:
	s_or_b64 exec, exec, s[2:3]
.LBB248_294:
	v_mov_b32_e32 v3, s6
	v_cmp_eq_u32_e64 s[2:3], 0, v0
	v_mov_b32_e32 v4, s7
	s_and_b64 vcc, exec, s[0:1]
	s_cbranch_vccnz .LBB248_14
	s_branch .LBB248_441
.LBB248_295:
	s_mov_b64 s[8:9], -1
                                        ; implicit-def: $vgpr1_vgpr2
.LBB248_296:
	s_and_b64 vcc, exec, s[8:9]
	s_cbranch_vccz .LBB248_440
; %bb.297:
	s_sub_i32 s8, s20, s2
	v_cmp_gt_u32_e32 vcc, s8, v0
                                        ; implicit-def: $vgpr1_vgpr2
	s_and_saveexec_b64 s[2:3], vcc
	s_cbranch_execz .LBB248_299
; %bb.298:
	v_lshlrev_b32_e32 v1, 2, v0
	global_load_dword v1, v1, s[0:1]
	s_mov_b32 s9, 0
	v_mov_b32_e32 v2, s9
	s_waitcnt vmcnt(0)
	v_cmp_neq_f32_e32 vcc, 0, v1
	v_cndmask_b32_e64 v1, 0, 1, vcc
.LBB248_299:
	s_or_b64 exec, exec, s[2:3]
	v_or_b32_e32 v7, 0x80, v0
	v_mov_b32_e32 v3, 0
	v_mov_b32_e32 v5, 0
	v_mov_b32_e32 v4, 0
	v_mov_b32_e32 v6, 0
	v_cmp_gt_u32_e32 vcc, s8, v7
	s_and_saveexec_b64 s[2:3], vcc
	s_cbranch_execz .LBB248_301
; %bb.300:
	v_lshlrev_b32_e32 v5, 2, v0
	global_load_dword v5, v5, s[0:1] offset:512
	s_mov_b32 s9, 0
	v_mov_b32_e32 v6, s9
	s_waitcnt vmcnt(0)
	v_cmp_neq_f32_e32 vcc, 0, v5
	v_cndmask_b32_e64 v5, 0, 1, vcc
.LBB248_301:
	s_or_b64 exec, exec, s[2:3]
	v_or_b32_e32 v7, 0x100, v0
	v_cmp_gt_u32_e32 vcc, s8, v7
	s_and_saveexec_b64 s[2:3], vcc
	s_cbranch_execz .LBB248_303
; %bb.302:
	v_lshlrev_b32_e32 v3, 2, v0
	global_load_dword v3, v3, s[0:1] offset:1024
	s_mov_b32 s9, 0
	v_mov_b32_e32 v4, s9
	s_waitcnt vmcnt(0)
	v_cmp_neq_f32_e32 vcc, 0, v3
	v_cndmask_b32_e64 v3, 0, 1, vcc
.LBB248_303:
	s_or_b64 exec, exec, s[2:3]
	v_or_b32_e32 v11, 0x180, v0
	v_mov_b32_e32 v7, 0
	v_mov_b32_e32 v9, 0
	v_mov_b32_e32 v8, 0
	v_mov_b32_e32 v10, 0
	v_cmp_gt_u32_e32 vcc, s8, v11
	s_and_saveexec_b64 s[2:3], vcc
	s_cbranch_execz .LBB248_305
; %bb.304:
	v_lshlrev_b32_e32 v9, 2, v0
	global_load_dword v9, v9, s[0:1] offset:1536
	s_mov_b32 s9, 0
	v_mov_b32_e32 v10, s9
	s_waitcnt vmcnt(0)
	v_cmp_neq_f32_e32 vcc, 0, v9
	v_cndmask_b32_e64 v9, 0, 1, vcc
.LBB248_305:
	s_or_b64 exec, exec, s[2:3]
	v_or_b32_e32 v11, 0x200, v0
	v_cmp_gt_u32_e32 vcc, s8, v11
	s_and_saveexec_b64 s[2:3], vcc
	s_cbranch_execz .LBB248_307
; %bb.306:
	v_lshlrev_b32_e32 v7, 2, v0
	global_load_dword v7, v7, s[0:1] offset:2048
	s_mov_b32 s9, 0
	v_mov_b32_e32 v8, s9
	s_waitcnt vmcnt(0)
	v_cmp_neq_f32_e32 vcc, 0, v7
	v_cndmask_b32_e64 v7, 0, 1, vcc
.LBB248_307:
	;; [unrolled: 32-line block ×3, first 2 shown]
	s_or_b64 exec, exec, s[2:3]
	v_or_b32_e32 v19, 0x380, v0
	v_mov_b32_e32 v15, 0
	v_mov_b32_e32 v17, 0
	;; [unrolled: 1-line block ×4, first 2 shown]
	v_cmp_gt_u32_e32 vcc, s8, v19
	s_and_saveexec_b64 s[2:3], vcc
	s_cbranch_execz .LBB248_313
; %bb.312:
	v_lshlrev_b32_e32 v17, 2, v0
	global_load_dword v17, v17, s[0:1] offset:3584
	s_mov_b32 s9, 0
	v_mov_b32_e32 v18, s9
	s_waitcnt vmcnt(0)
	v_cmp_neq_f32_e32 vcc, 0, v17
	v_cndmask_b32_e64 v17, 0, 1, vcc
.LBB248_313:
	s_or_b64 exec, exec, s[2:3]
	v_or_b32_e32 v19, 0x400, v0
	v_cmp_gt_u32_e32 vcc, s8, v19
	s_and_saveexec_b64 s[2:3], vcc
	s_cbranch_execz .LBB248_315
; %bb.314:
	v_lshlrev_b32_e32 v15, 2, v19
	global_load_dword v15, v15, s[0:1]
	s_mov_b32 s9, 0
	v_mov_b32_e32 v16, s9
	s_waitcnt vmcnt(0)
	v_cmp_neq_f32_e32 vcc, 0, v15
	v_cndmask_b32_e64 v15, 0, 1, vcc
.LBB248_315:
	s_or_b64 exec, exec, s[2:3]
	v_or_b32_e32 v23, 0x480, v0
	v_mov_b32_e32 v19, 0
	v_mov_b32_e32 v21, 0
	v_mov_b32_e32 v20, 0
	v_mov_b32_e32 v22, 0
	v_cmp_gt_u32_e32 vcc, s8, v23
	s_and_saveexec_b64 s[2:3], vcc
	s_cbranch_execz .LBB248_317
; %bb.316:
	v_lshlrev_b32_e32 v21, 2, v23
	global_load_dword v21, v21, s[0:1]
	s_mov_b32 s9, 0
	v_mov_b32_e32 v22, s9
	s_waitcnt vmcnt(0)
	v_cmp_neq_f32_e32 vcc, 0, v21
	v_cndmask_b32_e64 v21, 0, 1, vcc
.LBB248_317:
	s_or_b64 exec, exec, s[2:3]
	v_or_b32_e32 v23, 0x500, v0
	v_cmp_gt_u32_e32 vcc, s8, v23
	s_and_saveexec_b64 s[2:3], vcc
	s_cbranch_execz .LBB248_319
; %bb.318:
	v_lshlrev_b32_e32 v19, 2, v23
	global_load_dword v19, v19, s[0:1]
	s_mov_b32 s9, 0
	v_mov_b32_e32 v20, s9
	s_waitcnt vmcnt(0)
	v_cmp_neq_f32_e32 vcc, 0, v19
	v_cndmask_b32_e64 v19, 0, 1, vcc
.LBB248_319:
	s_or_b64 exec, exec, s[2:3]
	v_or_b32_e32 v27, 0x580, v0
	v_mov_b32_e32 v23, 0
	v_mov_b32_e32 v25, 0
	v_mov_b32_e32 v24, 0
	v_mov_b32_e32 v26, 0
	v_cmp_gt_u32_e32 vcc, s8, v27
	s_and_saveexec_b64 s[2:3], vcc
	s_cbranch_execz .LBB248_321
; %bb.320:
	v_lshlrev_b32_e32 v25, 2, v27
	global_load_dword v25, v25, s[0:1]
	s_mov_b32 s9, 0
	v_mov_b32_e32 v26, s9
	s_waitcnt vmcnt(0)
	v_cmp_neq_f32_e32 vcc, 0, v25
	v_cndmask_b32_e64 v25, 0, 1, vcc
.LBB248_321:
	;; [unrolled: 32-line block ×27, first 2 shown]
	s_or_b64 exec, exec, s[2:3]
	v_or_b32_e32 v127, 0x1f00, v0
	v_cmp_gt_u32_e32 vcc, s8, v127
	s_and_saveexec_b64 s[2:3], vcc
	s_cbranch_execz .LBB248_423
; %bb.422:
	v_lshlrev_b32_e32 v123, 2, v127
	global_load_dword v123, v123, s[0:1]
	s_mov_b32 s9, 0
	v_mov_b32_e32 v124, s9
	s_waitcnt vmcnt(0)
	v_cmp_neq_f32_e32 vcc, 0, v123
	v_cndmask_b32_e64 v123, 0, 1, vcc
.LBB248_423:
	s_or_b64 exec, exec, s[2:3]
	v_or_b32_e32 v129, 0x1f80, v0
	v_mov_b32_e32 v127, 0
	v_mov_b32_e32 v128, 0
	v_cmp_gt_u32_e32 vcc, s8, v129
	s_and_saveexec_b64 s[2:3], vcc
	s_cbranch_execz .LBB248_425
; %bb.424:
	v_lshlrev_b32_e32 v127, 2, v129
	global_load_dword v127, v127, s[0:1]
	s_mov_b32 s0, 0
	v_mov_b32_e32 v128, s0
	s_waitcnt vmcnt(0)
	v_cmp_neq_f32_e32 vcc, 0, v127
	v_cndmask_b32_e64 v127, 0, 1, vcc
.LBB248_425:
	s_or_b64 exec, exec, s[2:3]
	v_add_co_u32_e32 v1, vcc, v5, v1
	v_addc_co_u32_e32 v2, vcc, v6, v2, vcc
	v_add_co_u32_e32 v1, vcc, v1, v3
	v_addc_co_u32_e32 v2, vcc, v2, v4, vcc
	;; [unrolled: 2-line block ×62, first 2 shown]
	v_mbcnt_lo_u32_b32 v3, -1, 0
	v_add_co_u32_e32 v1, vcc, v1, v127
	v_mbcnt_hi_u32_b32 v3, -1, v3
	v_addc_co_u32_e32 v2, vcc, v2, v128, vcc
	v_and_b32_e32 v4, 63, v3
	v_cmp_ne_u32_e32 vcc, 63, v4
	v_addc_co_u32_e32 v6, vcc, 0, v3, vcc
	v_lshlrev_b32_e32 v6, 2, v6
	ds_bpermute_b32 v8, v6, v1
	ds_bpermute_b32 v7, v6, v2
	s_min_u32 s2, s8, 0x80
	v_and_b32_e32 v5, 64, v0
	v_sub_u32_e64 v5, s2, v5 clamp
	v_add_u32_e32 v6, 1, v4
	v_cmp_lt_u32_e32 vcc, v6, v5
	v_mov_b32_e32 v6, v1
	s_and_saveexec_b64 s[0:1], vcc
	s_cbranch_execz .LBB248_427
; %bb.426:
	s_waitcnt lgkmcnt(1)
	v_add_co_u32_e32 v6, vcc, v1, v8
	v_addc_co_u32_e32 v2, vcc, 0, v2, vcc
	v_add_co_u32_e32 v1, vcc, 0, v6
	s_waitcnt lgkmcnt(0)
	v_addc_co_u32_e32 v2, vcc, v7, v2, vcc
.LBB248_427:
	s_or_b64 exec, exec, s[0:1]
	v_cmp_gt_u32_e32 vcc, 62, v4
	s_waitcnt lgkmcnt(0)
	v_cndmask_b32_e64 v7, 0, 2, vcc
	v_add_lshl_u32 v7, v7, v3, 2
	ds_bpermute_b32 v8, v7, v6
	ds_bpermute_b32 v7, v7, v2
	v_add_u32_e32 v9, 2, v4
	v_cmp_lt_u32_e32 vcc, v9, v5
	s_and_saveexec_b64 s[0:1], vcc
	s_cbranch_execz .LBB248_429
; %bb.428:
	s_waitcnt lgkmcnt(1)
	v_add_co_u32_e32 v6, vcc, v1, v8
	v_addc_co_u32_e32 v2, vcc, 0, v2, vcc
	v_add_co_u32_e32 v1, vcc, 0, v6
	s_waitcnt lgkmcnt(0)
	v_addc_co_u32_e32 v2, vcc, v7, v2, vcc
.LBB248_429:
	s_or_b64 exec, exec, s[0:1]
	v_cmp_gt_u32_e32 vcc, 60, v4
	s_waitcnt lgkmcnt(0)
	v_cndmask_b32_e64 v7, 0, 4, vcc
	v_add_lshl_u32 v7, v7, v3, 2
	ds_bpermute_b32 v8, v7, v6
	ds_bpermute_b32 v7, v7, v2
	v_add_u32_e32 v9, 4, v4
	v_cmp_lt_u32_e32 vcc, v9, v5
	s_and_saveexec_b64 s[0:1], vcc
	s_cbranch_execz .LBB248_431
; %bb.430:
	s_waitcnt lgkmcnt(1)
	v_add_co_u32_e32 v6, vcc, v1, v8
	v_addc_co_u32_e32 v2, vcc, 0, v2, vcc
	v_add_co_u32_e32 v1, vcc, 0, v6
	s_waitcnt lgkmcnt(0)
	v_addc_co_u32_e32 v2, vcc, v7, v2, vcc
.LBB248_431:
	s_or_b64 exec, exec, s[0:1]
	v_cmp_gt_u32_e32 vcc, 56, v4
	s_waitcnt lgkmcnt(0)
	v_cndmask_b32_e64 v7, 0, 8, vcc
	v_add_lshl_u32 v7, v7, v3, 2
	ds_bpermute_b32 v8, v7, v6
	ds_bpermute_b32 v7, v7, v2
	v_add_u32_e32 v9, 8, v4
	v_cmp_lt_u32_e32 vcc, v9, v5
	s_and_saveexec_b64 s[0:1], vcc
	s_cbranch_execz .LBB248_433
; %bb.432:
	s_waitcnt lgkmcnt(1)
	v_add_co_u32_e32 v6, vcc, v1, v8
	v_addc_co_u32_e32 v2, vcc, 0, v2, vcc
	v_add_co_u32_e32 v1, vcc, 0, v6
	s_waitcnt lgkmcnt(0)
	v_addc_co_u32_e32 v2, vcc, v7, v2, vcc
.LBB248_433:
	s_or_b64 exec, exec, s[0:1]
	v_cmp_gt_u32_e32 vcc, 48, v4
	s_waitcnt lgkmcnt(0)
	v_cndmask_b32_e64 v7, 0, 16, vcc
	v_add_lshl_u32 v7, v7, v3, 2
	ds_bpermute_b32 v8, v7, v6
	ds_bpermute_b32 v7, v7, v2
	v_add_u32_e32 v9, 16, v4
	v_cmp_lt_u32_e32 vcc, v9, v5
	s_and_saveexec_b64 s[0:1], vcc
	s_cbranch_execz .LBB248_435
; %bb.434:
	s_waitcnt lgkmcnt(1)
	v_add_co_u32_e32 v6, vcc, v1, v8
	v_addc_co_u32_e32 v2, vcc, 0, v2, vcc
	v_add_co_u32_e32 v1, vcc, 0, v6
	s_waitcnt lgkmcnt(0)
	v_addc_co_u32_e32 v2, vcc, v7, v2, vcc
.LBB248_435:
	s_or_b64 exec, exec, s[0:1]
	s_waitcnt lgkmcnt(0)
	v_lshlrev_b32_e32 v7, 2, v3
	v_or_b32_e32 v8, 0x80, v7
	ds_bpermute_b32 v6, v8, v6
	ds_bpermute_b32 v8, v8, v2
	v_add_u32_e32 v4, 32, v4
	s_waitcnt lgkmcnt(1)
	v_add_co_u32_e32 v6, vcc, v1, v6
	v_addc_co_u32_e32 v9, vcc, 0, v2, vcc
	v_add_co_u32_e32 v6, vcc, 0, v6
	s_waitcnt lgkmcnt(0)
	v_addc_co_u32_e32 v8, vcc, v9, v8, vcc
	v_cmp_lt_u32_e32 vcc, v4, v5
	v_cndmask_b32_e32 v2, v2, v8, vcc
	v_cndmask_b32_e32 v1, v1, v6, vcc
	v_cmp_eq_u32_e32 vcc, 0, v3
	s_and_saveexec_b64 s[0:1], vcc
; %bb.436:
	v_lshrrev_b32_e32 v4, 3, v0
	v_and_b32_e32 v4, 8, v4
	ds_write_b64 v4, v[1:2] offset:128
; %bb.437:
	s_or_b64 exec, exec, s[0:1]
	v_cmp_gt_u32_e32 vcc, 2, v0
	s_waitcnt lgkmcnt(0)
	s_barrier
	s_and_saveexec_b64 s[0:1], vcc
	s_cbranch_execz .LBB248_439
; %bb.438:
	v_lshlrev_b32_e32 v1, 3, v3
	ds_read_b64 v[1:2], v1 offset:128
	v_or_b32_e32 v4, 4, v7
	s_add_i32 s2, s2, 63
	v_and_b32_e32 v3, 1, v3
	s_lshr_b32 s2, s2, 6
	s_waitcnt lgkmcnt(0)
	ds_bpermute_b32 v5, v4, v2
	ds_bpermute_b32 v4, v4, v1
	v_add_u32_e32 v3, 1, v3
	v_cmp_gt_u32_e32 vcc, s2, v3
	s_waitcnt lgkmcnt(1)
	v_cndmask_b32_e32 v3, 0, v5, vcc
	s_waitcnt lgkmcnt(0)
	v_cndmask_b32_e32 v4, 0, v4, vcc
	v_add_co_u32_e32 v1, vcc, v4, v1
	v_addc_co_u32_e32 v2, vcc, v3, v2, vcc
.LBB248_439:
	s_or_b64 exec, exec, s[0:1]
.LBB248_440:
	v_mov_b32_e32 v3, s6
	v_cmp_eq_u32_e64 s[2:3], 0, v0
	v_mov_b32_e32 v4, s7
.LBB248_441:
	s_branch .LBB248_591
.LBB248_442:
	s_cmp_gt_i32 s26, 31
	s_cbranch_scc0 .LBB248_450
; %bb.443:
	s_cmp_eq_u32 s26, 32
                                        ; implicit-def: $vgpr1_vgpr2
                                        ; implicit-def: $vgpr3_vgpr4
	s_cbranch_scc0 .LBB248_451
; %bb.444:
	s_mov_b32 s7, 0
	s_lshl_b32 s2, s6, 12
	s_mov_b32 s3, s7
	s_lshr_b64 s[8:9], s[20:21], 12
	s_lshl_b64 s[0:1], s[2:3], 2
	s_add_u32 s0, s18, s0
	s_addc_u32 s1, s19, s1
	s_cmp_lg_u64 s[8:9], s[6:7]
	s_cbranch_scc0 .LBB248_452
; %bb.445:
	v_lshlrev_b32_e32 v5, 2, v0
	v_mov_b32_e32 v1, s1
	v_add_co_u32_e32 v6, vcc, s0, v5
	v_addc_co_u32_e32 v7, vcc, 0, v1, vcc
	s_movk_i32 s8, 0x2000
	v_add_co_u32_e32 v1, vcc, s8, v6
	global_load_dword v8, v5, s[0:1] offset:1536
	global_load_dword v9, v5, s[0:1] offset:2048
	;; [unrolled: 1-line block ×5, first 2 shown]
	v_addc_co_u32_e32 v2, vcc, 0, v7, vcc
	global_load_dword v13, v[1:2], off offset:-4096
	s_movk_i32 s3, 0x1000
	v_add_co_u32_e32 v3, vcc, s3, v6
	v_addc_co_u32_e32 v4, vcc, 0, v7, vcc
	global_load_dword v14, v[3:4], off offset:512
	global_load_dword v15, v[3:4], off offset:1024
	;; [unrolled: 1-line block ×7, first 2 shown]
	global_load_dword v21, v[1:2], off
	global_load_dword v22, v[1:2], off offset:512
	global_load_dword v23, v[1:2], off offset:1024
	;; [unrolled: 1-line block ×3, first 2 shown]
	s_nop 0
	global_load_dword v3, v[1:2], off offset:2048
	global_load_dword v4, v[1:2], off offset:2560
	;; [unrolled: 1-line block ×4, first 2 shown]
	s_movk_i32 s3, 0x3000
	v_add_co_u32_e32 v1, vcc, s3, v6
	v_addc_co_u32_e32 v2, vcc, 0, v7, vcc
	global_load_dword v6, v[1:2], off
	global_load_dword v7, v[1:2], off offset:512
	global_load_dword v27, v[1:2], off offset:1024
	;; [unrolled: 1-line block ×7, first 2 shown]
	global_load_dword v33, v5, s[0:1] offset:512
	global_load_dword v34, v5, s[0:1]
	global_load_dword v35, v5, s[0:1] offset:1024
	v_mov_b32_e32 v1, 0
	s_waitcnt vmcnt(31)
	v_cmp_neq_f32_e32 vcc, 0, v8
	v_cndmask_b32_e64 v2, 0, 1, vcc
	s_waitcnt vmcnt(30)
	v_cmp_neq_f32_e32 vcc, 0, v9
	v_cndmask_b32_e64 v5, 0, 1, vcc
	;; [unrolled: 3-line block ×31, first 2 shown]
	s_waitcnt vmcnt(0)
	v_cmp_neq_f32_e32 vcc, 0, v35
	v_addc_co_u32_e32 v31, vcc, v31, v32, vcc
	v_add_co_u32_e32 v2, vcc, v31, v2
	v_addc_co_u32_e64 v31, s[8:9], 0, 0, vcc
	v_add_co_u32_e32 v2, vcc, v2, v5
	v_addc_co_u32_e32 v5, vcc, 0, v31, vcc
	v_add_co_u32_e32 v2, vcc, v2, v8
	v_addc_co_u32_e32 v5, vcc, 0, v5, vcc
	;; [unrolled: 2-line block ×28, first 2 shown]
	s_nop 0
	v_mov_b32_dpp v5, v2 quad_perm:[1,0,3,2] row_mask:0xf bank_mask:0xf bound_ctrl:1
	v_add_co_u32_e32 v2, vcc, v2, v5
	v_addc_co_u32_e32 v4, vcc, 0, v4, vcc
	v_mov_b32_dpp v1, v1 quad_perm:[1,0,3,2] row_mask:0xf bank_mask:0xf bound_ctrl:1
	v_add_co_u32_e32 v5, vcc, 0, v2
	v_addc_co_u32_e32 v1, vcc, v1, v4, vcc
	v_mov_b32_dpp v2, v2 quad_perm:[2,3,0,1] row_mask:0xf bank_mask:0xf bound_ctrl:1
	v_add_co_u32_e32 v2, vcc, v5, v2
	v_mov_b32_dpp v4, v1 quad_perm:[2,3,0,1] row_mask:0xf bank_mask:0xf bound_ctrl:1
	v_addc_co_u32_e32 v1, vcc, 0, v1, vcc
	v_add_co_u32_e32 v5, vcc, 0, v2
	v_addc_co_u32_e32 v1, vcc, v1, v4, vcc
	v_mov_b32_dpp v2, v2 row_ror:4 row_mask:0xf bank_mask:0xf bound_ctrl:1
	v_add_co_u32_e32 v2, vcc, v5, v2
	v_mov_b32_dpp v4, v1 row_ror:4 row_mask:0xf bank_mask:0xf bound_ctrl:1
	v_addc_co_u32_e32 v1, vcc, 0, v1, vcc
	v_add_co_u32_e32 v5, vcc, 0, v2
	v_addc_co_u32_e32 v1, vcc, v1, v4, vcc
	v_mov_b32_dpp v2, v2 row_ror:8 row_mask:0xf bank_mask:0xf bound_ctrl:1
	v_add_co_u32_e32 v2, vcc, v5, v2
	v_mov_b32_dpp v4, v1 row_ror:8 row_mask:0xf bank_mask:0xf bound_ctrl:1
	v_addc_co_u32_e32 v1, vcc, 0, v1, vcc
	v_add_co_u32_e32 v5, vcc, 0, v2
	v_addc_co_u32_e32 v1, vcc, v1, v4, vcc
	v_mov_b32_dpp v2, v2 row_bcast:15 row_mask:0xf bank_mask:0xf bound_ctrl:1
	v_add_co_u32_e32 v2, vcc, v5, v2
	v_mov_b32_dpp v4, v1 row_bcast:15 row_mask:0xf bank_mask:0xf bound_ctrl:1
	v_addc_co_u32_e32 v1, vcc, 0, v1, vcc
	v_add_co_u32_e32 v5, vcc, 0, v2
	v_addc_co_u32_e32 v1, vcc, v1, v4, vcc
	v_mov_b32_dpp v2, v2 row_bcast:31 row_mask:0xf bank_mask:0xf bound_ctrl:1
	v_mbcnt_lo_u32_b32 v3, -1, 0
	v_add_co_u32_e32 v2, vcc, v5, v2
	v_mbcnt_hi_u32_b32 v3, -1, v3
	v_addc_co_u32_e32 v4, vcc, 0, v1, vcc
	v_cmp_eq_u32_e32 vcc, 0, v3
	s_nop 0
	v_add_u32_dpp v5, v1, v4 row_bcast:31 row_mask:0xf bank_mask:0xf bound_ctrl:1
	v_lshlrev_b32_e32 v4, 2, v3
	v_or_b32_e32 v6, 0xfc, v4
	ds_bpermute_b32 v1, v6, v2
	ds_bpermute_b32 v2, v6, v5
	s_and_saveexec_b64 s[8:9], vcc
	s_cbranch_execz .LBB248_447
; %bb.446:
	v_lshrrev_b32_e32 v5, 3, v0
	v_and_b32_e32 v5, 8, v5
	s_waitcnt lgkmcnt(0)
	ds_write_b64 v5, v[1:2] offset:64
.LBB248_447:
	s_or_b64 exec, exec, s[8:9]
	v_cmp_gt_u32_e32 vcc, 64, v0
	s_waitcnt lgkmcnt(0)
	s_barrier
	s_and_saveexec_b64 s[8:9], vcc
	s_cbranch_execz .LBB248_449
; %bb.448:
	v_and_b32_e32 v1, 1, v3
	v_lshlrev_b32_e32 v1, 3, v1
	ds_read_b64 v[1:2], v1 offset:64
	v_or_b32_e32 v3, 4, v4
	s_waitcnt lgkmcnt(0)
	ds_bpermute_b32 v4, v3, v1
	ds_bpermute_b32 v3, v3, v2
	s_waitcnt lgkmcnt(1)
	v_add_co_u32_e32 v1, vcc, v1, v4
	v_addc_co_u32_e32 v2, vcc, 0, v2, vcc
	v_add_co_u32_e32 v1, vcc, 0, v1
	s_waitcnt lgkmcnt(0)
	v_addc_co_u32_e32 v2, vcc, v2, v3, vcc
.LBB248_449:
	s_or_b64 exec, exec, s[8:9]
	s_mov_b64 s[8:9], 0
	s_branch .LBB248_453
.LBB248_450:
                                        ; implicit-def: $vgpr1_vgpr2
                                        ; implicit-def: $vgpr3_vgpr4
	s_cbranch_execnz .LBB248_534
	s_branch .LBB248_591
.LBB248_451:
	s_branch .LBB248_591
.LBB248_452:
	s_mov_b64 s[8:9], -1
                                        ; implicit-def: $vgpr1_vgpr2
.LBB248_453:
	s_and_b64 vcc, exec, s[8:9]
	s_cbranch_vccz .LBB248_533
; %bb.454:
	s_sub_i32 s8, s20, s2
	v_cmp_gt_u32_e32 vcc, s8, v0
                                        ; implicit-def: $vgpr1_vgpr2
	s_and_saveexec_b64 s[2:3], vcc
	s_cbranch_execz .LBB248_456
; %bb.455:
	v_lshlrev_b32_e32 v1, 2, v0
	global_load_dword v1, v1, s[0:1]
	s_mov_b32 s9, 0
	v_mov_b32_e32 v2, s9
	s_waitcnt vmcnt(0)
	v_cmp_neq_f32_e32 vcc, 0, v1
	v_cndmask_b32_e64 v1, 0, 1, vcc
.LBB248_456:
	s_or_b64 exec, exec, s[2:3]
	v_or_b32_e32 v7, 0x80, v0
	v_mov_b32_e32 v3, 0
	v_mov_b32_e32 v5, 0
	v_mov_b32_e32 v4, 0
	v_mov_b32_e32 v6, 0
	v_cmp_gt_u32_e32 vcc, s8, v7
	s_and_saveexec_b64 s[2:3], vcc
	s_cbranch_execz .LBB248_458
; %bb.457:
	v_lshlrev_b32_e32 v5, 2, v0
	global_load_dword v5, v5, s[0:1] offset:512
	s_mov_b32 s9, 0
	v_mov_b32_e32 v6, s9
	s_waitcnt vmcnt(0)
	v_cmp_neq_f32_e32 vcc, 0, v5
	v_cndmask_b32_e64 v5, 0, 1, vcc
.LBB248_458:
	s_or_b64 exec, exec, s[2:3]
	v_or_b32_e32 v7, 0x100, v0
	v_cmp_gt_u32_e32 vcc, s8, v7
	s_and_saveexec_b64 s[2:3], vcc
	s_cbranch_execz .LBB248_460
; %bb.459:
	v_lshlrev_b32_e32 v3, 2, v0
	global_load_dword v3, v3, s[0:1] offset:1024
	s_mov_b32 s9, 0
	v_mov_b32_e32 v4, s9
	s_waitcnt vmcnt(0)
	v_cmp_neq_f32_e32 vcc, 0, v3
	v_cndmask_b32_e64 v3, 0, 1, vcc
.LBB248_460:
	s_or_b64 exec, exec, s[2:3]
	v_or_b32_e32 v11, 0x180, v0
	v_mov_b32_e32 v7, 0
	v_mov_b32_e32 v9, 0
	v_mov_b32_e32 v8, 0
	v_mov_b32_e32 v10, 0
	v_cmp_gt_u32_e32 vcc, s8, v11
	s_and_saveexec_b64 s[2:3], vcc
	s_cbranch_execz .LBB248_462
; %bb.461:
	v_lshlrev_b32_e32 v9, 2, v0
	global_load_dword v9, v9, s[0:1] offset:1536
	s_mov_b32 s9, 0
	v_mov_b32_e32 v10, s9
	s_waitcnt vmcnt(0)
	v_cmp_neq_f32_e32 vcc, 0, v9
	v_cndmask_b32_e64 v9, 0, 1, vcc
.LBB248_462:
	s_or_b64 exec, exec, s[2:3]
	v_or_b32_e32 v11, 0x200, v0
	v_cmp_gt_u32_e32 vcc, s8, v11
	s_and_saveexec_b64 s[2:3], vcc
	s_cbranch_execz .LBB248_464
; %bb.463:
	v_lshlrev_b32_e32 v7, 2, v0
	global_load_dword v7, v7, s[0:1] offset:2048
	s_mov_b32 s9, 0
	v_mov_b32_e32 v8, s9
	s_waitcnt vmcnt(0)
	v_cmp_neq_f32_e32 vcc, 0, v7
	v_cndmask_b32_e64 v7, 0, 1, vcc
.LBB248_464:
	;; [unrolled: 32-line block ×3, first 2 shown]
	s_or_b64 exec, exec, s[2:3]
	v_or_b32_e32 v19, 0x380, v0
	v_mov_b32_e32 v15, 0
	v_mov_b32_e32 v17, 0
	;; [unrolled: 1-line block ×4, first 2 shown]
	v_cmp_gt_u32_e32 vcc, s8, v19
	s_and_saveexec_b64 s[2:3], vcc
	s_cbranch_execz .LBB248_470
; %bb.469:
	v_lshlrev_b32_e32 v17, 2, v0
	global_load_dword v17, v17, s[0:1] offset:3584
	s_mov_b32 s9, 0
	v_mov_b32_e32 v18, s9
	s_waitcnt vmcnt(0)
	v_cmp_neq_f32_e32 vcc, 0, v17
	v_cndmask_b32_e64 v17, 0, 1, vcc
.LBB248_470:
	s_or_b64 exec, exec, s[2:3]
	v_or_b32_e32 v19, 0x400, v0
	v_cmp_gt_u32_e32 vcc, s8, v19
	s_and_saveexec_b64 s[2:3], vcc
	s_cbranch_execz .LBB248_472
; %bb.471:
	v_lshlrev_b32_e32 v15, 2, v19
	global_load_dword v15, v15, s[0:1]
	s_mov_b32 s9, 0
	v_mov_b32_e32 v16, s9
	s_waitcnt vmcnt(0)
	v_cmp_neq_f32_e32 vcc, 0, v15
	v_cndmask_b32_e64 v15, 0, 1, vcc
.LBB248_472:
	s_or_b64 exec, exec, s[2:3]
	v_or_b32_e32 v23, 0x480, v0
	v_mov_b32_e32 v19, 0
	v_mov_b32_e32 v21, 0
	v_mov_b32_e32 v20, 0
	v_mov_b32_e32 v22, 0
	v_cmp_gt_u32_e32 vcc, s8, v23
	s_and_saveexec_b64 s[2:3], vcc
	s_cbranch_execz .LBB248_474
; %bb.473:
	v_lshlrev_b32_e32 v21, 2, v23
	global_load_dword v21, v21, s[0:1]
	s_mov_b32 s9, 0
	v_mov_b32_e32 v22, s9
	s_waitcnt vmcnt(0)
	v_cmp_neq_f32_e32 vcc, 0, v21
	v_cndmask_b32_e64 v21, 0, 1, vcc
.LBB248_474:
	s_or_b64 exec, exec, s[2:3]
	v_or_b32_e32 v23, 0x500, v0
	v_cmp_gt_u32_e32 vcc, s8, v23
	s_and_saveexec_b64 s[2:3], vcc
	s_cbranch_execz .LBB248_476
; %bb.475:
	v_lshlrev_b32_e32 v19, 2, v23
	global_load_dword v19, v19, s[0:1]
	s_mov_b32 s9, 0
	v_mov_b32_e32 v20, s9
	s_waitcnt vmcnt(0)
	v_cmp_neq_f32_e32 vcc, 0, v19
	v_cndmask_b32_e64 v19, 0, 1, vcc
.LBB248_476:
	s_or_b64 exec, exec, s[2:3]
	v_or_b32_e32 v27, 0x580, v0
	v_mov_b32_e32 v23, 0
	v_mov_b32_e32 v25, 0
	v_mov_b32_e32 v24, 0
	v_mov_b32_e32 v26, 0
	v_cmp_gt_u32_e32 vcc, s8, v27
	s_and_saveexec_b64 s[2:3], vcc
	s_cbranch_execz .LBB248_478
; %bb.477:
	v_lshlrev_b32_e32 v25, 2, v27
	global_load_dword v25, v25, s[0:1]
	s_mov_b32 s9, 0
	v_mov_b32_e32 v26, s9
	s_waitcnt vmcnt(0)
	v_cmp_neq_f32_e32 vcc, 0, v25
	v_cndmask_b32_e64 v25, 0, 1, vcc
.LBB248_478:
	;; [unrolled: 32-line block ×11, first 2 shown]
	s_or_b64 exec, exec, s[2:3]
	v_or_b32_e32 v63, 0xf00, v0
	v_cmp_gt_u32_e32 vcc, s8, v63
	s_and_saveexec_b64 s[2:3], vcc
	s_cbranch_execz .LBB248_516
; %bb.515:
	v_lshlrev_b32_e32 v59, 2, v63
	global_load_dword v59, v59, s[0:1]
	s_mov_b32 s9, 0
	v_mov_b32_e32 v60, s9
	s_waitcnt vmcnt(0)
	v_cmp_neq_f32_e32 vcc, 0, v59
	v_cndmask_b32_e64 v59, 0, 1, vcc
.LBB248_516:
	s_or_b64 exec, exec, s[2:3]
	v_or_b32_e32 v65, 0xf80, v0
	v_mov_b32_e32 v63, 0
	v_mov_b32_e32 v64, 0
	v_cmp_gt_u32_e32 vcc, s8, v65
	s_and_saveexec_b64 s[2:3], vcc
	s_cbranch_execz .LBB248_518
; %bb.517:
	v_lshlrev_b32_e32 v63, 2, v65
	global_load_dword v63, v63, s[0:1]
	s_mov_b32 s0, 0
	v_mov_b32_e32 v64, s0
	s_waitcnt vmcnt(0)
	v_cmp_neq_f32_e32 vcc, 0, v63
	v_cndmask_b32_e64 v63, 0, 1, vcc
.LBB248_518:
	s_or_b64 exec, exec, s[2:3]
	v_add_co_u32_e32 v1, vcc, v5, v1
	v_addc_co_u32_e32 v2, vcc, v6, v2, vcc
	v_add_co_u32_e32 v1, vcc, v1, v3
	v_addc_co_u32_e32 v2, vcc, v2, v4, vcc
	;; [unrolled: 2-line block ×30, first 2 shown]
	v_mbcnt_lo_u32_b32 v3, -1, 0
	v_add_co_u32_e32 v1, vcc, v1, v63
	v_mbcnt_hi_u32_b32 v3, -1, v3
	v_addc_co_u32_e32 v2, vcc, v2, v64, vcc
	v_and_b32_e32 v4, 63, v3
	v_cmp_ne_u32_e32 vcc, 63, v4
	v_addc_co_u32_e32 v6, vcc, 0, v3, vcc
	v_lshlrev_b32_e32 v6, 2, v6
	ds_bpermute_b32 v8, v6, v1
	ds_bpermute_b32 v7, v6, v2
	s_min_u32 s2, s8, 0x80
	v_and_b32_e32 v5, 64, v0
	v_sub_u32_e64 v5, s2, v5 clamp
	v_add_u32_e32 v6, 1, v4
	v_cmp_lt_u32_e32 vcc, v6, v5
	v_mov_b32_e32 v6, v1
	s_and_saveexec_b64 s[0:1], vcc
	s_cbranch_execz .LBB248_520
; %bb.519:
	s_waitcnt lgkmcnt(1)
	v_add_co_u32_e32 v6, vcc, v1, v8
	v_addc_co_u32_e32 v2, vcc, 0, v2, vcc
	v_add_co_u32_e32 v1, vcc, 0, v6
	s_waitcnt lgkmcnt(0)
	v_addc_co_u32_e32 v2, vcc, v7, v2, vcc
.LBB248_520:
	s_or_b64 exec, exec, s[0:1]
	v_cmp_gt_u32_e32 vcc, 62, v4
	s_waitcnt lgkmcnt(0)
	v_cndmask_b32_e64 v7, 0, 2, vcc
	v_add_lshl_u32 v7, v7, v3, 2
	ds_bpermute_b32 v8, v7, v6
	ds_bpermute_b32 v7, v7, v2
	v_add_u32_e32 v9, 2, v4
	v_cmp_lt_u32_e32 vcc, v9, v5
	s_and_saveexec_b64 s[0:1], vcc
	s_cbranch_execz .LBB248_522
; %bb.521:
	s_waitcnt lgkmcnt(1)
	v_add_co_u32_e32 v6, vcc, v1, v8
	v_addc_co_u32_e32 v2, vcc, 0, v2, vcc
	v_add_co_u32_e32 v1, vcc, 0, v6
	s_waitcnt lgkmcnt(0)
	v_addc_co_u32_e32 v2, vcc, v7, v2, vcc
.LBB248_522:
	s_or_b64 exec, exec, s[0:1]
	v_cmp_gt_u32_e32 vcc, 60, v4
	s_waitcnt lgkmcnt(0)
	v_cndmask_b32_e64 v7, 0, 4, vcc
	v_add_lshl_u32 v7, v7, v3, 2
	ds_bpermute_b32 v8, v7, v6
	ds_bpermute_b32 v7, v7, v2
	v_add_u32_e32 v9, 4, v4
	v_cmp_lt_u32_e32 vcc, v9, v5
	;; [unrolled: 19-line block ×4, first 2 shown]
	s_and_saveexec_b64 s[0:1], vcc
	s_cbranch_execz .LBB248_528
; %bb.527:
	s_waitcnt lgkmcnt(1)
	v_add_co_u32_e32 v6, vcc, v1, v8
	v_addc_co_u32_e32 v2, vcc, 0, v2, vcc
	v_add_co_u32_e32 v1, vcc, 0, v6
	s_waitcnt lgkmcnt(0)
	v_addc_co_u32_e32 v2, vcc, v7, v2, vcc
.LBB248_528:
	s_or_b64 exec, exec, s[0:1]
	s_waitcnt lgkmcnt(0)
	v_lshlrev_b32_e32 v7, 2, v3
	v_or_b32_e32 v8, 0x80, v7
	ds_bpermute_b32 v6, v8, v6
	ds_bpermute_b32 v8, v8, v2
	v_add_u32_e32 v4, 32, v4
	s_waitcnt lgkmcnt(1)
	v_add_co_u32_e32 v6, vcc, v1, v6
	v_addc_co_u32_e32 v9, vcc, 0, v2, vcc
	v_add_co_u32_e32 v6, vcc, 0, v6
	s_waitcnt lgkmcnt(0)
	v_addc_co_u32_e32 v8, vcc, v9, v8, vcc
	v_cmp_lt_u32_e32 vcc, v4, v5
	v_cndmask_b32_e32 v2, v2, v8, vcc
	v_cndmask_b32_e32 v1, v1, v6, vcc
	v_cmp_eq_u32_e32 vcc, 0, v3
	s_and_saveexec_b64 s[0:1], vcc
; %bb.529:
	v_lshrrev_b32_e32 v4, 3, v0
	v_and_b32_e32 v4, 8, v4
	ds_write_b64 v4, v[1:2] offset:128
; %bb.530:
	s_or_b64 exec, exec, s[0:1]
	v_cmp_gt_u32_e32 vcc, 2, v0
	s_waitcnt lgkmcnt(0)
	s_barrier
	s_and_saveexec_b64 s[0:1], vcc
	s_cbranch_execz .LBB248_532
; %bb.531:
	v_lshlrev_b32_e32 v1, 3, v3
	ds_read_b64 v[1:2], v1 offset:128
	v_or_b32_e32 v4, 4, v7
	s_add_i32 s2, s2, 63
	v_and_b32_e32 v3, 1, v3
	s_lshr_b32 s2, s2, 6
	s_waitcnt lgkmcnt(0)
	ds_bpermute_b32 v5, v4, v2
	ds_bpermute_b32 v4, v4, v1
	v_add_u32_e32 v3, 1, v3
	v_cmp_gt_u32_e32 vcc, s2, v3
	s_waitcnt lgkmcnt(1)
	v_cndmask_b32_e32 v3, 0, v5, vcc
	s_waitcnt lgkmcnt(0)
	v_cndmask_b32_e32 v4, 0, v4, vcc
	v_add_co_u32_e32 v1, vcc, v4, v1
	v_addc_co_u32_e32 v2, vcc, v3, v2, vcc
.LBB248_532:
	s_or_b64 exec, exec, s[0:1]
.LBB248_533:
	v_mov_b32_e32 v3, s6
	v_cmp_eq_u32_e64 s[2:3], 0, v0
	v_mov_b32_e32 v4, s7
	s_branch .LBB248_591
.LBB248_534:
	s_cmp_eq_u32 s26, 16
                                        ; implicit-def: $vgpr1_vgpr2
                                        ; implicit-def: $vgpr3_vgpr4
	s_cbranch_scc0 .LBB248_591
; %bb.535:
	s_mov_b32 s7, 0
	s_lshl_b32 s2, s6, 11
	s_mov_b32 s3, s7
	s_lshr_b64 s[8:9], s[20:21], 11
	s_lshl_b64 s[0:1], s[2:3], 2
	s_add_u32 s0, s18, s0
	s_addc_u32 s1, s19, s1
	s_cmp_lg_u64 s[8:9], s[6:7]
	s_cbranch_scc0 .LBB248_541
; %bb.536:
	v_lshlrev_b32_e32 v1, 2, v0
	global_load_dword v3, v1, s[0:1] offset:1536
	global_load_dword v4, v1, s[0:1]
	global_load_dword v5, v1, s[0:1] offset:2048
	global_load_dword v6, v1, s[0:1] offset:512
	;; [unrolled: 1-line block ×6, first 2 shown]
	v_mov_b32_e32 v2, s1
	v_add_co_u32_e32 v1, vcc, s0, v1
	v_addc_co_u32_e32 v2, vcc, 0, v2, vcc
	s_movk_i32 s3, 0x1000
	v_add_co_u32_e32 v1, vcc, s3, v1
	v_addc_co_u32_e32 v2, vcc, 0, v2, vcc
	global_load_dword v11, v[1:2], off
	global_load_dword v12, v[1:2], off offset:512
	global_load_dword v13, v[1:2], off offset:1024
	;; [unrolled: 1-line block ×7, first 2 shown]
	v_mov_b32_e32 v1, 0
	s_waitcnt vmcnt(15)
	v_cmp_neq_f32_e32 vcc, 0, v3
	v_cndmask_b32_e64 v2, 0, 1, vcc
	s_waitcnt vmcnt(13)
	v_cmp_neq_f32_e32 vcc, 0, v5
	v_cndmask_b32_e64 v3, 0, 1, vcc
	s_waitcnt vmcnt(11)
	v_cmp_neq_f32_e32 vcc, 0, v7
	v_cndmask_b32_e64 v5, 0, 1, vcc
	s_waitcnt vmcnt(9)
	v_cmp_neq_f32_e32 vcc, 0, v9
	v_cndmask_b32_e64 v7, 0, 1, vcc
	s_waitcnt vmcnt(8)
	v_cmp_neq_f32_e32 vcc, 0, v10
	v_cndmask_b32_e64 v9, 0, 1, vcc
	v_cmp_neq_f32_e32 vcc, 0, v6
	v_cndmask_b32_e64 v6, 0, 1, vcc
	v_cmp_neq_f32_e32 vcc, 0, v4
	v_cndmask_b32_e64 v4, 0, 1, vcc
	v_cmp_neq_f32_e32 vcc, 0, v8
	v_addc_co_u32_e32 v4, vcc, v6, v4, vcc
	s_waitcnt vmcnt(7)
	v_cmp_neq_f32_e32 vcc, 0, v11
	v_cndmask_b32_e64 v6, 0, 1, vcc
	s_waitcnt vmcnt(6)
	v_cmp_neq_f32_e32 vcc, 0, v12
	v_cndmask_b32_e64 v8, 0, 1, vcc
	;; [unrolled: 3-line block ×8, first 2 shown]
	v_add_co_u32_e32 v2, vcc, v4, v2
	v_addc_co_u32_e64 v4, s[8:9], 0, 0, vcc
	v_add_co_u32_e32 v2, vcc, v2, v3
	v_addc_co_u32_e32 v3, vcc, 0, v4, vcc
	v_add_co_u32_e32 v2, vcc, v2, v5
	v_addc_co_u32_e32 v3, vcc, 0, v3, vcc
	;; [unrolled: 2-line block ×12, first 2 shown]
	s_nop 0
	v_mov_b32_dpp v5, v2 quad_perm:[1,0,3,2] row_mask:0xf bank_mask:0xf bound_ctrl:1
	v_add_co_u32_e32 v2, vcc, v2, v5
	v_addc_co_u32_e32 v4, vcc, 0, v4, vcc
	v_mov_b32_dpp v1, v1 quad_perm:[1,0,3,2] row_mask:0xf bank_mask:0xf bound_ctrl:1
	v_add_co_u32_e32 v5, vcc, 0, v2
	v_addc_co_u32_e32 v1, vcc, v1, v4, vcc
	v_mov_b32_dpp v2, v2 quad_perm:[2,3,0,1] row_mask:0xf bank_mask:0xf bound_ctrl:1
	v_add_co_u32_e32 v2, vcc, v5, v2
	v_mov_b32_dpp v4, v1 quad_perm:[2,3,0,1] row_mask:0xf bank_mask:0xf bound_ctrl:1
	v_addc_co_u32_e32 v1, vcc, 0, v1, vcc
	v_add_co_u32_e32 v5, vcc, 0, v2
	v_addc_co_u32_e32 v1, vcc, v1, v4, vcc
	v_mov_b32_dpp v2, v2 row_ror:4 row_mask:0xf bank_mask:0xf bound_ctrl:1
	v_add_co_u32_e32 v2, vcc, v5, v2
	v_mov_b32_dpp v4, v1 row_ror:4 row_mask:0xf bank_mask:0xf bound_ctrl:1
	v_addc_co_u32_e32 v1, vcc, 0, v1, vcc
	v_add_co_u32_e32 v5, vcc, 0, v2
	v_addc_co_u32_e32 v1, vcc, v1, v4, vcc
	v_mov_b32_dpp v2, v2 row_ror:8 row_mask:0xf bank_mask:0xf bound_ctrl:1
	v_add_co_u32_e32 v2, vcc, v5, v2
	v_mov_b32_dpp v4, v1 row_ror:8 row_mask:0xf bank_mask:0xf bound_ctrl:1
	v_addc_co_u32_e32 v1, vcc, 0, v1, vcc
	v_add_co_u32_e32 v5, vcc, 0, v2
	v_addc_co_u32_e32 v1, vcc, v1, v4, vcc
	v_mov_b32_dpp v2, v2 row_bcast:15 row_mask:0xf bank_mask:0xf bound_ctrl:1
	v_add_co_u32_e32 v2, vcc, v5, v2
	v_mov_b32_dpp v4, v1 row_bcast:15 row_mask:0xf bank_mask:0xf bound_ctrl:1
	v_addc_co_u32_e32 v1, vcc, 0, v1, vcc
	v_add_co_u32_e32 v5, vcc, 0, v2
	v_addc_co_u32_e32 v1, vcc, v1, v4, vcc
	v_mov_b32_dpp v2, v2 row_bcast:31 row_mask:0xf bank_mask:0xf bound_ctrl:1
	v_mbcnt_lo_u32_b32 v3, -1, 0
	v_add_co_u32_e32 v2, vcc, v5, v2
	v_mbcnt_hi_u32_b32 v3, -1, v3
	v_addc_co_u32_e32 v4, vcc, 0, v1, vcc
	v_cmp_eq_u32_e32 vcc, 0, v3
	s_nop 0
	v_add_u32_dpp v5, v1, v4 row_bcast:31 row_mask:0xf bank_mask:0xf bound_ctrl:1
	v_lshlrev_b32_e32 v4, 2, v3
	v_or_b32_e32 v6, 0xfc, v4
	ds_bpermute_b32 v1, v6, v2
	ds_bpermute_b32 v2, v6, v5
	s_and_saveexec_b64 s[8:9], vcc
	s_cbranch_execz .LBB248_538
; %bb.537:
	v_lshrrev_b32_e32 v5, 3, v0
	v_and_b32_e32 v5, 8, v5
	s_waitcnt lgkmcnt(0)
	ds_write_b64 v5, v[1:2] offset:16
.LBB248_538:
	s_or_b64 exec, exec, s[8:9]
	v_cmp_gt_u32_e32 vcc, 64, v0
	s_waitcnt lgkmcnt(0)
	s_barrier
	s_and_saveexec_b64 s[8:9], vcc
	s_cbranch_execz .LBB248_540
; %bb.539:
	v_and_b32_e32 v1, 1, v3
	v_lshlrev_b32_e32 v1, 3, v1
	ds_read_b64 v[1:2], v1 offset:16
	v_or_b32_e32 v3, 4, v4
	s_waitcnt lgkmcnt(0)
	ds_bpermute_b32 v4, v3, v1
	ds_bpermute_b32 v3, v3, v2
	s_waitcnt lgkmcnt(1)
	v_add_co_u32_e32 v1, vcc, v1, v4
	v_addc_co_u32_e32 v2, vcc, 0, v2, vcc
	v_add_co_u32_e32 v1, vcc, 0, v1
	s_waitcnt lgkmcnt(0)
	v_addc_co_u32_e32 v2, vcc, v2, v3, vcc
.LBB248_540:
	s_or_b64 exec, exec, s[8:9]
	s_mov_b64 s[8:9], 0
	s_branch .LBB248_542
.LBB248_541:
	s_mov_b64 s[8:9], -1
                                        ; implicit-def: $vgpr1_vgpr2
.LBB248_542:
	s_and_b64 vcc, exec, s[8:9]
	s_cbranch_vccz .LBB248_590
; %bb.543:
	s_sub_i32 s8, s20, s2
	v_cmp_gt_u32_e32 vcc, s8, v0
                                        ; implicit-def: $vgpr1_vgpr2
	s_and_saveexec_b64 s[2:3], vcc
	s_cbranch_execz .LBB248_545
; %bb.544:
	v_lshlrev_b32_e32 v1, 2, v0
	global_load_dword v1, v1, s[0:1]
	s_mov_b32 s9, 0
	v_mov_b32_e32 v2, s9
	s_waitcnt vmcnt(0)
	v_cmp_neq_f32_e32 vcc, 0, v1
	v_cndmask_b32_e64 v1, 0, 1, vcc
.LBB248_545:
	s_or_b64 exec, exec, s[2:3]
	v_or_b32_e32 v7, 0x80, v0
	v_mov_b32_e32 v3, 0
	v_mov_b32_e32 v5, 0
	v_mov_b32_e32 v4, 0
	v_mov_b32_e32 v6, 0
	v_cmp_gt_u32_e32 vcc, s8, v7
	s_and_saveexec_b64 s[2:3], vcc
	s_cbranch_execz .LBB248_547
; %bb.546:
	v_lshlrev_b32_e32 v5, 2, v0
	global_load_dword v5, v5, s[0:1] offset:512
	s_mov_b32 s9, 0
	v_mov_b32_e32 v6, s9
	s_waitcnt vmcnt(0)
	v_cmp_neq_f32_e32 vcc, 0, v5
	v_cndmask_b32_e64 v5, 0, 1, vcc
.LBB248_547:
	s_or_b64 exec, exec, s[2:3]
	v_or_b32_e32 v7, 0x100, v0
	v_cmp_gt_u32_e32 vcc, s8, v7
	s_and_saveexec_b64 s[2:3], vcc
	s_cbranch_execz .LBB248_549
; %bb.548:
	v_lshlrev_b32_e32 v3, 2, v0
	global_load_dword v3, v3, s[0:1] offset:1024
	s_mov_b32 s9, 0
	v_mov_b32_e32 v4, s9
	s_waitcnt vmcnt(0)
	v_cmp_neq_f32_e32 vcc, 0, v3
	v_cndmask_b32_e64 v3, 0, 1, vcc
.LBB248_549:
	s_or_b64 exec, exec, s[2:3]
	v_or_b32_e32 v11, 0x180, v0
	v_mov_b32_e32 v7, 0
	v_mov_b32_e32 v9, 0
	v_mov_b32_e32 v8, 0
	v_mov_b32_e32 v10, 0
	v_cmp_gt_u32_e32 vcc, s8, v11
	s_and_saveexec_b64 s[2:3], vcc
	s_cbranch_execz .LBB248_551
; %bb.550:
	v_lshlrev_b32_e32 v9, 2, v0
	global_load_dword v9, v9, s[0:1] offset:1536
	s_mov_b32 s9, 0
	v_mov_b32_e32 v10, s9
	s_waitcnt vmcnt(0)
	v_cmp_neq_f32_e32 vcc, 0, v9
	v_cndmask_b32_e64 v9, 0, 1, vcc
.LBB248_551:
	s_or_b64 exec, exec, s[2:3]
	v_or_b32_e32 v11, 0x200, v0
	v_cmp_gt_u32_e32 vcc, s8, v11
	s_and_saveexec_b64 s[2:3], vcc
	s_cbranch_execz .LBB248_553
; %bb.552:
	v_lshlrev_b32_e32 v7, 2, v0
	global_load_dword v7, v7, s[0:1] offset:2048
	s_mov_b32 s9, 0
	v_mov_b32_e32 v8, s9
	s_waitcnt vmcnt(0)
	v_cmp_neq_f32_e32 vcc, 0, v7
	v_cndmask_b32_e64 v7, 0, 1, vcc
.LBB248_553:
	;; [unrolled: 32-line block ×3, first 2 shown]
	s_or_b64 exec, exec, s[2:3]
	v_or_b32_e32 v19, 0x380, v0
	v_mov_b32_e32 v15, 0
	v_mov_b32_e32 v17, 0
	;; [unrolled: 1-line block ×4, first 2 shown]
	v_cmp_gt_u32_e32 vcc, s8, v19
	s_and_saveexec_b64 s[2:3], vcc
	s_cbranch_execz .LBB248_559
; %bb.558:
	v_lshlrev_b32_e32 v17, 2, v0
	global_load_dword v17, v17, s[0:1] offset:3584
	s_mov_b32 s9, 0
	v_mov_b32_e32 v18, s9
	s_waitcnt vmcnt(0)
	v_cmp_neq_f32_e32 vcc, 0, v17
	v_cndmask_b32_e64 v17, 0, 1, vcc
.LBB248_559:
	s_or_b64 exec, exec, s[2:3]
	v_or_b32_e32 v19, 0x400, v0
	v_cmp_gt_u32_e32 vcc, s8, v19
	s_and_saveexec_b64 s[2:3], vcc
	s_cbranch_execz .LBB248_561
; %bb.560:
	v_lshlrev_b32_e32 v15, 2, v19
	global_load_dword v15, v15, s[0:1]
	s_mov_b32 s9, 0
	v_mov_b32_e32 v16, s9
	s_waitcnt vmcnt(0)
	v_cmp_neq_f32_e32 vcc, 0, v15
	v_cndmask_b32_e64 v15, 0, 1, vcc
.LBB248_561:
	s_or_b64 exec, exec, s[2:3]
	v_or_b32_e32 v23, 0x480, v0
	v_mov_b32_e32 v19, 0
	v_mov_b32_e32 v21, 0
	v_mov_b32_e32 v20, 0
	v_mov_b32_e32 v22, 0
	v_cmp_gt_u32_e32 vcc, s8, v23
	s_and_saveexec_b64 s[2:3], vcc
	s_cbranch_execz .LBB248_563
; %bb.562:
	v_lshlrev_b32_e32 v21, 2, v23
	global_load_dword v21, v21, s[0:1]
	s_mov_b32 s9, 0
	v_mov_b32_e32 v22, s9
	s_waitcnt vmcnt(0)
	v_cmp_neq_f32_e32 vcc, 0, v21
	v_cndmask_b32_e64 v21, 0, 1, vcc
.LBB248_563:
	s_or_b64 exec, exec, s[2:3]
	v_or_b32_e32 v23, 0x500, v0
	v_cmp_gt_u32_e32 vcc, s8, v23
	s_and_saveexec_b64 s[2:3], vcc
	s_cbranch_execz .LBB248_565
; %bb.564:
	v_lshlrev_b32_e32 v19, 2, v23
	global_load_dword v19, v19, s[0:1]
	s_mov_b32 s9, 0
	v_mov_b32_e32 v20, s9
	s_waitcnt vmcnt(0)
	v_cmp_neq_f32_e32 vcc, 0, v19
	v_cndmask_b32_e64 v19, 0, 1, vcc
.LBB248_565:
	s_or_b64 exec, exec, s[2:3]
	v_or_b32_e32 v27, 0x580, v0
	v_mov_b32_e32 v23, 0
	v_mov_b32_e32 v25, 0
	v_mov_b32_e32 v24, 0
	v_mov_b32_e32 v26, 0
	v_cmp_gt_u32_e32 vcc, s8, v27
	s_and_saveexec_b64 s[2:3], vcc
	s_cbranch_execz .LBB248_567
; %bb.566:
	v_lshlrev_b32_e32 v25, 2, v27
	global_load_dword v25, v25, s[0:1]
	s_mov_b32 s9, 0
	v_mov_b32_e32 v26, s9
	s_waitcnt vmcnt(0)
	v_cmp_neq_f32_e32 vcc, 0, v25
	v_cndmask_b32_e64 v25, 0, 1, vcc
.LBB248_567:
	;; [unrolled: 32-line block ×3, first 2 shown]
	s_or_b64 exec, exec, s[2:3]
	v_or_b32_e32 v31, 0x700, v0
	v_cmp_gt_u32_e32 vcc, s8, v31
	s_and_saveexec_b64 s[2:3], vcc
	s_cbranch_execz .LBB248_573
; %bb.572:
	v_lshlrev_b32_e32 v27, 2, v31
	global_load_dword v27, v27, s[0:1]
	s_mov_b32 s9, 0
	v_mov_b32_e32 v28, s9
	s_waitcnt vmcnt(0)
	v_cmp_neq_f32_e32 vcc, 0, v27
	v_cndmask_b32_e64 v27, 0, 1, vcc
.LBB248_573:
	s_or_b64 exec, exec, s[2:3]
	v_or_b32_e32 v33, 0x780, v0
	v_mov_b32_e32 v31, 0
	v_mov_b32_e32 v32, 0
	v_cmp_gt_u32_e32 vcc, s8, v33
	s_and_saveexec_b64 s[2:3], vcc
	s_cbranch_execz .LBB248_575
; %bb.574:
	v_lshlrev_b32_e32 v31, 2, v33
	global_load_dword v31, v31, s[0:1]
	s_mov_b32 s0, 0
	v_mov_b32_e32 v32, s0
	s_waitcnt vmcnt(0)
	v_cmp_neq_f32_e32 vcc, 0, v31
	v_cndmask_b32_e64 v31, 0, 1, vcc
.LBB248_575:
	s_or_b64 exec, exec, s[2:3]
	v_add_co_u32_e32 v1, vcc, v5, v1
	v_addc_co_u32_e32 v2, vcc, v6, v2, vcc
	v_add_co_u32_e32 v1, vcc, v1, v3
	v_addc_co_u32_e32 v2, vcc, v2, v4, vcc
	;; [unrolled: 2-line block ×14, first 2 shown]
	v_mbcnt_lo_u32_b32 v3, -1, 0
	v_add_co_u32_e32 v1, vcc, v1, v31
	v_mbcnt_hi_u32_b32 v3, -1, v3
	v_addc_co_u32_e32 v2, vcc, v2, v32, vcc
	v_and_b32_e32 v4, 63, v3
	v_cmp_ne_u32_e32 vcc, 63, v4
	v_addc_co_u32_e32 v6, vcc, 0, v3, vcc
	v_lshlrev_b32_e32 v6, 2, v6
	ds_bpermute_b32 v8, v6, v1
	ds_bpermute_b32 v7, v6, v2
	s_min_u32 s2, s8, 0x80
	v_and_b32_e32 v5, 64, v0
	v_sub_u32_e64 v5, s2, v5 clamp
	v_add_u32_e32 v6, 1, v4
	v_cmp_lt_u32_e32 vcc, v6, v5
	v_mov_b32_e32 v6, v1
	s_and_saveexec_b64 s[0:1], vcc
	s_cbranch_execz .LBB248_577
; %bb.576:
	s_waitcnt lgkmcnt(1)
	v_add_co_u32_e32 v6, vcc, v1, v8
	v_addc_co_u32_e32 v2, vcc, 0, v2, vcc
	v_add_co_u32_e32 v1, vcc, 0, v6
	s_waitcnt lgkmcnt(0)
	v_addc_co_u32_e32 v2, vcc, v7, v2, vcc
.LBB248_577:
	s_or_b64 exec, exec, s[0:1]
	v_cmp_gt_u32_e32 vcc, 62, v4
	s_waitcnt lgkmcnt(0)
	v_cndmask_b32_e64 v7, 0, 2, vcc
	v_add_lshl_u32 v7, v7, v3, 2
	ds_bpermute_b32 v8, v7, v6
	ds_bpermute_b32 v7, v7, v2
	v_add_u32_e32 v9, 2, v4
	v_cmp_lt_u32_e32 vcc, v9, v5
	s_and_saveexec_b64 s[0:1], vcc
	s_cbranch_execz .LBB248_579
; %bb.578:
	s_waitcnt lgkmcnt(1)
	v_add_co_u32_e32 v6, vcc, v1, v8
	v_addc_co_u32_e32 v2, vcc, 0, v2, vcc
	v_add_co_u32_e32 v1, vcc, 0, v6
	s_waitcnt lgkmcnt(0)
	v_addc_co_u32_e32 v2, vcc, v7, v2, vcc
.LBB248_579:
	s_or_b64 exec, exec, s[0:1]
	v_cmp_gt_u32_e32 vcc, 60, v4
	s_waitcnt lgkmcnt(0)
	v_cndmask_b32_e64 v7, 0, 4, vcc
	v_add_lshl_u32 v7, v7, v3, 2
	ds_bpermute_b32 v8, v7, v6
	ds_bpermute_b32 v7, v7, v2
	v_add_u32_e32 v9, 4, v4
	v_cmp_lt_u32_e32 vcc, v9, v5
	;; [unrolled: 19-line block ×4, first 2 shown]
	s_and_saveexec_b64 s[0:1], vcc
	s_cbranch_execz .LBB248_585
; %bb.584:
	s_waitcnt lgkmcnt(1)
	v_add_co_u32_e32 v6, vcc, v1, v8
	v_addc_co_u32_e32 v2, vcc, 0, v2, vcc
	v_add_co_u32_e32 v1, vcc, 0, v6
	s_waitcnt lgkmcnt(0)
	v_addc_co_u32_e32 v2, vcc, v7, v2, vcc
.LBB248_585:
	s_or_b64 exec, exec, s[0:1]
	s_waitcnt lgkmcnt(0)
	v_lshlrev_b32_e32 v7, 2, v3
	v_or_b32_e32 v8, 0x80, v7
	ds_bpermute_b32 v6, v8, v6
	ds_bpermute_b32 v8, v8, v2
	v_add_u32_e32 v4, 32, v4
	s_waitcnt lgkmcnt(1)
	v_add_co_u32_e32 v6, vcc, v1, v6
	v_addc_co_u32_e32 v9, vcc, 0, v2, vcc
	v_add_co_u32_e32 v6, vcc, 0, v6
	s_waitcnt lgkmcnt(0)
	v_addc_co_u32_e32 v8, vcc, v9, v8, vcc
	v_cmp_lt_u32_e32 vcc, v4, v5
	v_cndmask_b32_e32 v2, v2, v8, vcc
	v_cndmask_b32_e32 v1, v1, v6, vcc
	v_cmp_eq_u32_e32 vcc, 0, v3
	s_and_saveexec_b64 s[0:1], vcc
; %bb.586:
	v_lshrrev_b32_e32 v4, 3, v0
	v_and_b32_e32 v4, 8, v4
	ds_write_b64 v4, v[1:2] offset:128
; %bb.587:
	s_or_b64 exec, exec, s[0:1]
	v_cmp_gt_u32_e32 vcc, 2, v0
	s_waitcnt lgkmcnt(0)
	s_barrier
	s_and_saveexec_b64 s[0:1], vcc
	s_cbranch_execz .LBB248_589
; %bb.588:
	v_lshlrev_b32_e32 v1, 3, v3
	ds_read_b64 v[1:2], v1 offset:128
	v_or_b32_e32 v4, 4, v7
	s_add_i32 s2, s2, 63
	v_and_b32_e32 v3, 1, v3
	s_lshr_b32 s2, s2, 6
	s_waitcnt lgkmcnt(0)
	ds_bpermute_b32 v5, v4, v2
	ds_bpermute_b32 v4, v4, v1
	v_add_u32_e32 v3, 1, v3
	v_cmp_gt_u32_e32 vcc, s2, v3
	s_waitcnt lgkmcnt(1)
	v_cndmask_b32_e32 v3, 0, v5, vcc
	s_waitcnt lgkmcnt(0)
	v_cndmask_b32_e32 v4, 0, v4, vcc
	v_add_co_u32_e32 v1, vcc, v4, v1
	v_addc_co_u32_e32 v2, vcc, v3, v2, vcc
.LBB248_589:
	s_or_b64 exec, exec, s[0:1]
.LBB248_590:
	v_mov_b32_e32 v3, s6
	v_cmp_eq_u32_e64 s[2:3], 0, v0
	v_mov_b32_e32 v4, s7
.LBB248_591:
	s_branch .LBB248_731
.LBB248_592:
	s_cmp_gt_i32 s26, 3
	s_cbranch_scc0 .LBB248_601
; %bb.593:
	s_cmp_gt_i32 s26, 7
	s_cbranch_scc0 .LBB248_602
; %bb.594:
	s_cmp_eq_u32 s26, 8
                                        ; implicit-def: $vgpr1_vgpr2
                                        ; implicit-def: $vgpr3_vgpr4
	s_cbranch_scc0 .LBB248_603
; %bb.595:
	s_mov_b32 s7, 0
	s_lshl_b32 s0, s6, 10
	s_mov_b32 s1, s7
	s_lshr_b64 s[2:3], s[20:21], 10
	s_lshl_b64 s[8:9], s[0:1], 2
	s_add_u32 s16, s18, s8
	s_addc_u32 s17, s19, s9
	s_cmp_lg_u64 s[2:3], s[6:7]
	s_cbranch_scc0 .LBB248_604
; %bb.596:
	v_lshlrev_b32_e32 v1, 2, v0
	global_load_dword v2, v1, s[16:17] offset:1536
	global_load_dword v4, v1, s[16:17] offset:2048
	;; [unrolled: 1-line block ×6, first 2 shown]
	global_load_dword v9, v1, s[16:17]
	global_load_dword v10, v1, s[16:17] offset:1024
	v_mov_b32_e32 v1, 0
	v_mbcnt_lo_u32_b32 v3, -1, 0
	v_mbcnt_hi_u32_b32 v3, -1, v3
	v_mov_b32_dpp v1, v1 quad_perm:[1,0,3,2] row_mask:0xf bank_mask:0xf bound_ctrl:1
	s_waitcnt vmcnt(7)
	v_cmp_neq_f32_e32 vcc, 0, v2
	v_cndmask_b32_e64 v2, 0, 1, vcc
	s_waitcnt vmcnt(6)
	v_cmp_neq_f32_e32 vcc, 0, v4
	v_cndmask_b32_e64 v4, 0, 1, vcc
	;; [unrolled: 3-line block ×7, first 2 shown]
	s_waitcnt vmcnt(0)
	v_cmp_neq_f32_e32 vcc, 0, v10
	v_addc_co_u32_e32 v8, vcc, v8, v9, vcc
	v_add_co_u32_e32 v2, vcc, v8, v2
	v_addc_co_u32_e64 v8, s[2:3], 0, 0, vcc
	v_add_co_u32_e32 v2, vcc, v2, v4
	v_addc_co_u32_e32 v4, vcc, 0, v8, vcc
	v_add_co_u32_e32 v2, vcc, v2, v5
	v_addc_co_u32_e32 v4, vcc, 0, v4, vcc
	;; [unrolled: 2-line block ×4, first 2 shown]
	s_nop 0
	v_mov_b32_dpp v5, v2 quad_perm:[1,0,3,2] row_mask:0xf bank_mask:0xf bound_ctrl:1
	v_add_co_u32_e32 v2, vcc, v2, v5
	v_addc_co_u32_e32 v4, vcc, 0, v4, vcc
	v_add_co_u32_e32 v5, vcc, 0, v2
	v_addc_co_u32_e32 v1, vcc, v1, v4, vcc
	v_mov_b32_dpp v2, v2 quad_perm:[2,3,0,1] row_mask:0xf bank_mask:0xf bound_ctrl:1
	v_add_co_u32_e32 v2, vcc, v5, v2
	v_mov_b32_dpp v4, v1 quad_perm:[2,3,0,1] row_mask:0xf bank_mask:0xf bound_ctrl:1
	v_addc_co_u32_e32 v1, vcc, 0, v1, vcc
	v_add_co_u32_e32 v5, vcc, 0, v2
	v_addc_co_u32_e32 v1, vcc, v1, v4, vcc
	v_mov_b32_dpp v2, v2 row_ror:4 row_mask:0xf bank_mask:0xf bound_ctrl:1
	v_add_co_u32_e32 v2, vcc, v5, v2
	v_mov_b32_dpp v4, v1 row_ror:4 row_mask:0xf bank_mask:0xf bound_ctrl:1
	v_addc_co_u32_e32 v1, vcc, 0, v1, vcc
	v_add_co_u32_e32 v5, vcc, 0, v2
	v_addc_co_u32_e32 v1, vcc, v1, v4, vcc
	v_mov_b32_dpp v2, v2 row_ror:8 row_mask:0xf bank_mask:0xf bound_ctrl:1
	v_add_co_u32_e32 v2, vcc, v5, v2
	v_mov_b32_dpp v4, v1 row_ror:8 row_mask:0xf bank_mask:0xf bound_ctrl:1
	v_addc_co_u32_e32 v1, vcc, 0, v1, vcc
	v_add_co_u32_e32 v5, vcc, 0, v2
	v_addc_co_u32_e32 v1, vcc, v1, v4, vcc
	v_mov_b32_dpp v2, v2 row_bcast:15 row_mask:0xf bank_mask:0xf bound_ctrl:1
	v_add_co_u32_e32 v2, vcc, v5, v2
	v_mov_b32_dpp v4, v1 row_bcast:15 row_mask:0xf bank_mask:0xf bound_ctrl:1
	v_addc_co_u32_e32 v1, vcc, 0, v1, vcc
	v_add_co_u32_e32 v5, vcc, 0, v2
	v_addc_co_u32_e32 v1, vcc, v1, v4, vcc
	v_mov_b32_dpp v2, v2 row_bcast:31 row_mask:0xf bank_mask:0xf bound_ctrl:1
	v_add_co_u32_e32 v2, vcc, v5, v2
	v_addc_co_u32_e32 v4, vcc, 0, v1, vcc
	v_cmp_eq_u32_e32 vcc, 0, v3
	s_nop 0
	v_add_u32_dpp v5, v1, v4 row_bcast:31 row_mask:0xf bank_mask:0xf bound_ctrl:1
	v_lshlrev_b32_e32 v4, 2, v3
	v_or_b32_e32 v6, 0xfc, v4
	ds_bpermute_b32 v1, v6, v2
	ds_bpermute_b32 v2, v6, v5
	s_and_saveexec_b64 s[2:3], vcc
	s_cbranch_execz .LBB248_598
; %bb.597:
	v_lshrrev_b32_e32 v5, 3, v0
	v_and_b32_e32 v5, 8, v5
	s_waitcnt lgkmcnt(0)
	ds_write_b64 v5, v[1:2] offset:112
.LBB248_598:
	s_or_b64 exec, exec, s[2:3]
	v_cmp_gt_u32_e32 vcc, 64, v0
	s_waitcnt lgkmcnt(0)
	s_barrier
	s_and_saveexec_b64 s[2:3], vcc
	s_cbranch_execz .LBB248_600
; %bb.599:
	v_and_b32_e32 v1, 1, v3
	v_lshlrev_b32_e32 v1, 3, v1
	ds_read_b64 v[1:2], v1 offset:112
	v_or_b32_e32 v3, 4, v4
	s_waitcnt lgkmcnt(0)
	ds_bpermute_b32 v4, v3, v1
	ds_bpermute_b32 v3, v3, v2
	s_waitcnt lgkmcnt(1)
	v_add_co_u32_e32 v1, vcc, v1, v4
	v_addc_co_u32_e32 v2, vcc, 0, v2, vcc
	v_add_co_u32_e32 v1, vcc, 0, v1
	s_waitcnt lgkmcnt(0)
	v_addc_co_u32_e32 v2, vcc, v2, v3, vcc
.LBB248_600:
	s_or_b64 exec, exec, s[2:3]
	s_mov_b64 s[2:3], 0
	s_branch .LBB248_605
.LBB248_601:
                                        ; implicit-def: $vgpr1_vgpr2
                                        ; implicit-def: $vgpr3_vgpr4
	s_cbranch_execnz .LBB248_672
	s_branch .LBB248_731
.LBB248_602:
                                        ; implicit-def: $vgpr1_vgpr2
                                        ; implicit-def: $vgpr3_vgpr4
	s_cbranch_execnz .LBB248_638
	s_branch .LBB248_671
.LBB248_603:
	s_branch .LBB248_671
.LBB248_604:
	s_mov_b64 s[2:3], -1
                                        ; implicit-def: $vgpr1_vgpr2
.LBB248_605:
	s_and_b64 vcc, exec, s[2:3]
	s_cbranch_vccz .LBB248_637
; %bb.606:
	s_sub_i32 s27, s20, s0
	v_mov_b32_e32 v1, 0
	v_cmp_gt_u32_e32 vcc, s27, v0
	v_mov_b32_e32 v2, v1
	v_mov_b32_e32 v3, v1
	v_mov_b32_e32 v4, v1
	v_mov_b32_e32 v5, v1
	v_mov_b32_e32 v6, v1
	v_mov_b32_e32 v7, v1
	v_mov_b32_e32 v8, v1
	v_mov_b32_e32 v9, v1
	v_mov_b32_e32 v10, v1
	v_mov_b32_e32 v11, v1
	v_mov_b32_e32 v12, v1
	v_mov_b32_e32 v13, v1
	v_mov_b32_e32 v14, v1
	v_mov_b32_e32 v15, v1
	v_mov_b32_e32 v16, v1
	s_and_saveexec_b64 s[0:1], vcc
	s_cbranch_execz .LBB248_608
; %bb.607:
	v_lshlrev_b32_e32 v2, 2, v0
	global_load_dword v17, v2, s[16:17]
	v_mov_b32_e32 v2, v1
	v_mov_b32_e32 v3, v1
	;; [unrolled: 1-line block ×15, first 2 shown]
	s_waitcnt vmcnt(0)
	v_cmp_neq_f32_e32 vcc, 0, v17
	v_cndmask_b32_e64 v1, 0, 1, vcc
	v_and_b32_e32 v1, 0xffff, v1
.LBB248_608:
	s_or_b64 exec, exec, s[0:1]
	v_or_b32_e32 v17, 0x80, v0
	v_cmp_gt_u32_e32 vcc, s27, v17
	s_and_saveexec_b64 s[2:3], vcc
	s_cbranch_execz .LBB248_610
; %bb.609:
	v_lshlrev_b32_e32 v3, 2, v0
	global_load_dword v3, v3, s[16:17] offset:512
	s_mov_b32 s8, 0
	v_mov_b32_e32 v4, s8
	s_waitcnt vmcnt(0)
	v_cmp_neq_f32_e64 s[0:1], 0, v3
	v_cndmask_b32_e64 v3, 0, 1, s[0:1]
.LBB248_610:
	s_or_b64 exec, exec, s[2:3]
	v_or_b32_e32 v17, 0x100, v0
	v_cmp_gt_u32_e64 s[0:1], s27, v17
	s_and_saveexec_b64 s[8:9], s[0:1]
	s_cbranch_execz .LBB248_612
; %bb.611:
	v_lshlrev_b32_e32 v5, 2, v0
	global_load_dword v5, v5, s[16:17] offset:1024
	s_mov_b32 s10, 0
	v_mov_b32_e32 v6, s10
	s_waitcnt vmcnt(0)
	v_cmp_neq_f32_e64 s[2:3], 0, v5
	v_cndmask_b32_e64 v5, 0, 1, s[2:3]
.LBB248_612:
	s_or_b64 exec, exec, s[8:9]
	v_or_b32_e32 v17, 0x180, v0
	v_cmp_gt_u32_e64 s[2:3], s27, v17
	s_and_saveexec_b64 s[10:11], s[2:3]
	;; [unrolled: 14-line block ×6, first 2 shown]
	s_cbranch_execz .LBB248_622
; %bb.621:
	v_lshlrev_b32_e32 v15, 2, v0
	global_load_dword v15, v15, s[16:17] offset:3584
	s_mov_b32 s28, 0
	v_mov_b32_e32 v16, s28
	s_waitcnt vmcnt(0)
	v_cmp_neq_f32_e64 s[16:17], 0, v15
	v_cndmask_b32_e64 v15, 0, 1, s[16:17]
.LBB248_622:
	s_or_b64 exec, exec, s[24:25]
	v_cndmask_b32_e32 v3, 0, v3, vcc
	v_cndmask_b32_e32 v4, 0, v4, vcc
	v_add_co_u32_e32 v1, vcc, v3, v1
	v_addc_co_u32_e32 v2, vcc, v4, v2, vcc
	v_cndmask_b32_e64 v4, 0, v5, s[0:1]
	v_cndmask_b32_e64 v3, 0, v6, s[0:1]
	v_add_co_u32_e32 v1, vcc, v1, v4
	v_addc_co_u32_e32 v2, vcc, v2, v3, vcc
	v_cndmask_b32_e64 v4, 0, v7, s[2:3]
	v_cndmask_b32_e64 v3, 0, v8, s[2:3]
	;; [unrolled: 4-line block ×6, first 2 shown]
	v_add_co_u32_e32 v1, vcc, v1, v4
	v_addc_co_u32_e32 v2, vcc, v2, v3, vcc
	v_mbcnt_lo_u32_b32 v3, -1, 0
	v_mbcnt_hi_u32_b32 v3, -1, v3
	v_and_b32_e32 v4, 63, v3
	v_cmp_ne_u32_e32 vcc, 63, v4
	v_addc_co_u32_e32 v6, vcc, 0, v3, vcc
	v_lshlrev_b32_e32 v6, 2, v6
	ds_bpermute_b32 v8, v6, v1
	ds_bpermute_b32 v7, v6, v2
	s_min_u32 s2, s27, 0x80
	v_and_b32_e32 v5, 64, v0
	v_sub_u32_e64 v5, s2, v5 clamp
	v_add_u32_e32 v6, 1, v4
	v_cmp_lt_u32_e32 vcc, v6, v5
	v_mov_b32_e32 v6, v1
	s_and_saveexec_b64 s[0:1], vcc
	s_cbranch_execz .LBB248_624
; %bb.623:
	s_waitcnt lgkmcnt(1)
	v_add_co_u32_e32 v6, vcc, v1, v8
	v_addc_co_u32_e32 v2, vcc, 0, v2, vcc
	v_add_co_u32_e32 v1, vcc, 0, v6
	s_waitcnt lgkmcnt(0)
	v_addc_co_u32_e32 v2, vcc, v2, v7, vcc
.LBB248_624:
	s_or_b64 exec, exec, s[0:1]
	v_cmp_gt_u32_e32 vcc, 62, v4
	s_waitcnt lgkmcnt(0)
	v_cndmask_b32_e64 v7, 0, 2, vcc
	v_add_lshl_u32 v7, v7, v3, 2
	ds_bpermute_b32 v8, v7, v6
	ds_bpermute_b32 v7, v7, v2
	v_add_u32_e32 v9, 2, v4
	v_cmp_lt_u32_e32 vcc, v9, v5
	s_and_saveexec_b64 s[0:1], vcc
	s_cbranch_execz .LBB248_626
; %bb.625:
	s_waitcnt lgkmcnt(1)
	v_add_co_u32_e32 v6, vcc, v1, v8
	v_addc_co_u32_e32 v2, vcc, 0, v2, vcc
	v_add_co_u32_e32 v1, vcc, 0, v6
	s_waitcnt lgkmcnt(0)
	v_addc_co_u32_e32 v2, vcc, v7, v2, vcc
.LBB248_626:
	s_or_b64 exec, exec, s[0:1]
	v_cmp_gt_u32_e32 vcc, 60, v4
	s_waitcnt lgkmcnt(0)
	v_cndmask_b32_e64 v7, 0, 4, vcc
	v_add_lshl_u32 v7, v7, v3, 2
	ds_bpermute_b32 v8, v7, v6
	ds_bpermute_b32 v7, v7, v2
	v_add_u32_e32 v9, 4, v4
	v_cmp_lt_u32_e32 vcc, v9, v5
	s_and_saveexec_b64 s[0:1], vcc
	s_cbranch_execz .LBB248_628
; %bb.627:
	s_waitcnt lgkmcnt(1)
	v_add_co_u32_e32 v6, vcc, v1, v8
	v_addc_co_u32_e32 v2, vcc, 0, v2, vcc
	v_add_co_u32_e32 v1, vcc, 0, v6
	s_waitcnt lgkmcnt(0)
	v_addc_co_u32_e32 v2, vcc, v7, v2, vcc
.LBB248_628:
	s_or_b64 exec, exec, s[0:1]
	v_cmp_gt_u32_e32 vcc, 56, v4
	s_waitcnt lgkmcnt(0)
	v_cndmask_b32_e64 v7, 0, 8, vcc
	v_add_lshl_u32 v7, v7, v3, 2
	ds_bpermute_b32 v8, v7, v6
	ds_bpermute_b32 v7, v7, v2
	v_add_u32_e32 v9, 8, v4
	v_cmp_lt_u32_e32 vcc, v9, v5
	s_and_saveexec_b64 s[0:1], vcc
	s_cbranch_execz .LBB248_630
; %bb.629:
	s_waitcnt lgkmcnt(1)
	v_add_co_u32_e32 v6, vcc, v1, v8
	v_addc_co_u32_e32 v2, vcc, 0, v2, vcc
	v_add_co_u32_e32 v1, vcc, 0, v6
	s_waitcnt lgkmcnt(0)
	v_addc_co_u32_e32 v2, vcc, v7, v2, vcc
.LBB248_630:
	s_or_b64 exec, exec, s[0:1]
	v_cmp_gt_u32_e32 vcc, 48, v4
	s_waitcnt lgkmcnt(0)
	v_cndmask_b32_e64 v7, 0, 16, vcc
	v_add_lshl_u32 v7, v7, v3, 2
	ds_bpermute_b32 v8, v7, v6
	ds_bpermute_b32 v7, v7, v2
	v_add_u32_e32 v9, 16, v4
	v_cmp_lt_u32_e32 vcc, v9, v5
	s_and_saveexec_b64 s[0:1], vcc
	s_cbranch_execz .LBB248_632
; %bb.631:
	s_waitcnt lgkmcnt(1)
	v_add_co_u32_e32 v6, vcc, v1, v8
	v_addc_co_u32_e32 v2, vcc, 0, v2, vcc
	v_add_co_u32_e32 v1, vcc, 0, v6
	s_waitcnt lgkmcnt(0)
	v_addc_co_u32_e32 v2, vcc, v7, v2, vcc
.LBB248_632:
	s_or_b64 exec, exec, s[0:1]
	s_waitcnt lgkmcnt(0)
	v_lshlrev_b32_e32 v7, 2, v3
	v_or_b32_e32 v8, 0x80, v7
	ds_bpermute_b32 v6, v8, v6
	ds_bpermute_b32 v8, v8, v2
	v_add_u32_e32 v4, 32, v4
	s_waitcnt lgkmcnt(1)
	v_add_co_u32_e32 v6, vcc, v1, v6
	v_addc_co_u32_e32 v9, vcc, 0, v2, vcc
	v_add_co_u32_e32 v6, vcc, 0, v6
	s_waitcnt lgkmcnt(0)
	v_addc_co_u32_e32 v8, vcc, v9, v8, vcc
	v_cmp_lt_u32_e32 vcc, v4, v5
	v_cndmask_b32_e32 v2, v2, v8, vcc
	v_cndmask_b32_e32 v1, v1, v6, vcc
	v_cmp_eq_u32_e32 vcc, 0, v3
	s_and_saveexec_b64 s[0:1], vcc
; %bb.633:
	v_lshrrev_b32_e32 v4, 3, v0
	v_and_b32_e32 v4, 8, v4
	ds_write_b64 v4, v[1:2] offset:128
; %bb.634:
	s_or_b64 exec, exec, s[0:1]
	v_cmp_gt_u32_e32 vcc, 2, v0
	s_waitcnt lgkmcnt(0)
	s_barrier
	s_and_saveexec_b64 s[0:1], vcc
	s_cbranch_execz .LBB248_636
; %bb.635:
	v_lshlrev_b32_e32 v1, 3, v3
	ds_read_b64 v[1:2], v1 offset:128
	v_or_b32_e32 v4, 4, v7
	s_add_i32 s2, s2, 63
	v_and_b32_e32 v3, 1, v3
	s_lshr_b32 s2, s2, 6
	s_waitcnt lgkmcnt(0)
	ds_bpermute_b32 v5, v4, v2
	ds_bpermute_b32 v4, v4, v1
	v_add_u32_e32 v3, 1, v3
	v_cmp_gt_u32_e32 vcc, s2, v3
	s_waitcnt lgkmcnt(1)
	v_cndmask_b32_e32 v3, 0, v5, vcc
	s_waitcnt lgkmcnt(0)
	v_cndmask_b32_e32 v4, 0, v4, vcc
	v_add_co_u32_e32 v1, vcc, v4, v1
	v_addc_co_u32_e32 v2, vcc, v3, v2, vcc
.LBB248_636:
	s_or_b64 exec, exec, s[0:1]
.LBB248_637:
	v_mov_b32_e32 v3, s6
	v_cmp_eq_u32_e64 s[2:3], 0, v0
	v_mov_b32_e32 v4, s7
	s_branch .LBB248_671
.LBB248_638:
	s_cmp_eq_u32 s26, 4
                                        ; implicit-def: $vgpr1_vgpr2
                                        ; implicit-def: $vgpr3_vgpr4
	s_cbranch_scc0 .LBB248_671
; %bb.639:
	s_mov_b32 s7, 0
	s_lshl_b32 s0, s6, 9
	s_mov_b32 s1, s7
	s_lshr_b64 s[2:3], s[20:21], 9
	s_lshl_b64 s[8:9], s[0:1], 2
	s_add_u32 s8, s18, s8
	s_addc_u32 s9, s19, s9
	s_cmp_lg_u64 s[2:3], s[6:7]
	s_cbranch_scc0 .LBB248_645
; %bb.640:
	v_lshlrev_b32_e32 v1, 2, v0
	global_load_dword v2, v1, s[8:9] offset:1536
	global_load_dword v5, v1, s[8:9] offset:512
	global_load_dword v6, v1, s[8:9]
	global_load_dword v7, v1, s[8:9] offset:1024
	v_mov_b32_e32 v1, 0
	v_mbcnt_lo_u32_b32 v3, -1, 0
	v_mbcnt_hi_u32_b32 v3, -1, v3
	v_mov_b32_dpp v1, v1 quad_perm:[1,0,3,2] row_mask:0xf bank_mask:0xf bound_ctrl:1
	v_lshlrev_b32_e32 v4, 2, v3
	v_or_b32_e32 v8, 0xfc, v4
	s_waitcnt vmcnt(3)
	v_cmp_neq_f32_e32 vcc, 0, v2
	v_cndmask_b32_e64 v2, 0, 1, vcc
	s_waitcnt vmcnt(2)
	v_cmp_neq_f32_e32 vcc, 0, v5
	v_cndmask_b32_e64 v5, 0, 1, vcc
	;; [unrolled: 3-line block ×3, first 2 shown]
	s_waitcnt vmcnt(0)
	v_cmp_neq_f32_e32 vcc, 0, v7
	v_addc_co_u32_e32 v5, vcc, v5, v6, vcc
	v_add_co_u32_e32 v2, vcc, v5, v2
	v_addc_co_u32_e64 v5, s[2:3], 0, 0, vcc
	s_nop 0
	v_mov_b32_dpp v6, v2 quad_perm:[1,0,3,2] row_mask:0xf bank_mask:0xf bound_ctrl:1
	v_add_co_u32_e32 v2, vcc, v2, v6
	v_addc_co_u32_e32 v5, vcc, 0, v5, vcc
	v_add_co_u32_e32 v6, vcc, 0, v2
	v_addc_co_u32_e32 v1, vcc, v1, v5, vcc
	v_mov_b32_dpp v2, v2 quad_perm:[2,3,0,1] row_mask:0xf bank_mask:0xf bound_ctrl:1
	v_add_co_u32_e32 v2, vcc, v6, v2
	v_mov_b32_dpp v5, v1 quad_perm:[2,3,0,1] row_mask:0xf bank_mask:0xf bound_ctrl:1
	v_addc_co_u32_e32 v1, vcc, 0, v1, vcc
	v_add_co_u32_e32 v6, vcc, 0, v2
	v_addc_co_u32_e32 v1, vcc, v1, v5, vcc
	v_mov_b32_dpp v2, v2 row_ror:4 row_mask:0xf bank_mask:0xf bound_ctrl:1
	v_add_co_u32_e32 v2, vcc, v6, v2
	v_mov_b32_dpp v5, v1 row_ror:4 row_mask:0xf bank_mask:0xf bound_ctrl:1
	v_addc_co_u32_e32 v1, vcc, 0, v1, vcc
	v_add_co_u32_e32 v6, vcc, 0, v2
	v_addc_co_u32_e32 v1, vcc, v1, v5, vcc
	v_mov_b32_dpp v2, v2 row_ror:8 row_mask:0xf bank_mask:0xf bound_ctrl:1
	v_add_co_u32_e32 v2, vcc, v6, v2
	v_mov_b32_dpp v5, v1 row_ror:8 row_mask:0xf bank_mask:0xf bound_ctrl:1
	v_addc_co_u32_e32 v1, vcc, 0, v1, vcc
	v_add_co_u32_e32 v6, vcc, 0, v2
	v_addc_co_u32_e32 v1, vcc, v1, v5, vcc
	v_mov_b32_dpp v2, v2 row_bcast:15 row_mask:0xf bank_mask:0xf bound_ctrl:1
	v_add_co_u32_e32 v2, vcc, v6, v2
	v_mov_b32_dpp v5, v1 row_bcast:15 row_mask:0xf bank_mask:0xf bound_ctrl:1
	v_addc_co_u32_e32 v1, vcc, 0, v1, vcc
	v_add_co_u32_e32 v6, vcc, 0, v2
	v_addc_co_u32_e32 v1, vcc, v1, v5, vcc
	v_mov_b32_dpp v2, v2 row_bcast:31 row_mask:0xf bank_mask:0xf bound_ctrl:1
	v_add_co_u32_e32 v2, vcc, v6, v2
	v_addc_co_u32_e32 v5, vcc, 0, v1, vcc
	v_cmp_eq_u32_e32 vcc, 0, v3
	s_nop 0
	v_add_u32_dpp v5, v1, v5 row_bcast:31 row_mask:0xf bank_mask:0xf bound_ctrl:1
	ds_bpermute_b32 v1, v8, v2
	ds_bpermute_b32 v2, v8, v5
	s_and_saveexec_b64 s[2:3], vcc
	s_cbranch_execz .LBB248_642
; %bb.641:
	v_lshrrev_b32_e32 v5, 3, v0
	v_and_b32_e32 v5, 8, v5
	s_waitcnt lgkmcnt(0)
	ds_write_b64 v5, v[1:2] offset:80
.LBB248_642:
	s_or_b64 exec, exec, s[2:3]
	v_cmp_gt_u32_e32 vcc, 64, v0
	s_waitcnt lgkmcnt(0)
	s_barrier
	s_and_saveexec_b64 s[2:3], vcc
	s_cbranch_execz .LBB248_644
; %bb.643:
	v_and_b32_e32 v1, 1, v3
	v_lshlrev_b32_e32 v1, 3, v1
	ds_read_b64 v[1:2], v1 offset:80
	v_or_b32_e32 v3, 4, v4
	s_waitcnt lgkmcnt(0)
	ds_bpermute_b32 v4, v3, v1
	ds_bpermute_b32 v3, v3, v2
	s_waitcnt lgkmcnt(1)
	v_add_co_u32_e32 v1, vcc, v1, v4
	v_addc_co_u32_e32 v2, vcc, 0, v2, vcc
	v_add_co_u32_e32 v1, vcc, 0, v1
	s_waitcnt lgkmcnt(0)
	v_addc_co_u32_e32 v2, vcc, v2, v3, vcc
.LBB248_644:
	s_or_b64 exec, exec, s[2:3]
	s_mov_b64 s[2:3], 0
	s_branch .LBB248_646
.LBB248_645:
	s_mov_b64 s[2:3], -1
                                        ; implicit-def: $vgpr1_vgpr2
.LBB248_646:
	s_and_b64 vcc, exec, s[2:3]
	s_cbranch_vccz .LBB248_670
; %bb.647:
	s_sub_i32 s12, s20, s0
	v_mov_b32_e32 v1, 0
	v_cmp_gt_u32_e32 vcc, s12, v0
	v_mov_b32_e32 v2, v1
	v_mov_b32_e32 v3, v1
	;; [unrolled: 1-line block ×7, first 2 shown]
	s_and_saveexec_b64 s[0:1], vcc
	s_cbranch_execz .LBB248_649
; %bb.648:
	v_lshlrev_b32_e32 v2, 2, v0
	global_load_dword v2, v2, s[8:9]
	v_mov_b32_e32 v3, v1
	v_mov_b32_e32 v4, v1
	;; [unrolled: 1-line block ×7, first 2 shown]
	s_waitcnt vmcnt(0)
	v_cmp_neq_f32_e32 vcc, 0, v2
	v_cndmask_b32_e64 v2, 0, 1, vcc
	v_and_b32_e32 v2, 0xffff, v2
	v_mov_b32_e32 v1, v2
	v_mov_b32_e32 v2, v3
	;; [unrolled: 1-line block ×8, first 2 shown]
.LBB248_649:
	s_or_b64 exec, exec, s[0:1]
	v_or_b32_e32 v9, 0x80, v0
	v_cmp_gt_u32_e32 vcc, s12, v9
	s_and_saveexec_b64 s[2:3], vcc
	s_cbranch_execz .LBB248_651
; %bb.650:
	v_lshlrev_b32_e32 v3, 2, v0
	global_load_dword v3, v3, s[8:9] offset:512
	s_mov_b32 s10, 0
	v_mov_b32_e32 v4, s10
	s_waitcnt vmcnt(0)
	v_cmp_neq_f32_e64 s[0:1], 0, v3
	v_cndmask_b32_e64 v3, 0, 1, s[0:1]
.LBB248_651:
	s_or_b64 exec, exec, s[2:3]
	v_or_b32_e32 v9, 0x100, v0
	v_cmp_gt_u32_e64 s[0:1], s12, v9
	s_and_saveexec_b64 s[10:11], s[0:1]
	s_cbranch_execz .LBB248_653
; %bb.652:
	v_lshlrev_b32_e32 v5, 2, v0
	global_load_dword v5, v5, s[8:9] offset:1024
	s_mov_b32 s13, 0
	v_mov_b32_e32 v6, s13
	s_waitcnt vmcnt(0)
	v_cmp_neq_f32_e64 s[2:3], 0, v5
	v_cndmask_b32_e64 v5, 0, 1, s[2:3]
.LBB248_653:
	s_or_b64 exec, exec, s[10:11]
	v_or_b32_e32 v9, 0x180, v0
	v_cmp_gt_u32_e64 s[2:3], s12, v9
	s_and_saveexec_b64 s[10:11], s[2:3]
	s_cbranch_execz .LBB248_655
; %bb.654:
	v_lshlrev_b32_e32 v7, 2, v0
	global_load_dword v7, v7, s[8:9] offset:1536
	s_mov_b32 s13, 0
	v_mov_b32_e32 v8, s13
	s_waitcnt vmcnt(0)
	v_cmp_neq_f32_e64 s[8:9], 0, v7
	v_cndmask_b32_e64 v7, 0, 1, s[8:9]
.LBB248_655:
	s_or_b64 exec, exec, s[10:11]
	v_cndmask_b32_e32 v3, 0, v3, vcc
	v_cndmask_b32_e32 v4, 0, v4, vcc
	v_add_co_u32_e32 v1, vcc, v3, v1
	v_addc_co_u32_e32 v2, vcc, v4, v2, vcc
	v_cndmask_b32_e64 v4, 0, v5, s[0:1]
	v_cndmask_b32_e64 v3, 0, v6, s[0:1]
	v_add_co_u32_e32 v1, vcc, v1, v4
	v_addc_co_u32_e32 v2, vcc, v2, v3, vcc
	v_cndmask_b32_e64 v4, 0, v7, s[2:3]
	v_cndmask_b32_e64 v3, 0, v8, s[2:3]
	v_add_co_u32_e32 v1, vcc, v1, v4
	v_addc_co_u32_e32 v2, vcc, v2, v3, vcc
	v_mbcnt_lo_u32_b32 v3, -1, 0
	v_mbcnt_hi_u32_b32 v3, -1, v3
	v_and_b32_e32 v4, 63, v3
	v_cmp_ne_u32_e32 vcc, 63, v4
	v_addc_co_u32_e32 v6, vcc, 0, v3, vcc
	v_lshlrev_b32_e32 v6, 2, v6
	ds_bpermute_b32 v8, v6, v1
	ds_bpermute_b32 v7, v6, v2
	s_min_u32 s2, s12, 0x80
	v_and_b32_e32 v5, 64, v0
	v_sub_u32_e64 v5, s2, v5 clamp
	v_add_u32_e32 v6, 1, v4
	v_cmp_lt_u32_e32 vcc, v6, v5
	v_mov_b32_e32 v6, v1
	s_and_saveexec_b64 s[0:1], vcc
	s_cbranch_execz .LBB248_657
; %bb.656:
	s_waitcnt lgkmcnt(1)
	v_add_co_u32_e32 v6, vcc, v1, v8
	v_addc_co_u32_e32 v2, vcc, 0, v2, vcc
	v_add_co_u32_e32 v1, vcc, 0, v6
	s_waitcnt lgkmcnt(0)
	v_addc_co_u32_e32 v2, vcc, v7, v2, vcc
.LBB248_657:
	s_or_b64 exec, exec, s[0:1]
	v_cmp_gt_u32_e32 vcc, 62, v4
	s_waitcnt lgkmcnt(0)
	v_cndmask_b32_e64 v7, 0, 2, vcc
	v_add_lshl_u32 v7, v7, v3, 2
	ds_bpermute_b32 v8, v7, v6
	ds_bpermute_b32 v7, v7, v2
	v_add_u32_e32 v9, 2, v4
	v_cmp_lt_u32_e32 vcc, v9, v5
	s_and_saveexec_b64 s[0:1], vcc
	s_cbranch_execz .LBB248_659
; %bb.658:
	s_waitcnt lgkmcnt(1)
	v_add_co_u32_e32 v6, vcc, v1, v8
	v_addc_co_u32_e32 v2, vcc, 0, v2, vcc
	v_add_co_u32_e32 v1, vcc, 0, v6
	s_waitcnt lgkmcnt(0)
	v_addc_co_u32_e32 v2, vcc, v7, v2, vcc
.LBB248_659:
	s_or_b64 exec, exec, s[0:1]
	v_cmp_gt_u32_e32 vcc, 60, v4
	s_waitcnt lgkmcnt(0)
	v_cndmask_b32_e64 v7, 0, 4, vcc
	v_add_lshl_u32 v7, v7, v3, 2
	ds_bpermute_b32 v8, v7, v6
	ds_bpermute_b32 v7, v7, v2
	v_add_u32_e32 v9, 4, v4
	v_cmp_lt_u32_e32 vcc, v9, v5
	;; [unrolled: 19-line block ×4, first 2 shown]
	s_and_saveexec_b64 s[0:1], vcc
	s_cbranch_execz .LBB248_665
; %bb.664:
	s_waitcnt lgkmcnt(1)
	v_add_co_u32_e32 v6, vcc, v1, v8
	v_addc_co_u32_e32 v2, vcc, 0, v2, vcc
	v_add_co_u32_e32 v1, vcc, 0, v6
	s_waitcnt lgkmcnt(0)
	v_addc_co_u32_e32 v2, vcc, v7, v2, vcc
.LBB248_665:
	s_or_b64 exec, exec, s[0:1]
	s_waitcnt lgkmcnt(0)
	v_lshlrev_b32_e32 v7, 2, v3
	v_or_b32_e32 v8, 0x80, v7
	ds_bpermute_b32 v6, v8, v6
	ds_bpermute_b32 v8, v8, v2
	v_add_u32_e32 v4, 32, v4
	s_waitcnt lgkmcnt(1)
	v_add_co_u32_e32 v6, vcc, v1, v6
	v_addc_co_u32_e32 v9, vcc, 0, v2, vcc
	v_add_co_u32_e32 v6, vcc, 0, v6
	s_waitcnt lgkmcnt(0)
	v_addc_co_u32_e32 v8, vcc, v9, v8, vcc
	v_cmp_lt_u32_e32 vcc, v4, v5
	v_cndmask_b32_e32 v2, v2, v8, vcc
	v_cndmask_b32_e32 v1, v1, v6, vcc
	v_cmp_eq_u32_e32 vcc, 0, v3
	s_and_saveexec_b64 s[0:1], vcc
; %bb.666:
	v_lshrrev_b32_e32 v4, 3, v0
	v_and_b32_e32 v4, 8, v4
	ds_write_b64 v4, v[1:2] offset:128
; %bb.667:
	s_or_b64 exec, exec, s[0:1]
	v_cmp_gt_u32_e32 vcc, 2, v0
	s_waitcnt lgkmcnt(0)
	s_barrier
	s_and_saveexec_b64 s[0:1], vcc
	s_cbranch_execz .LBB248_669
; %bb.668:
	v_lshlrev_b32_e32 v1, 3, v3
	ds_read_b64 v[1:2], v1 offset:128
	v_or_b32_e32 v4, 4, v7
	s_add_i32 s2, s2, 63
	v_and_b32_e32 v3, 1, v3
	s_lshr_b32 s2, s2, 6
	s_waitcnt lgkmcnt(0)
	ds_bpermute_b32 v5, v4, v2
	ds_bpermute_b32 v4, v4, v1
	v_add_u32_e32 v3, 1, v3
	v_cmp_gt_u32_e32 vcc, s2, v3
	s_waitcnt lgkmcnt(1)
	v_cndmask_b32_e32 v3, 0, v5, vcc
	s_waitcnt lgkmcnt(0)
	v_cndmask_b32_e32 v4, 0, v4, vcc
	v_add_co_u32_e32 v1, vcc, v4, v1
	v_addc_co_u32_e32 v2, vcc, v3, v2, vcc
.LBB248_669:
	s_or_b64 exec, exec, s[0:1]
.LBB248_670:
	v_mov_b32_e32 v3, s6
	v_cmp_eq_u32_e64 s[2:3], 0, v0
	v_mov_b32_e32 v4, s7
.LBB248_671:
	s_branch .LBB248_731
.LBB248_672:
	s_cmp_gt_i32 s26, 1
	s_cbranch_scc0 .LBB248_680
; %bb.673:
	s_cmp_eq_u32 s26, 2
                                        ; implicit-def: $vgpr1_vgpr2
                                        ; implicit-def: $vgpr3_vgpr4
	s_cbranch_scc0 .LBB248_681
; %bb.674:
	s_mov_b32 s7, 0
	s_lshl_b32 s2, s6, 8
	s_mov_b32 s3, s7
	s_lshr_b64 s[8:9], s[20:21], 8
	s_lshl_b64 s[0:1], s[2:3], 2
	s_add_u32 s0, s18, s0
	s_addc_u32 s1, s19, s1
	s_cmp_lg_u64 s[8:9], s[6:7]
	s_cbranch_scc0 .LBB248_682
; %bb.675:
	v_lshlrev_b32_e32 v1, 2, v0
	global_load_dword v2, v1, s[0:1]
	global_load_dword v5, v1, s[0:1] offset:512
	v_mov_b32_e32 v1, 0
	v_mbcnt_lo_u32_b32 v3, -1, 0
	v_mbcnt_hi_u32_b32 v3, -1, v3
	v_mov_b32_dpp v1, v1 quad_perm:[1,0,3,2] row_mask:0xf bank_mask:0xf bound_ctrl:1
	v_lshlrev_b32_e32 v4, 2, v3
	v_or_b32_e32 v6, 0xfc, v4
	s_waitcnt vmcnt(1)
	v_cmp_neq_f32_e32 vcc, 0, v2
	v_cndmask_b32_e64 v2, 0, 1, vcc
	s_waitcnt vmcnt(0)
	v_cmp_neq_f32_e32 vcc, 0, v5
	v_addc_co_u32_e32 v2, vcc, 0, v2, vcc
	s_nop 1
	v_mov_b32_dpp v5, v2 quad_perm:[1,0,3,2] row_mask:0xf bank_mask:0xf bound_ctrl:1
	v_add_co_u32_e32 v2, vcc, v2, v5
	v_addc_co_u32_e64 v5, s[8:9], 0, 0, vcc
	v_add_co_u32_e32 v7, vcc, 0, v2
	v_addc_co_u32_e32 v1, vcc, v1, v5, vcc
	v_mov_b32_dpp v2, v2 quad_perm:[2,3,0,1] row_mask:0xf bank_mask:0xf bound_ctrl:1
	v_add_co_u32_e32 v2, vcc, v7, v2
	v_mov_b32_dpp v5, v1 quad_perm:[2,3,0,1] row_mask:0xf bank_mask:0xf bound_ctrl:1
	v_addc_co_u32_e32 v1, vcc, 0, v1, vcc
	v_add_co_u32_e32 v7, vcc, 0, v2
	v_addc_co_u32_e32 v1, vcc, v1, v5, vcc
	v_mov_b32_dpp v2, v2 row_ror:4 row_mask:0xf bank_mask:0xf bound_ctrl:1
	v_add_co_u32_e32 v2, vcc, v7, v2
	v_mov_b32_dpp v5, v1 row_ror:4 row_mask:0xf bank_mask:0xf bound_ctrl:1
	v_addc_co_u32_e32 v1, vcc, 0, v1, vcc
	v_add_co_u32_e32 v7, vcc, 0, v2
	v_addc_co_u32_e32 v1, vcc, v1, v5, vcc
	v_mov_b32_dpp v2, v2 row_ror:8 row_mask:0xf bank_mask:0xf bound_ctrl:1
	v_add_co_u32_e32 v2, vcc, v7, v2
	v_mov_b32_dpp v5, v1 row_ror:8 row_mask:0xf bank_mask:0xf bound_ctrl:1
	v_addc_co_u32_e32 v1, vcc, 0, v1, vcc
	v_add_co_u32_e32 v7, vcc, 0, v2
	v_addc_co_u32_e32 v1, vcc, v1, v5, vcc
	v_mov_b32_dpp v2, v2 row_bcast:15 row_mask:0xf bank_mask:0xf bound_ctrl:1
	v_add_co_u32_e32 v2, vcc, v7, v2
	v_mov_b32_dpp v5, v1 row_bcast:15 row_mask:0xf bank_mask:0xf bound_ctrl:1
	v_addc_co_u32_e32 v1, vcc, 0, v1, vcc
	v_add_co_u32_e32 v7, vcc, 0, v2
	v_addc_co_u32_e32 v1, vcc, v1, v5, vcc
	v_mov_b32_dpp v2, v2 row_bcast:31 row_mask:0xf bank_mask:0xf bound_ctrl:1
	v_add_co_u32_e32 v2, vcc, v7, v2
	v_addc_co_u32_e32 v5, vcc, 0, v1, vcc
	v_cmp_eq_u32_e32 vcc, 0, v3
	s_nop 0
	v_add_u32_dpp v5, v1, v5 row_bcast:31 row_mask:0xf bank_mask:0xf bound_ctrl:1
	ds_bpermute_b32 v1, v6, v2
	ds_bpermute_b32 v2, v6, v5
	s_and_saveexec_b64 s[8:9], vcc
	s_cbranch_execz .LBB248_677
; %bb.676:
	v_lshrrev_b32_e32 v5, 3, v0
	v_and_b32_e32 v5, 8, v5
	s_waitcnt lgkmcnt(0)
	ds_write_b64 v5, v[1:2] offset:48
.LBB248_677:
	s_or_b64 exec, exec, s[8:9]
	v_cmp_gt_u32_e32 vcc, 64, v0
	s_waitcnt lgkmcnt(0)
	s_barrier
	s_and_saveexec_b64 s[8:9], vcc
	s_cbranch_execz .LBB248_679
; %bb.678:
	v_and_b32_e32 v1, 1, v3
	v_lshlrev_b32_e32 v1, 3, v1
	ds_read_b64 v[1:2], v1 offset:48
	v_or_b32_e32 v3, 4, v4
	s_waitcnt lgkmcnt(0)
	ds_bpermute_b32 v4, v3, v1
	ds_bpermute_b32 v3, v3, v2
	s_waitcnt lgkmcnt(1)
	v_add_co_u32_e32 v1, vcc, v1, v4
	v_addc_co_u32_e32 v2, vcc, 0, v2, vcc
	v_add_co_u32_e32 v1, vcc, 0, v1
	s_waitcnt lgkmcnt(0)
	v_addc_co_u32_e32 v2, vcc, v2, v3, vcc
.LBB248_679:
	s_or_b64 exec, exec, s[8:9]
	s_mov_b64 s[8:9], 0
	s_branch .LBB248_683
.LBB248_680:
                                        ; implicit-def: $vgpr1_vgpr2
                                        ; implicit-def: $vgpr3_vgpr4
	s_cbranch_execnz .LBB248_704
	s_branch .LBB248_731
.LBB248_681:
	s_branch .LBB248_731
.LBB248_682:
	s_mov_b64 s[8:9], -1
                                        ; implicit-def: $vgpr1_vgpr2
.LBB248_683:
	s_and_b64 vcc, exec, s[8:9]
	s_cbranch_vccz .LBB248_703
; %bb.684:
	s_sub_i32 s8, s20, s2
	v_mov_b32_e32 v1, 0
	v_cmp_gt_u32_e32 vcc, s8, v0
	v_mov_b32_e32 v2, v1
	v_mov_b32_e32 v3, v1
	;; [unrolled: 1-line block ×3, first 2 shown]
	s_and_saveexec_b64 s[2:3], vcc
	s_cbranch_execz .LBB248_686
; %bb.685:
	v_lshlrev_b32_e32 v2, 2, v0
	global_load_dword v2, v2, s[0:1]
	v_mov_b32_e32 v3, v1
	v_mov_b32_e32 v4, v1
	;; [unrolled: 1-line block ×3, first 2 shown]
	s_waitcnt vmcnt(0)
	v_cmp_neq_f32_e32 vcc, 0, v2
	v_cndmask_b32_e64 v2, 0, 1, vcc
	v_and_b32_e32 v2, 0xffff, v2
	v_mov_b32_e32 v1, v2
	v_mov_b32_e32 v2, v3
	;; [unrolled: 1-line block ×4, first 2 shown]
.LBB248_686:
	s_or_b64 exec, exec, s[2:3]
	v_or_b32_e32 v5, 0x80, v0
	v_cmp_gt_u32_e32 vcc, s8, v5
	s_and_saveexec_b64 s[2:3], vcc
	s_cbranch_execz .LBB248_688
; %bb.687:
	v_lshlrev_b32_e32 v3, 2, v0
	global_load_dword v3, v3, s[0:1] offset:512
	s_mov_b32 s9, 0
	v_mov_b32_e32 v4, s9
	s_waitcnt vmcnt(0)
	v_cmp_neq_f32_e64 s[0:1], 0, v3
	v_cndmask_b32_e64 v3, 0, 1, s[0:1]
.LBB248_688:
	s_or_b64 exec, exec, s[2:3]
	v_cndmask_b32_e32 v3, 0, v3, vcc
	v_cndmask_b32_e32 v4, 0, v4, vcc
	v_add_co_u32_e32 v1, vcc, v3, v1
	v_mbcnt_lo_u32_b32 v3, -1, 0
	v_mbcnt_hi_u32_b32 v3, -1, v3
	v_addc_co_u32_e32 v2, vcc, v4, v2, vcc
	v_and_b32_e32 v4, 63, v3
	v_cmp_ne_u32_e32 vcc, 63, v4
	v_addc_co_u32_e32 v6, vcc, 0, v3, vcc
	v_lshlrev_b32_e32 v6, 2, v6
	ds_bpermute_b32 v8, v6, v1
	ds_bpermute_b32 v7, v6, v2
	s_min_u32 s2, s8, 0x80
	v_and_b32_e32 v5, 64, v0
	v_sub_u32_e64 v5, s2, v5 clamp
	v_add_u32_e32 v6, 1, v4
	v_cmp_lt_u32_e32 vcc, v6, v5
	v_mov_b32_e32 v6, v1
	s_and_saveexec_b64 s[0:1], vcc
	s_cbranch_execz .LBB248_690
; %bb.689:
	s_waitcnt lgkmcnt(1)
	v_add_co_u32_e32 v6, vcc, v1, v8
	v_addc_co_u32_e32 v2, vcc, 0, v2, vcc
	v_add_co_u32_e32 v1, vcc, 0, v6
	s_waitcnt lgkmcnt(0)
	v_addc_co_u32_e32 v2, vcc, v7, v2, vcc
.LBB248_690:
	s_or_b64 exec, exec, s[0:1]
	v_cmp_gt_u32_e32 vcc, 62, v4
	s_waitcnt lgkmcnt(0)
	v_cndmask_b32_e64 v7, 0, 2, vcc
	v_add_lshl_u32 v7, v7, v3, 2
	ds_bpermute_b32 v8, v7, v6
	ds_bpermute_b32 v7, v7, v2
	v_add_u32_e32 v9, 2, v4
	v_cmp_lt_u32_e32 vcc, v9, v5
	s_and_saveexec_b64 s[0:1], vcc
	s_cbranch_execz .LBB248_692
; %bb.691:
	s_waitcnt lgkmcnt(1)
	v_add_co_u32_e32 v6, vcc, v1, v8
	v_addc_co_u32_e32 v2, vcc, 0, v2, vcc
	v_add_co_u32_e32 v1, vcc, 0, v6
	s_waitcnt lgkmcnt(0)
	v_addc_co_u32_e32 v2, vcc, v7, v2, vcc
.LBB248_692:
	s_or_b64 exec, exec, s[0:1]
	v_cmp_gt_u32_e32 vcc, 60, v4
	s_waitcnt lgkmcnt(0)
	v_cndmask_b32_e64 v7, 0, 4, vcc
	v_add_lshl_u32 v7, v7, v3, 2
	ds_bpermute_b32 v8, v7, v6
	ds_bpermute_b32 v7, v7, v2
	v_add_u32_e32 v9, 4, v4
	v_cmp_lt_u32_e32 vcc, v9, v5
	;; [unrolled: 19-line block ×4, first 2 shown]
	s_and_saveexec_b64 s[0:1], vcc
	s_cbranch_execz .LBB248_698
; %bb.697:
	s_waitcnt lgkmcnt(1)
	v_add_co_u32_e32 v6, vcc, v1, v8
	v_addc_co_u32_e32 v2, vcc, 0, v2, vcc
	v_add_co_u32_e32 v1, vcc, 0, v6
	s_waitcnt lgkmcnt(0)
	v_addc_co_u32_e32 v2, vcc, v7, v2, vcc
.LBB248_698:
	s_or_b64 exec, exec, s[0:1]
	s_waitcnt lgkmcnt(0)
	v_lshlrev_b32_e32 v7, 2, v3
	v_or_b32_e32 v8, 0x80, v7
	ds_bpermute_b32 v6, v8, v6
	ds_bpermute_b32 v8, v8, v2
	v_add_u32_e32 v4, 32, v4
	s_waitcnt lgkmcnt(1)
	v_add_co_u32_e32 v6, vcc, v1, v6
	v_addc_co_u32_e32 v9, vcc, 0, v2, vcc
	v_add_co_u32_e32 v6, vcc, 0, v6
	s_waitcnt lgkmcnt(0)
	v_addc_co_u32_e32 v8, vcc, v9, v8, vcc
	v_cmp_lt_u32_e32 vcc, v4, v5
	v_cndmask_b32_e32 v2, v2, v8, vcc
	v_cndmask_b32_e32 v1, v1, v6, vcc
	v_cmp_eq_u32_e32 vcc, 0, v3
	s_and_saveexec_b64 s[0:1], vcc
; %bb.699:
	v_lshrrev_b32_e32 v4, 3, v0
	v_and_b32_e32 v4, 8, v4
	ds_write_b64 v4, v[1:2] offset:128
; %bb.700:
	s_or_b64 exec, exec, s[0:1]
	v_cmp_gt_u32_e32 vcc, 2, v0
	s_waitcnt lgkmcnt(0)
	s_barrier
	s_and_saveexec_b64 s[0:1], vcc
	s_cbranch_execz .LBB248_702
; %bb.701:
	v_lshlrev_b32_e32 v1, 3, v3
	ds_read_b64 v[1:2], v1 offset:128
	v_or_b32_e32 v4, 4, v7
	s_add_i32 s2, s2, 63
	v_and_b32_e32 v3, 1, v3
	s_lshr_b32 s2, s2, 6
	s_waitcnt lgkmcnt(0)
	ds_bpermute_b32 v5, v4, v2
	ds_bpermute_b32 v4, v4, v1
	v_add_u32_e32 v3, 1, v3
	v_cmp_gt_u32_e32 vcc, s2, v3
	s_waitcnt lgkmcnt(1)
	v_cndmask_b32_e32 v3, 0, v5, vcc
	s_waitcnt lgkmcnt(0)
	v_cndmask_b32_e32 v4, 0, v4, vcc
	v_add_co_u32_e32 v1, vcc, v4, v1
	v_addc_co_u32_e32 v2, vcc, v3, v2, vcc
.LBB248_702:
	s_or_b64 exec, exec, s[0:1]
.LBB248_703:
	v_mov_b32_e32 v3, s6
	v_cmp_eq_u32_e64 s[2:3], 0, v0
	v_mov_b32_e32 v4, s7
	s_branch .LBB248_731
.LBB248_704:
	s_cmp_eq_u32 s26, 1
                                        ; implicit-def: $vgpr1_vgpr2
                                        ; implicit-def: $vgpr3_vgpr4
	s_cbranch_scc0 .LBB248_731
; %bb.705:
	s_mov_b32 s1, 0
	s_lshl_b32 s0, s6, 7
	s_mov_b32 s7, s1
	s_lshr_b64 s[2:3], s[20:21], 7
	s_cmp_lg_u64 s[2:3], s[6:7]
	v_mbcnt_lo_u32_b32 v3, -1, 0
	s_cbranch_scc0 .LBB248_711
; %bb.706:
	s_lshl_b64 s[2:3], s[0:1], 2
	s_add_u32 s2, s18, s2
	s_addc_u32 s3, s19, s3
	v_lshlrev_b32_e32 v1, 2, v0
	global_load_dword v1, v1, s[2:3]
	v_mov_b32_e32 v2, 0
	v_mbcnt_hi_u32_b32 v4, -1, v3
	v_lshlrev_b32_e32 v5, 2, v4
	v_mov_b32_dpp v2, v2 quad_perm:[1,0,3,2] row_mask:0xf bank_mask:0xf bound_ctrl:1
	v_or_b32_e32 v6, 0xfc, v5
	s_waitcnt vmcnt(0)
	v_cmp_neq_f32_e32 vcc, 0, v1
	v_cndmask_b32_e64 v1, 0, 1, vcc
	s_nop 1
	v_mov_b32_dpp v7, v1 quad_perm:[1,0,3,2] row_mask:0xf bank_mask:0xf bound_ctrl:1
	v_add_co_u32_e32 v1, vcc, v7, v1
	v_addc_co_u32_e64 v7, s[2:3], 0, 0, vcc
	v_add_co_u32_e32 v8, vcc, 0, v1
	v_addc_co_u32_e32 v2, vcc, v2, v7, vcc
	v_mov_b32_dpp v1, v1 quad_perm:[2,3,0,1] row_mask:0xf bank_mask:0xf bound_ctrl:1
	v_add_co_u32_e32 v1, vcc, v8, v1
	v_mov_b32_dpp v7, v2 quad_perm:[2,3,0,1] row_mask:0xf bank_mask:0xf bound_ctrl:1
	v_addc_co_u32_e32 v2, vcc, 0, v2, vcc
	v_add_co_u32_e32 v8, vcc, 0, v1
	v_addc_co_u32_e32 v2, vcc, v2, v7, vcc
	v_mov_b32_dpp v1, v1 row_ror:4 row_mask:0xf bank_mask:0xf bound_ctrl:1
	v_add_co_u32_e32 v1, vcc, v8, v1
	v_mov_b32_dpp v7, v2 row_ror:4 row_mask:0xf bank_mask:0xf bound_ctrl:1
	v_addc_co_u32_e32 v2, vcc, 0, v2, vcc
	v_add_co_u32_e32 v8, vcc, 0, v1
	v_addc_co_u32_e32 v2, vcc, v2, v7, vcc
	v_mov_b32_dpp v1, v1 row_ror:8 row_mask:0xf bank_mask:0xf bound_ctrl:1
	v_add_co_u32_e32 v1, vcc, v8, v1
	v_mov_b32_dpp v7, v2 row_ror:8 row_mask:0xf bank_mask:0xf bound_ctrl:1
	v_addc_co_u32_e32 v2, vcc, 0, v2, vcc
	v_add_co_u32_e32 v8, vcc, 0, v1
	v_addc_co_u32_e32 v2, vcc, v2, v7, vcc
	v_mov_b32_dpp v1, v1 row_bcast:15 row_mask:0xf bank_mask:0xf bound_ctrl:1
	v_add_co_u32_e32 v1, vcc, v8, v1
	v_mov_b32_dpp v7, v2 row_bcast:15 row_mask:0xf bank_mask:0xf bound_ctrl:1
	v_addc_co_u32_e32 v2, vcc, 0, v2, vcc
	v_add_co_u32_e32 v8, vcc, 0, v1
	v_addc_co_u32_e32 v2, vcc, v2, v7, vcc
	v_mov_b32_dpp v1, v1 row_bcast:31 row_mask:0xf bank_mask:0xf bound_ctrl:1
	v_add_co_u32_e32 v1, vcc, v8, v1
	v_addc_co_u32_e32 v7, vcc, 0, v2, vcc
	ds_bpermute_b32 v1, v6, v1
	s_nop 0
	v_add_u32_dpp v2, v2, v7 row_bcast:31 row_mask:0xf bank_mask:0xf bound_ctrl:1
	ds_bpermute_b32 v2, v6, v2
	v_cmp_eq_u32_e32 vcc, 0, v4
	s_and_saveexec_b64 s[2:3], vcc
	s_cbranch_execz .LBB248_708
; %bb.707:
	v_lshrrev_b32_e32 v6, 3, v0
	v_and_b32_e32 v6, 8, v6
	s_waitcnt lgkmcnt(0)
	ds_write_b64 v6, v[1:2] offset:32
.LBB248_708:
	s_or_b64 exec, exec, s[2:3]
	v_cmp_gt_u32_e32 vcc, 64, v0
	s_waitcnt lgkmcnt(0)
	s_barrier
	s_and_saveexec_b64 s[2:3], vcc
	s_cbranch_execz .LBB248_710
; %bb.709:
	v_and_b32_e32 v1, 1, v4
	v_lshlrev_b32_e32 v1, 3, v1
	ds_read_b64 v[1:2], v1 offset:32
	v_or_b32_e32 v4, 4, v5
	s_waitcnt lgkmcnt(0)
	ds_bpermute_b32 v5, v4, v1
	ds_bpermute_b32 v4, v4, v2
	s_waitcnt lgkmcnt(1)
	v_add_co_u32_e32 v1, vcc, v1, v5
	v_addc_co_u32_e32 v2, vcc, 0, v2, vcc
	v_add_co_u32_e32 v1, vcc, 0, v1
	s_waitcnt lgkmcnt(0)
	v_addc_co_u32_e32 v2, vcc, v2, v4, vcc
.LBB248_710:
	s_or_b64 exec, exec, s[2:3]
	s_mov_b64 s[2:3], 0
	s_branch .LBB248_712
.LBB248_711:
	s_mov_b64 s[2:3], -1
                                        ; implicit-def: $vgpr1_vgpr2
.LBB248_712:
	s_and_b64 vcc, exec, s[2:3]
	s_cbranch_vccz .LBB248_730
; %bb.713:
	s_sub_i32 s8, s20, s0
	v_cmp_gt_u32_e32 vcc, s8, v0
                                        ; implicit-def: $vgpr1_vgpr2
	s_and_saveexec_b64 s[2:3], vcc
	s_cbranch_execz .LBB248_715
; %bb.714:
	s_lshl_b64 s[0:1], s[0:1], 2
	s_add_u32 s0, s18, s0
	s_addc_u32 s1, s19, s1
	v_lshlrev_b32_e32 v1, 2, v0
	global_load_dword v1, v1, s[0:1]
	s_mov_b32 s0, 0
	v_mov_b32_e32 v2, s0
	s_waitcnt vmcnt(0)
	v_cmp_neq_f32_e32 vcc, 0, v1
	v_cndmask_b32_e64 v1, 0, 1, vcc
.LBB248_715:
	s_or_b64 exec, exec, s[2:3]
	v_mbcnt_hi_u32_b32 v3, -1, v3
	v_and_b32_e32 v4, 63, v3
	v_cmp_ne_u32_e32 vcc, 63, v4
	v_addc_co_u32_e32 v6, vcc, 0, v3, vcc
	v_lshlrev_b32_e32 v6, 2, v6
	ds_bpermute_b32 v8, v6, v1
	ds_bpermute_b32 v7, v6, v2
	s_min_u32 s2, s8, 0x80
	v_and_b32_e32 v5, 64, v0
	v_sub_u32_e64 v5, s2, v5 clamp
	v_add_u32_e32 v6, 1, v4
	v_cmp_lt_u32_e32 vcc, v6, v5
	v_mov_b32_e32 v6, v1
	s_and_saveexec_b64 s[0:1], vcc
	s_cbranch_execz .LBB248_717
; %bb.716:
	s_waitcnt lgkmcnt(1)
	v_add_co_u32_e32 v6, vcc, v1, v8
	v_addc_co_u32_e32 v2, vcc, 0, v2, vcc
	v_add_co_u32_e32 v1, vcc, 0, v6
	s_waitcnt lgkmcnt(0)
	v_addc_co_u32_e32 v2, vcc, v7, v2, vcc
.LBB248_717:
	s_or_b64 exec, exec, s[0:1]
	v_cmp_gt_u32_e32 vcc, 62, v4
	s_waitcnt lgkmcnt(0)
	v_cndmask_b32_e64 v7, 0, 2, vcc
	v_add_lshl_u32 v7, v7, v3, 2
	ds_bpermute_b32 v8, v7, v6
	ds_bpermute_b32 v7, v7, v2
	v_add_u32_e32 v9, 2, v4
	v_cmp_lt_u32_e32 vcc, v9, v5
	s_and_saveexec_b64 s[0:1], vcc
	s_cbranch_execz .LBB248_719
; %bb.718:
	s_waitcnt lgkmcnt(1)
	v_add_co_u32_e32 v6, vcc, v1, v8
	v_addc_co_u32_e32 v2, vcc, 0, v2, vcc
	v_add_co_u32_e32 v1, vcc, 0, v6
	s_waitcnt lgkmcnt(0)
	v_addc_co_u32_e32 v2, vcc, v7, v2, vcc
.LBB248_719:
	s_or_b64 exec, exec, s[0:1]
	v_cmp_gt_u32_e32 vcc, 60, v4
	s_waitcnt lgkmcnt(0)
	v_cndmask_b32_e64 v7, 0, 4, vcc
	v_add_lshl_u32 v7, v7, v3, 2
	ds_bpermute_b32 v8, v7, v6
	ds_bpermute_b32 v7, v7, v2
	v_add_u32_e32 v9, 4, v4
	v_cmp_lt_u32_e32 vcc, v9, v5
	;; [unrolled: 19-line block ×4, first 2 shown]
	s_and_saveexec_b64 s[0:1], vcc
	s_cbranch_execz .LBB248_725
; %bb.724:
	s_waitcnt lgkmcnt(1)
	v_add_co_u32_e32 v6, vcc, v1, v8
	v_addc_co_u32_e32 v2, vcc, 0, v2, vcc
	v_add_co_u32_e32 v1, vcc, 0, v6
	s_waitcnt lgkmcnt(0)
	v_addc_co_u32_e32 v2, vcc, v7, v2, vcc
.LBB248_725:
	s_or_b64 exec, exec, s[0:1]
	s_waitcnt lgkmcnt(0)
	v_lshlrev_b32_e32 v7, 2, v3
	v_or_b32_e32 v8, 0x80, v7
	ds_bpermute_b32 v6, v8, v6
	ds_bpermute_b32 v8, v8, v2
	v_add_u32_e32 v4, 32, v4
	s_waitcnt lgkmcnt(1)
	v_add_co_u32_e32 v6, vcc, v1, v6
	v_addc_co_u32_e32 v9, vcc, 0, v2, vcc
	v_add_co_u32_e32 v6, vcc, 0, v6
	s_waitcnt lgkmcnt(0)
	v_addc_co_u32_e32 v8, vcc, v9, v8, vcc
	v_cmp_lt_u32_e32 vcc, v4, v5
	v_cndmask_b32_e32 v2, v2, v8, vcc
	v_cndmask_b32_e32 v1, v1, v6, vcc
	v_cmp_eq_u32_e32 vcc, 0, v3
	s_and_saveexec_b64 s[0:1], vcc
; %bb.726:
	v_lshrrev_b32_e32 v4, 3, v0
	v_and_b32_e32 v4, 8, v4
	ds_write_b64 v4, v[1:2] offset:128
; %bb.727:
	s_or_b64 exec, exec, s[0:1]
	v_cmp_gt_u32_e32 vcc, 2, v0
	s_waitcnt lgkmcnt(0)
	s_barrier
	s_and_saveexec_b64 s[0:1], vcc
	s_cbranch_execz .LBB248_729
; %bb.728:
	v_lshlrev_b32_e32 v1, 3, v3
	ds_read_b64 v[1:2], v1 offset:128
	v_or_b32_e32 v4, 4, v7
	s_add_i32 s2, s2, 63
	v_and_b32_e32 v3, 1, v3
	s_lshr_b32 s2, s2, 6
	s_waitcnt lgkmcnt(0)
	ds_bpermute_b32 v5, v4, v2
	ds_bpermute_b32 v4, v4, v1
	v_add_u32_e32 v3, 1, v3
	v_cmp_gt_u32_e32 vcc, s2, v3
	s_waitcnt lgkmcnt(1)
	v_cndmask_b32_e32 v3, 0, v5, vcc
	s_waitcnt lgkmcnt(0)
	v_cndmask_b32_e32 v4, 0, v4, vcc
	v_add_co_u32_e32 v1, vcc, v4, v1
	v_addc_co_u32_e32 v2, vcc, v3, v2, vcc
.LBB248_729:
	s_or_b64 exec, exec, s[0:1]
.LBB248_730:
	v_mov_b32_e32 v3, s6
	v_cmp_eq_u32_e64 s[2:3], 0, v0
	v_mov_b32_e32 v4, s7
.LBB248_731:
	s_and_saveexec_b64 s[0:1], s[2:3]
	s_cbranch_execz .LBB248_733
; %bb.732:
	v_lshlrev_b64 v[3:4], 3, v[3:4]
	s_load_dwordx2 s[0:1], s[4:5], 0x28
	v_mov_b32_e32 v0, s23
	v_add_co_u32_e32 v3, vcc, s22, v3
	v_addc_co_u32_e32 v4, vcc, v0, v4, vcc
	s_cmp_lg_u64 s[20:21], 0
	s_cselect_b64 vcc, -1, 0
	v_cndmask_b32_e32 v0, 0, v1, vcc
	v_cndmask_b32_e32 v2, 0, v2, vcc
	s_waitcnt lgkmcnt(0)
	v_mov_b32_e32 v1, s1
	v_add_co_u32_e32 v0, vcc, s0, v0
	v_addc_co_u32_e32 v1, vcc, v2, v1, vcc
	global_store_dwordx2 v[3:4], v[0:1], off
.LBB248_733:
	s_endpgm
	.section	.rodata,"a",@progbits
	.p2align	6, 0x0
	.amdhsa_kernel _ZN7rocprim17ROCPRIM_400000_NS6detail17trampoline_kernelINS0_14default_configENS1_22reduce_config_selectorIbEEZNS1_11reduce_implILb1ES3_N6hipcub16HIPCUB_304000_NS22TransformInputIteratorIb7NonZeroIfEPflEEPllNS8_6detail34convert_binary_result_type_wrapperINS8_3SumESD_lEEEE10hipError_tPvRmT1_T2_T3_mT4_P12ihipStream_tbEUlT_E1_NS1_11comp_targetILNS1_3genE2ELNS1_11target_archE906ELNS1_3gpuE6ELNS1_3repE0EEENS1_30default_config_static_selectorELNS0_4arch9wavefront6targetE1EEEvSM_
		.amdhsa_group_segment_fixed_size 144
		.amdhsa_private_segment_fixed_size 20
		.amdhsa_kernarg_size 56
		.amdhsa_user_sgpr_count 6
		.amdhsa_user_sgpr_private_segment_buffer 1
		.amdhsa_user_sgpr_dispatch_ptr 0
		.amdhsa_user_sgpr_queue_ptr 0
		.amdhsa_user_sgpr_kernarg_segment_ptr 1
		.amdhsa_user_sgpr_dispatch_id 0
		.amdhsa_user_sgpr_flat_scratch_init 0
		.amdhsa_user_sgpr_private_segment_size 0
		.amdhsa_uses_dynamic_stack 0
		.amdhsa_system_sgpr_private_segment_wavefront_offset 1
		.amdhsa_system_sgpr_workgroup_id_x 1
		.amdhsa_system_sgpr_workgroup_id_y 0
		.amdhsa_system_sgpr_workgroup_id_z 0
		.amdhsa_system_sgpr_workgroup_info 0
		.amdhsa_system_vgpr_workitem_id 0
		.amdhsa_next_free_vgpr 256
		.amdhsa_next_free_sgpr 40
		.amdhsa_reserve_vcc 1
		.amdhsa_reserve_flat_scratch 0
		.amdhsa_float_round_mode_32 0
		.amdhsa_float_round_mode_16_64 0
		.amdhsa_float_denorm_mode_32 3
		.amdhsa_float_denorm_mode_16_64 3
		.amdhsa_dx10_clamp 1
		.amdhsa_ieee_mode 1
		.amdhsa_fp16_overflow 0
		.amdhsa_exception_fp_ieee_invalid_op 0
		.amdhsa_exception_fp_denorm_src 0
		.amdhsa_exception_fp_ieee_div_zero 0
		.amdhsa_exception_fp_ieee_overflow 0
		.amdhsa_exception_fp_ieee_underflow 0
		.amdhsa_exception_fp_ieee_inexact 0
		.amdhsa_exception_int_div_zero 0
	.end_amdhsa_kernel
	.section	.text._ZN7rocprim17ROCPRIM_400000_NS6detail17trampoline_kernelINS0_14default_configENS1_22reduce_config_selectorIbEEZNS1_11reduce_implILb1ES3_N6hipcub16HIPCUB_304000_NS22TransformInputIteratorIb7NonZeroIfEPflEEPllNS8_6detail34convert_binary_result_type_wrapperINS8_3SumESD_lEEEE10hipError_tPvRmT1_T2_T3_mT4_P12ihipStream_tbEUlT_E1_NS1_11comp_targetILNS1_3genE2ELNS1_11target_archE906ELNS1_3gpuE6ELNS1_3repE0EEENS1_30default_config_static_selectorELNS0_4arch9wavefront6targetE1EEEvSM_,"axG",@progbits,_ZN7rocprim17ROCPRIM_400000_NS6detail17trampoline_kernelINS0_14default_configENS1_22reduce_config_selectorIbEEZNS1_11reduce_implILb1ES3_N6hipcub16HIPCUB_304000_NS22TransformInputIteratorIb7NonZeroIfEPflEEPllNS8_6detail34convert_binary_result_type_wrapperINS8_3SumESD_lEEEE10hipError_tPvRmT1_T2_T3_mT4_P12ihipStream_tbEUlT_E1_NS1_11comp_targetILNS1_3genE2ELNS1_11target_archE906ELNS1_3gpuE6ELNS1_3repE0EEENS1_30default_config_static_selectorELNS0_4arch9wavefront6targetE1EEEvSM_,comdat
.Lfunc_end248:
	.size	_ZN7rocprim17ROCPRIM_400000_NS6detail17trampoline_kernelINS0_14default_configENS1_22reduce_config_selectorIbEEZNS1_11reduce_implILb1ES3_N6hipcub16HIPCUB_304000_NS22TransformInputIteratorIb7NonZeroIfEPflEEPllNS8_6detail34convert_binary_result_type_wrapperINS8_3SumESD_lEEEE10hipError_tPvRmT1_T2_T3_mT4_P12ihipStream_tbEUlT_E1_NS1_11comp_targetILNS1_3genE2ELNS1_11target_archE906ELNS1_3gpuE6ELNS1_3repE0EEENS1_30default_config_static_selectorELNS0_4arch9wavefront6targetE1EEEvSM_, .Lfunc_end248-_ZN7rocprim17ROCPRIM_400000_NS6detail17trampoline_kernelINS0_14default_configENS1_22reduce_config_selectorIbEEZNS1_11reduce_implILb1ES3_N6hipcub16HIPCUB_304000_NS22TransformInputIteratorIb7NonZeroIfEPflEEPllNS8_6detail34convert_binary_result_type_wrapperINS8_3SumESD_lEEEE10hipError_tPvRmT1_T2_T3_mT4_P12ihipStream_tbEUlT_E1_NS1_11comp_targetILNS1_3genE2ELNS1_11target_archE906ELNS1_3gpuE6ELNS1_3repE0EEENS1_30default_config_static_selectorELNS0_4arch9wavefront6targetE1EEEvSM_
                                        ; -- End function
	.set _ZN7rocprim17ROCPRIM_400000_NS6detail17trampoline_kernelINS0_14default_configENS1_22reduce_config_selectorIbEEZNS1_11reduce_implILb1ES3_N6hipcub16HIPCUB_304000_NS22TransformInputIteratorIb7NonZeroIfEPflEEPllNS8_6detail34convert_binary_result_type_wrapperINS8_3SumESD_lEEEE10hipError_tPvRmT1_T2_T3_mT4_P12ihipStream_tbEUlT_E1_NS1_11comp_targetILNS1_3genE2ELNS1_11target_archE906ELNS1_3gpuE6ELNS1_3repE0EEENS1_30default_config_static_selectorELNS0_4arch9wavefront6targetE1EEEvSM_.num_vgpr, 256
	.set _ZN7rocprim17ROCPRIM_400000_NS6detail17trampoline_kernelINS0_14default_configENS1_22reduce_config_selectorIbEEZNS1_11reduce_implILb1ES3_N6hipcub16HIPCUB_304000_NS22TransformInputIteratorIb7NonZeroIfEPflEEPllNS8_6detail34convert_binary_result_type_wrapperINS8_3SumESD_lEEEE10hipError_tPvRmT1_T2_T3_mT4_P12ihipStream_tbEUlT_E1_NS1_11comp_targetILNS1_3genE2ELNS1_11target_archE906ELNS1_3gpuE6ELNS1_3repE0EEENS1_30default_config_static_selectorELNS0_4arch9wavefront6targetE1EEEvSM_.num_agpr, 0
	.set _ZN7rocprim17ROCPRIM_400000_NS6detail17trampoline_kernelINS0_14default_configENS1_22reduce_config_selectorIbEEZNS1_11reduce_implILb1ES3_N6hipcub16HIPCUB_304000_NS22TransformInputIteratorIb7NonZeroIfEPflEEPllNS8_6detail34convert_binary_result_type_wrapperINS8_3SumESD_lEEEE10hipError_tPvRmT1_T2_T3_mT4_P12ihipStream_tbEUlT_E1_NS1_11comp_targetILNS1_3genE2ELNS1_11target_archE906ELNS1_3gpuE6ELNS1_3repE0EEENS1_30default_config_static_selectorELNS0_4arch9wavefront6targetE1EEEvSM_.numbered_sgpr, 40
	.set _ZN7rocprim17ROCPRIM_400000_NS6detail17trampoline_kernelINS0_14default_configENS1_22reduce_config_selectorIbEEZNS1_11reduce_implILb1ES3_N6hipcub16HIPCUB_304000_NS22TransformInputIteratorIb7NonZeroIfEPflEEPllNS8_6detail34convert_binary_result_type_wrapperINS8_3SumESD_lEEEE10hipError_tPvRmT1_T2_T3_mT4_P12ihipStream_tbEUlT_E1_NS1_11comp_targetILNS1_3genE2ELNS1_11target_archE906ELNS1_3gpuE6ELNS1_3repE0EEENS1_30default_config_static_selectorELNS0_4arch9wavefront6targetE1EEEvSM_.num_named_barrier, 0
	.set _ZN7rocprim17ROCPRIM_400000_NS6detail17trampoline_kernelINS0_14default_configENS1_22reduce_config_selectorIbEEZNS1_11reduce_implILb1ES3_N6hipcub16HIPCUB_304000_NS22TransformInputIteratorIb7NonZeroIfEPflEEPllNS8_6detail34convert_binary_result_type_wrapperINS8_3SumESD_lEEEE10hipError_tPvRmT1_T2_T3_mT4_P12ihipStream_tbEUlT_E1_NS1_11comp_targetILNS1_3genE2ELNS1_11target_archE906ELNS1_3gpuE6ELNS1_3repE0EEENS1_30default_config_static_selectorELNS0_4arch9wavefront6targetE1EEEvSM_.private_seg_size, 20
	.set _ZN7rocprim17ROCPRIM_400000_NS6detail17trampoline_kernelINS0_14default_configENS1_22reduce_config_selectorIbEEZNS1_11reduce_implILb1ES3_N6hipcub16HIPCUB_304000_NS22TransformInputIteratorIb7NonZeroIfEPflEEPllNS8_6detail34convert_binary_result_type_wrapperINS8_3SumESD_lEEEE10hipError_tPvRmT1_T2_T3_mT4_P12ihipStream_tbEUlT_E1_NS1_11comp_targetILNS1_3genE2ELNS1_11target_archE906ELNS1_3gpuE6ELNS1_3repE0EEENS1_30default_config_static_selectorELNS0_4arch9wavefront6targetE1EEEvSM_.uses_vcc, 1
	.set _ZN7rocprim17ROCPRIM_400000_NS6detail17trampoline_kernelINS0_14default_configENS1_22reduce_config_selectorIbEEZNS1_11reduce_implILb1ES3_N6hipcub16HIPCUB_304000_NS22TransformInputIteratorIb7NonZeroIfEPflEEPllNS8_6detail34convert_binary_result_type_wrapperINS8_3SumESD_lEEEE10hipError_tPvRmT1_T2_T3_mT4_P12ihipStream_tbEUlT_E1_NS1_11comp_targetILNS1_3genE2ELNS1_11target_archE906ELNS1_3gpuE6ELNS1_3repE0EEENS1_30default_config_static_selectorELNS0_4arch9wavefront6targetE1EEEvSM_.uses_flat_scratch, 0
	.set _ZN7rocprim17ROCPRIM_400000_NS6detail17trampoline_kernelINS0_14default_configENS1_22reduce_config_selectorIbEEZNS1_11reduce_implILb1ES3_N6hipcub16HIPCUB_304000_NS22TransformInputIteratorIb7NonZeroIfEPflEEPllNS8_6detail34convert_binary_result_type_wrapperINS8_3SumESD_lEEEE10hipError_tPvRmT1_T2_T3_mT4_P12ihipStream_tbEUlT_E1_NS1_11comp_targetILNS1_3genE2ELNS1_11target_archE906ELNS1_3gpuE6ELNS1_3repE0EEENS1_30default_config_static_selectorELNS0_4arch9wavefront6targetE1EEEvSM_.has_dyn_sized_stack, 0
	.set _ZN7rocprim17ROCPRIM_400000_NS6detail17trampoline_kernelINS0_14default_configENS1_22reduce_config_selectorIbEEZNS1_11reduce_implILb1ES3_N6hipcub16HIPCUB_304000_NS22TransformInputIteratorIb7NonZeroIfEPflEEPllNS8_6detail34convert_binary_result_type_wrapperINS8_3SumESD_lEEEE10hipError_tPvRmT1_T2_T3_mT4_P12ihipStream_tbEUlT_E1_NS1_11comp_targetILNS1_3genE2ELNS1_11target_archE906ELNS1_3gpuE6ELNS1_3repE0EEENS1_30default_config_static_selectorELNS0_4arch9wavefront6targetE1EEEvSM_.has_recursion, 0
	.set _ZN7rocprim17ROCPRIM_400000_NS6detail17trampoline_kernelINS0_14default_configENS1_22reduce_config_selectorIbEEZNS1_11reduce_implILb1ES3_N6hipcub16HIPCUB_304000_NS22TransformInputIteratorIb7NonZeroIfEPflEEPllNS8_6detail34convert_binary_result_type_wrapperINS8_3SumESD_lEEEE10hipError_tPvRmT1_T2_T3_mT4_P12ihipStream_tbEUlT_E1_NS1_11comp_targetILNS1_3genE2ELNS1_11target_archE906ELNS1_3gpuE6ELNS1_3repE0EEENS1_30default_config_static_selectorELNS0_4arch9wavefront6targetE1EEEvSM_.has_indirect_call, 0
	.section	.AMDGPU.csdata,"",@progbits
; Kernel info:
; codeLenInByte = 37192
; TotalNumSgprs: 44
; NumVgprs: 256
; ScratchSize: 20
; MemoryBound: 0
; FloatMode: 240
; IeeeMode: 1
; LDSByteSize: 144 bytes/workgroup (compile time only)
; SGPRBlocks: 5
; VGPRBlocks: 63
; NumSGPRsForWavesPerEU: 44
; NumVGPRsForWavesPerEU: 256
; Occupancy: 1
; WaveLimiterHint : 1
; COMPUTE_PGM_RSRC2:SCRATCH_EN: 1
; COMPUTE_PGM_RSRC2:USER_SGPR: 6
; COMPUTE_PGM_RSRC2:TRAP_HANDLER: 0
; COMPUTE_PGM_RSRC2:TGID_X_EN: 1
; COMPUTE_PGM_RSRC2:TGID_Y_EN: 0
; COMPUTE_PGM_RSRC2:TGID_Z_EN: 0
; COMPUTE_PGM_RSRC2:TIDIG_COMP_CNT: 0
	.section	.text._ZN7rocprim17ROCPRIM_400000_NS6detail17trampoline_kernelINS0_14default_configENS1_22reduce_config_selectorIbEEZNS1_11reduce_implILb1ES3_N6hipcub16HIPCUB_304000_NS22TransformInputIteratorIb7NonZeroIfEPflEEPllNS8_6detail34convert_binary_result_type_wrapperINS8_3SumESD_lEEEE10hipError_tPvRmT1_T2_T3_mT4_P12ihipStream_tbEUlT_E1_NS1_11comp_targetILNS1_3genE10ELNS1_11target_archE1201ELNS1_3gpuE5ELNS1_3repE0EEENS1_30default_config_static_selectorELNS0_4arch9wavefront6targetE1EEEvSM_,"axG",@progbits,_ZN7rocprim17ROCPRIM_400000_NS6detail17trampoline_kernelINS0_14default_configENS1_22reduce_config_selectorIbEEZNS1_11reduce_implILb1ES3_N6hipcub16HIPCUB_304000_NS22TransformInputIteratorIb7NonZeroIfEPflEEPllNS8_6detail34convert_binary_result_type_wrapperINS8_3SumESD_lEEEE10hipError_tPvRmT1_T2_T3_mT4_P12ihipStream_tbEUlT_E1_NS1_11comp_targetILNS1_3genE10ELNS1_11target_archE1201ELNS1_3gpuE5ELNS1_3repE0EEENS1_30default_config_static_selectorELNS0_4arch9wavefront6targetE1EEEvSM_,comdat
	.protected	_ZN7rocprim17ROCPRIM_400000_NS6detail17trampoline_kernelINS0_14default_configENS1_22reduce_config_selectorIbEEZNS1_11reduce_implILb1ES3_N6hipcub16HIPCUB_304000_NS22TransformInputIteratorIb7NonZeroIfEPflEEPllNS8_6detail34convert_binary_result_type_wrapperINS8_3SumESD_lEEEE10hipError_tPvRmT1_T2_T3_mT4_P12ihipStream_tbEUlT_E1_NS1_11comp_targetILNS1_3genE10ELNS1_11target_archE1201ELNS1_3gpuE5ELNS1_3repE0EEENS1_30default_config_static_selectorELNS0_4arch9wavefront6targetE1EEEvSM_ ; -- Begin function _ZN7rocprim17ROCPRIM_400000_NS6detail17trampoline_kernelINS0_14default_configENS1_22reduce_config_selectorIbEEZNS1_11reduce_implILb1ES3_N6hipcub16HIPCUB_304000_NS22TransformInputIteratorIb7NonZeroIfEPflEEPllNS8_6detail34convert_binary_result_type_wrapperINS8_3SumESD_lEEEE10hipError_tPvRmT1_T2_T3_mT4_P12ihipStream_tbEUlT_E1_NS1_11comp_targetILNS1_3genE10ELNS1_11target_archE1201ELNS1_3gpuE5ELNS1_3repE0EEENS1_30default_config_static_selectorELNS0_4arch9wavefront6targetE1EEEvSM_
	.globl	_ZN7rocprim17ROCPRIM_400000_NS6detail17trampoline_kernelINS0_14default_configENS1_22reduce_config_selectorIbEEZNS1_11reduce_implILb1ES3_N6hipcub16HIPCUB_304000_NS22TransformInputIteratorIb7NonZeroIfEPflEEPllNS8_6detail34convert_binary_result_type_wrapperINS8_3SumESD_lEEEE10hipError_tPvRmT1_T2_T3_mT4_P12ihipStream_tbEUlT_E1_NS1_11comp_targetILNS1_3genE10ELNS1_11target_archE1201ELNS1_3gpuE5ELNS1_3repE0EEENS1_30default_config_static_selectorELNS0_4arch9wavefront6targetE1EEEvSM_
	.p2align	8
	.type	_ZN7rocprim17ROCPRIM_400000_NS6detail17trampoline_kernelINS0_14default_configENS1_22reduce_config_selectorIbEEZNS1_11reduce_implILb1ES3_N6hipcub16HIPCUB_304000_NS22TransformInputIteratorIb7NonZeroIfEPflEEPllNS8_6detail34convert_binary_result_type_wrapperINS8_3SumESD_lEEEE10hipError_tPvRmT1_T2_T3_mT4_P12ihipStream_tbEUlT_E1_NS1_11comp_targetILNS1_3genE10ELNS1_11target_archE1201ELNS1_3gpuE5ELNS1_3repE0EEENS1_30default_config_static_selectorELNS0_4arch9wavefront6targetE1EEEvSM_,@function
_ZN7rocprim17ROCPRIM_400000_NS6detail17trampoline_kernelINS0_14default_configENS1_22reduce_config_selectorIbEEZNS1_11reduce_implILb1ES3_N6hipcub16HIPCUB_304000_NS22TransformInputIteratorIb7NonZeroIfEPflEEPllNS8_6detail34convert_binary_result_type_wrapperINS8_3SumESD_lEEEE10hipError_tPvRmT1_T2_T3_mT4_P12ihipStream_tbEUlT_E1_NS1_11comp_targetILNS1_3genE10ELNS1_11target_archE1201ELNS1_3gpuE5ELNS1_3repE0EEENS1_30default_config_static_selectorELNS0_4arch9wavefront6targetE1EEEvSM_: ; @_ZN7rocprim17ROCPRIM_400000_NS6detail17trampoline_kernelINS0_14default_configENS1_22reduce_config_selectorIbEEZNS1_11reduce_implILb1ES3_N6hipcub16HIPCUB_304000_NS22TransformInputIteratorIb7NonZeroIfEPflEEPllNS8_6detail34convert_binary_result_type_wrapperINS8_3SumESD_lEEEE10hipError_tPvRmT1_T2_T3_mT4_P12ihipStream_tbEUlT_E1_NS1_11comp_targetILNS1_3genE10ELNS1_11target_archE1201ELNS1_3gpuE5ELNS1_3repE0EEENS1_30default_config_static_selectorELNS0_4arch9wavefront6targetE1EEEvSM_
; %bb.0:
	.section	.rodata,"a",@progbits
	.p2align	6, 0x0
	.amdhsa_kernel _ZN7rocprim17ROCPRIM_400000_NS6detail17trampoline_kernelINS0_14default_configENS1_22reduce_config_selectorIbEEZNS1_11reduce_implILb1ES3_N6hipcub16HIPCUB_304000_NS22TransformInputIteratorIb7NonZeroIfEPflEEPllNS8_6detail34convert_binary_result_type_wrapperINS8_3SumESD_lEEEE10hipError_tPvRmT1_T2_T3_mT4_P12ihipStream_tbEUlT_E1_NS1_11comp_targetILNS1_3genE10ELNS1_11target_archE1201ELNS1_3gpuE5ELNS1_3repE0EEENS1_30default_config_static_selectorELNS0_4arch9wavefront6targetE1EEEvSM_
		.amdhsa_group_segment_fixed_size 0
		.amdhsa_private_segment_fixed_size 0
		.amdhsa_kernarg_size 56
		.amdhsa_user_sgpr_count 6
		.amdhsa_user_sgpr_private_segment_buffer 1
		.amdhsa_user_sgpr_dispatch_ptr 0
		.amdhsa_user_sgpr_queue_ptr 0
		.amdhsa_user_sgpr_kernarg_segment_ptr 1
		.amdhsa_user_sgpr_dispatch_id 0
		.amdhsa_user_sgpr_flat_scratch_init 0
		.amdhsa_user_sgpr_private_segment_size 0
		.amdhsa_uses_dynamic_stack 0
		.amdhsa_system_sgpr_private_segment_wavefront_offset 0
		.amdhsa_system_sgpr_workgroup_id_x 1
		.amdhsa_system_sgpr_workgroup_id_y 0
		.amdhsa_system_sgpr_workgroup_id_z 0
		.amdhsa_system_sgpr_workgroup_info 0
		.amdhsa_system_vgpr_workitem_id 0
		.amdhsa_next_free_vgpr 1
		.amdhsa_next_free_sgpr 0
		.amdhsa_reserve_vcc 0
		.amdhsa_reserve_flat_scratch 0
		.amdhsa_float_round_mode_32 0
		.amdhsa_float_round_mode_16_64 0
		.amdhsa_float_denorm_mode_32 3
		.amdhsa_float_denorm_mode_16_64 3
		.amdhsa_dx10_clamp 1
		.amdhsa_ieee_mode 1
		.amdhsa_fp16_overflow 0
		.amdhsa_exception_fp_ieee_invalid_op 0
		.amdhsa_exception_fp_denorm_src 0
		.amdhsa_exception_fp_ieee_div_zero 0
		.amdhsa_exception_fp_ieee_overflow 0
		.amdhsa_exception_fp_ieee_underflow 0
		.amdhsa_exception_fp_ieee_inexact 0
		.amdhsa_exception_int_div_zero 0
	.end_amdhsa_kernel
	.section	.text._ZN7rocprim17ROCPRIM_400000_NS6detail17trampoline_kernelINS0_14default_configENS1_22reduce_config_selectorIbEEZNS1_11reduce_implILb1ES3_N6hipcub16HIPCUB_304000_NS22TransformInputIteratorIb7NonZeroIfEPflEEPllNS8_6detail34convert_binary_result_type_wrapperINS8_3SumESD_lEEEE10hipError_tPvRmT1_T2_T3_mT4_P12ihipStream_tbEUlT_E1_NS1_11comp_targetILNS1_3genE10ELNS1_11target_archE1201ELNS1_3gpuE5ELNS1_3repE0EEENS1_30default_config_static_selectorELNS0_4arch9wavefront6targetE1EEEvSM_,"axG",@progbits,_ZN7rocprim17ROCPRIM_400000_NS6detail17trampoline_kernelINS0_14default_configENS1_22reduce_config_selectorIbEEZNS1_11reduce_implILb1ES3_N6hipcub16HIPCUB_304000_NS22TransformInputIteratorIb7NonZeroIfEPflEEPllNS8_6detail34convert_binary_result_type_wrapperINS8_3SumESD_lEEEE10hipError_tPvRmT1_T2_T3_mT4_P12ihipStream_tbEUlT_E1_NS1_11comp_targetILNS1_3genE10ELNS1_11target_archE1201ELNS1_3gpuE5ELNS1_3repE0EEENS1_30default_config_static_selectorELNS0_4arch9wavefront6targetE1EEEvSM_,comdat
.Lfunc_end249:
	.size	_ZN7rocprim17ROCPRIM_400000_NS6detail17trampoline_kernelINS0_14default_configENS1_22reduce_config_selectorIbEEZNS1_11reduce_implILb1ES3_N6hipcub16HIPCUB_304000_NS22TransformInputIteratorIb7NonZeroIfEPflEEPllNS8_6detail34convert_binary_result_type_wrapperINS8_3SumESD_lEEEE10hipError_tPvRmT1_T2_T3_mT4_P12ihipStream_tbEUlT_E1_NS1_11comp_targetILNS1_3genE10ELNS1_11target_archE1201ELNS1_3gpuE5ELNS1_3repE0EEENS1_30default_config_static_selectorELNS0_4arch9wavefront6targetE1EEEvSM_, .Lfunc_end249-_ZN7rocprim17ROCPRIM_400000_NS6detail17trampoline_kernelINS0_14default_configENS1_22reduce_config_selectorIbEEZNS1_11reduce_implILb1ES3_N6hipcub16HIPCUB_304000_NS22TransformInputIteratorIb7NonZeroIfEPflEEPllNS8_6detail34convert_binary_result_type_wrapperINS8_3SumESD_lEEEE10hipError_tPvRmT1_T2_T3_mT4_P12ihipStream_tbEUlT_E1_NS1_11comp_targetILNS1_3genE10ELNS1_11target_archE1201ELNS1_3gpuE5ELNS1_3repE0EEENS1_30default_config_static_selectorELNS0_4arch9wavefront6targetE1EEEvSM_
                                        ; -- End function
	.set _ZN7rocprim17ROCPRIM_400000_NS6detail17trampoline_kernelINS0_14default_configENS1_22reduce_config_selectorIbEEZNS1_11reduce_implILb1ES3_N6hipcub16HIPCUB_304000_NS22TransformInputIteratorIb7NonZeroIfEPflEEPllNS8_6detail34convert_binary_result_type_wrapperINS8_3SumESD_lEEEE10hipError_tPvRmT1_T2_T3_mT4_P12ihipStream_tbEUlT_E1_NS1_11comp_targetILNS1_3genE10ELNS1_11target_archE1201ELNS1_3gpuE5ELNS1_3repE0EEENS1_30default_config_static_selectorELNS0_4arch9wavefront6targetE1EEEvSM_.num_vgpr, 0
	.set _ZN7rocprim17ROCPRIM_400000_NS6detail17trampoline_kernelINS0_14default_configENS1_22reduce_config_selectorIbEEZNS1_11reduce_implILb1ES3_N6hipcub16HIPCUB_304000_NS22TransformInputIteratorIb7NonZeroIfEPflEEPllNS8_6detail34convert_binary_result_type_wrapperINS8_3SumESD_lEEEE10hipError_tPvRmT1_T2_T3_mT4_P12ihipStream_tbEUlT_E1_NS1_11comp_targetILNS1_3genE10ELNS1_11target_archE1201ELNS1_3gpuE5ELNS1_3repE0EEENS1_30default_config_static_selectorELNS0_4arch9wavefront6targetE1EEEvSM_.num_agpr, 0
	.set _ZN7rocprim17ROCPRIM_400000_NS6detail17trampoline_kernelINS0_14default_configENS1_22reduce_config_selectorIbEEZNS1_11reduce_implILb1ES3_N6hipcub16HIPCUB_304000_NS22TransformInputIteratorIb7NonZeroIfEPflEEPllNS8_6detail34convert_binary_result_type_wrapperINS8_3SumESD_lEEEE10hipError_tPvRmT1_T2_T3_mT4_P12ihipStream_tbEUlT_E1_NS1_11comp_targetILNS1_3genE10ELNS1_11target_archE1201ELNS1_3gpuE5ELNS1_3repE0EEENS1_30default_config_static_selectorELNS0_4arch9wavefront6targetE1EEEvSM_.numbered_sgpr, 0
	.set _ZN7rocprim17ROCPRIM_400000_NS6detail17trampoline_kernelINS0_14default_configENS1_22reduce_config_selectorIbEEZNS1_11reduce_implILb1ES3_N6hipcub16HIPCUB_304000_NS22TransformInputIteratorIb7NonZeroIfEPflEEPllNS8_6detail34convert_binary_result_type_wrapperINS8_3SumESD_lEEEE10hipError_tPvRmT1_T2_T3_mT4_P12ihipStream_tbEUlT_E1_NS1_11comp_targetILNS1_3genE10ELNS1_11target_archE1201ELNS1_3gpuE5ELNS1_3repE0EEENS1_30default_config_static_selectorELNS0_4arch9wavefront6targetE1EEEvSM_.num_named_barrier, 0
	.set _ZN7rocprim17ROCPRIM_400000_NS6detail17trampoline_kernelINS0_14default_configENS1_22reduce_config_selectorIbEEZNS1_11reduce_implILb1ES3_N6hipcub16HIPCUB_304000_NS22TransformInputIteratorIb7NonZeroIfEPflEEPllNS8_6detail34convert_binary_result_type_wrapperINS8_3SumESD_lEEEE10hipError_tPvRmT1_T2_T3_mT4_P12ihipStream_tbEUlT_E1_NS1_11comp_targetILNS1_3genE10ELNS1_11target_archE1201ELNS1_3gpuE5ELNS1_3repE0EEENS1_30default_config_static_selectorELNS0_4arch9wavefront6targetE1EEEvSM_.private_seg_size, 0
	.set _ZN7rocprim17ROCPRIM_400000_NS6detail17trampoline_kernelINS0_14default_configENS1_22reduce_config_selectorIbEEZNS1_11reduce_implILb1ES3_N6hipcub16HIPCUB_304000_NS22TransformInputIteratorIb7NonZeroIfEPflEEPllNS8_6detail34convert_binary_result_type_wrapperINS8_3SumESD_lEEEE10hipError_tPvRmT1_T2_T3_mT4_P12ihipStream_tbEUlT_E1_NS1_11comp_targetILNS1_3genE10ELNS1_11target_archE1201ELNS1_3gpuE5ELNS1_3repE0EEENS1_30default_config_static_selectorELNS0_4arch9wavefront6targetE1EEEvSM_.uses_vcc, 0
	.set _ZN7rocprim17ROCPRIM_400000_NS6detail17trampoline_kernelINS0_14default_configENS1_22reduce_config_selectorIbEEZNS1_11reduce_implILb1ES3_N6hipcub16HIPCUB_304000_NS22TransformInputIteratorIb7NonZeroIfEPflEEPllNS8_6detail34convert_binary_result_type_wrapperINS8_3SumESD_lEEEE10hipError_tPvRmT1_T2_T3_mT4_P12ihipStream_tbEUlT_E1_NS1_11comp_targetILNS1_3genE10ELNS1_11target_archE1201ELNS1_3gpuE5ELNS1_3repE0EEENS1_30default_config_static_selectorELNS0_4arch9wavefront6targetE1EEEvSM_.uses_flat_scratch, 0
	.set _ZN7rocprim17ROCPRIM_400000_NS6detail17trampoline_kernelINS0_14default_configENS1_22reduce_config_selectorIbEEZNS1_11reduce_implILb1ES3_N6hipcub16HIPCUB_304000_NS22TransformInputIteratorIb7NonZeroIfEPflEEPllNS8_6detail34convert_binary_result_type_wrapperINS8_3SumESD_lEEEE10hipError_tPvRmT1_T2_T3_mT4_P12ihipStream_tbEUlT_E1_NS1_11comp_targetILNS1_3genE10ELNS1_11target_archE1201ELNS1_3gpuE5ELNS1_3repE0EEENS1_30default_config_static_selectorELNS0_4arch9wavefront6targetE1EEEvSM_.has_dyn_sized_stack, 0
	.set _ZN7rocprim17ROCPRIM_400000_NS6detail17trampoline_kernelINS0_14default_configENS1_22reduce_config_selectorIbEEZNS1_11reduce_implILb1ES3_N6hipcub16HIPCUB_304000_NS22TransformInputIteratorIb7NonZeroIfEPflEEPllNS8_6detail34convert_binary_result_type_wrapperINS8_3SumESD_lEEEE10hipError_tPvRmT1_T2_T3_mT4_P12ihipStream_tbEUlT_E1_NS1_11comp_targetILNS1_3genE10ELNS1_11target_archE1201ELNS1_3gpuE5ELNS1_3repE0EEENS1_30default_config_static_selectorELNS0_4arch9wavefront6targetE1EEEvSM_.has_recursion, 0
	.set _ZN7rocprim17ROCPRIM_400000_NS6detail17trampoline_kernelINS0_14default_configENS1_22reduce_config_selectorIbEEZNS1_11reduce_implILb1ES3_N6hipcub16HIPCUB_304000_NS22TransformInputIteratorIb7NonZeroIfEPflEEPllNS8_6detail34convert_binary_result_type_wrapperINS8_3SumESD_lEEEE10hipError_tPvRmT1_T2_T3_mT4_P12ihipStream_tbEUlT_E1_NS1_11comp_targetILNS1_3genE10ELNS1_11target_archE1201ELNS1_3gpuE5ELNS1_3repE0EEENS1_30default_config_static_selectorELNS0_4arch9wavefront6targetE1EEEvSM_.has_indirect_call, 0
	.section	.AMDGPU.csdata,"",@progbits
; Kernel info:
; codeLenInByte = 0
; TotalNumSgprs: 4
; NumVgprs: 0
; ScratchSize: 0
; MemoryBound: 0
; FloatMode: 240
; IeeeMode: 1
; LDSByteSize: 0 bytes/workgroup (compile time only)
; SGPRBlocks: 0
; VGPRBlocks: 0
; NumSGPRsForWavesPerEU: 4
; NumVGPRsForWavesPerEU: 1
; Occupancy: 10
; WaveLimiterHint : 0
; COMPUTE_PGM_RSRC2:SCRATCH_EN: 0
; COMPUTE_PGM_RSRC2:USER_SGPR: 6
; COMPUTE_PGM_RSRC2:TRAP_HANDLER: 0
; COMPUTE_PGM_RSRC2:TGID_X_EN: 1
; COMPUTE_PGM_RSRC2:TGID_Y_EN: 0
; COMPUTE_PGM_RSRC2:TGID_Z_EN: 0
; COMPUTE_PGM_RSRC2:TIDIG_COMP_CNT: 0
	.section	.text._ZN7rocprim17ROCPRIM_400000_NS6detail17trampoline_kernelINS0_14default_configENS1_22reduce_config_selectorIbEEZNS1_11reduce_implILb1ES3_N6hipcub16HIPCUB_304000_NS22TransformInputIteratorIb7NonZeroIfEPflEEPllNS8_6detail34convert_binary_result_type_wrapperINS8_3SumESD_lEEEE10hipError_tPvRmT1_T2_T3_mT4_P12ihipStream_tbEUlT_E1_NS1_11comp_targetILNS1_3genE10ELNS1_11target_archE1200ELNS1_3gpuE4ELNS1_3repE0EEENS1_30default_config_static_selectorELNS0_4arch9wavefront6targetE1EEEvSM_,"axG",@progbits,_ZN7rocprim17ROCPRIM_400000_NS6detail17trampoline_kernelINS0_14default_configENS1_22reduce_config_selectorIbEEZNS1_11reduce_implILb1ES3_N6hipcub16HIPCUB_304000_NS22TransformInputIteratorIb7NonZeroIfEPflEEPllNS8_6detail34convert_binary_result_type_wrapperINS8_3SumESD_lEEEE10hipError_tPvRmT1_T2_T3_mT4_P12ihipStream_tbEUlT_E1_NS1_11comp_targetILNS1_3genE10ELNS1_11target_archE1200ELNS1_3gpuE4ELNS1_3repE0EEENS1_30default_config_static_selectorELNS0_4arch9wavefront6targetE1EEEvSM_,comdat
	.protected	_ZN7rocprim17ROCPRIM_400000_NS6detail17trampoline_kernelINS0_14default_configENS1_22reduce_config_selectorIbEEZNS1_11reduce_implILb1ES3_N6hipcub16HIPCUB_304000_NS22TransformInputIteratorIb7NonZeroIfEPflEEPllNS8_6detail34convert_binary_result_type_wrapperINS8_3SumESD_lEEEE10hipError_tPvRmT1_T2_T3_mT4_P12ihipStream_tbEUlT_E1_NS1_11comp_targetILNS1_3genE10ELNS1_11target_archE1200ELNS1_3gpuE4ELNS1_3repE0EEENS1_30default_config_static_selectorELNS0_4arch9wavefront6targetE1EEEvSM_ ; -- Begin function _ZN7rocprim17ROCPRIM_400000_NS6detail17trampoline_kernelINS0_14default_configENS1_22reduce_config_selectorIbEEZNS1_11reduce_implILb1ES3_N6hipcub16HIPCUB_304000_NS22TransformInputIteratorIb7NonZeroIfEPflEEPllNS8_6detail34convert_binary_result_type_wrapperINS8_3SumESD_lEEEE10hipError_tPvRmT1_T2_T3_mT4_P12ihipStream_tbEUlT_E1_NS1_11comp_targetILNS1_3genE10ELNS1_11target_archE1200ELNS1_3gpuE4ELNS1_3repE0EEENS1_30default_config_static_selectorELNS0_4arch9wavefront6targetE1EEEvSM_
	.globl	_ZN7rocprim17ROCPRIM_400000_NS6detail17trampoline_kernelINS0_14default_configENS1_22reduce_config_selectorIbEEZNS1_11reduce_implILb1ES3_N6hipcub16HIPCUB_304000_NS22TransformInputIteratorIb7NonZeroIfEPflEEPllNS8_6detail34convert_binary_result_type_wrapperINS8_3SumESD_lEEEE10hipError_tPvRmT1_T2_T3_mT4_P12ihipStream_tbEUlT_E1_NS1_11comp_targetILNS1_3genE10ELNS1_11target_archE1200ELNS1_3gpuE4ELNS1_3repE0EEENS1_30default_config_static_selectorELNS0_4arch9wavefront6targetE1EEEvSM_
	.p2align	8
	.type	_ZN7rocprim17ROCPRIM_400000_NS6detail17trampoline_kernelINS0_14default_configENS1_22reduce_config_selectorIbEEZNS1_11reduce_implILb1ES3_N6hipcub16HIPCUB_304000_NS22TransformInputIteratorIb7NonZeroIfEPflEEPllNS8_6detail34convert_binary_result_type_wrapperINS8_3SumESD_lEEEE10hipError_tPvRmT1_T2_T3_mT4_P12ihipStream_tbEUlT_E1_NS1_11comp_targetILNS1_3genE10ELNS1_11target_archE1200ELNS1_3gpuE4ELNS1_3repE0EEENS1_30default_config_static_selectorELNS0_4arch9wavefront6targetE1EEEvSM_,@function
_ZN7rocprim17ROCPRIM_400000_NS6detail17trampoline_kernelINS0_14default_configENS1_22reduce_config_selectorIbEEZNS1_11reduce_implILb1ES3_N6hipcub16HIPCUB_304000_NS22TransformInputIteratorIb7NonZeroIfEPflEEPllNS8_6detail34convert_binary_result_type_wrapperINS8_3SumESD_lEEEE10hipError_tPvRmT1_T2_T3_mT4_P12ihipStream_tbEUlT_E1_NS1_11comp_targetILNS1_3genE10ELNS1_11target_archE1200ELNS1_3gpuE4ELNS1_3repE0EEENS1_30default_config_static_selectorELNS0_4arch9wavefront6targetE1EEEvSM_: ; @_ZN7rocprim17ROCPRIM_400000_NS6detail17trampoline_kernelINS0_14default_configENS1_22reduce_config_selectorIbEEZNS1_11reduce_implILb1ES3_N6hipcub16HIPCUB_304000_NS22TransformInputIteratorIb7NonZeroIfEPflEEPllNS8_6detail34convert_binary_result_type_wrapperINS8_3SumESD_lEEEE10hipError_tPvRmT1_T2_T3_mT4_P12ihipStream_tbEUlT_E1_NS1_11comp_targetILNS1_3genE10ELNS1_11target_archE1200ELNS1_3gpuE4ELNS1_3repE0EEENS1_30default_config_static_selectorELNS0_4arch9wavefront6targetE1EEEvSM_
; %bb.0:
	.section	.rodata,"a",@progbits
	.p2align	6, 0x0
	.amdhsa_kernel _ZN7rocprim17ROCPRIM_400000_NS6detail17trampoline_kernelINS0_14default_configENS1_22reduce_config_selectorIbEEZNS1_11reduce_implILb1ES3_N6hipcub16HIPCUB_304000_NS22TransformInputIteratorIb7NonZeroIfEPflEEPllNS8_6detail34convert_binary_result_type_wrapperINS8_3SumESD_lEEEE10hipError_tPvRmT1_T2_T3_mT4_P12ihipStream_tbEUlT_E1_NS1_11comp_targetILNS1_3genE10ELNS1_11target_archE1200ELNS1_3gpuE4ELNS1_3repE0EEENS1_30default_config_static_selectorELNS0_4arch9wavefront6targetE1EEEvSM_
		.amdhsa_group_segment_fixed_size 0
		.amdhsa_private_segment_fixed_size 0
		.amdhsa_kernarg_size 56
		.amdhsa_user_sgpr_count 6
		.amdhsa_user_sgpr_private_segment_buffer 1
		.amdhsa_user_sgpr_dispatch_ptr 0
		.amdhsa_user_sgpr_queue_ptr 0
		.amdhsa_user_sgpr_kernarg_segment_ptr 1
		.amdhsa_user_sgpr_dispatch_id 0
		.amdhsa_user_sgpr_flat_scratch_init 0
		.amdhsa_user_sgpr_private_segment_size 0
		.amdhsa_uses_dynamic_stack 0
		.amdhsa_system_sgpr_private_segment_wavefront_offset 0
		.amdhsa_system_sgpr_workgroup_id_x 1
		.amdhsa_system_sgpr_workgroup_id_y 0
		.amdhsa_system_sgpr_workgroup_id_z 0
		.amdhsa_system_sgpr_workgroup_info 0
		.amdhsa_system_vgpr_workitem_id 0
		.amdhsa_next_free_vgpr 1
		.amdhsa_next_free_sgpr 0
		.amdhsa_reserve_vcc 0
		.amdhsa_reserve_flat_scratch 0
		.amdhsa_float_round_mode_32 0
		.amdhsa_float_round_mode_16_64 0
		.amdhsa_float_denorm_mode_32 3
		.amdhsa_float_denorm_mode_16_64 3
		.amdhsa_dx10_clamp 1
		.amdhsa_ieee_mode 1
		.amdhsa_fp16_overflow 0
		.amdhsa_exception_fp_ieee_invalid_op 0
		.amdhsa_exception_fp_denorm_src 0
		.amdhsa_exception_fp_ieee_div_zero 0
		.amdhsa_exception_fp_ieee_overflow 0
		.amdhsa_exception_fp_ieee_underflow 0
		.amdhsa_exception_fp_ieee_inexact 0
		.amdhsa_exception_int_div_zero 0
	.end_amdhsa_kernel
	.section	.text._ZN7rocprim17ROCPRIM_400000_NS6detail17trampoline_kernelINS0_14default_configENS1_22reduce_config_selectorIbEEZNS1_11reduce_implILb1ES3_N6hipcub16HIPCUB_304000_NS22TransformInputIteratorIb7NonZeroIfEPflEEPllNS8_6detail34convert_binary_result_type_wrapperINS8_3SumESD_lEEEE10hipError_tPvRmT1_T2_T3_mT4_P12ihipStream_tbEUlT_E1_NS1_11comp_targetILNS1_3genE10ELNS1_11target_archE1200ELNS1_3gpuE4ELNS1_3repE0EEENS1_30default_config_static_selectorELNS0_4arch9wavefront6targetE1EEEvSM_,"axG",@progbits,_ZN7rocprim17ROCPRIM_400000_NS6detail17trampoline_kernelINS0_14default_configENS1_22reduce_config_selectorIbEEZNS1_11reduce_implILb1ES3_N6hipcub16HIPCUB_304000_NS22TransformInputIteratorIb7NonZeroIfEPflEEPllNS8_6detail34convert_binary_result_type_wrapperINS8_3SumESD_lEEEE10hipError_tPvRmT1_T2_T3_mT4_P12ihipStream_tbEUlT_E1_NS1_11comp_targetILNS1_3genE10ELNS1_11target_archE1200ELNS1_3gpuE4ELNS1_3repE0EEENS1_30default_config_static_selectorELNS0_4arch9wavefront6targetE1EEEvSM_,comdat
.Lfunc_end250:
	.size	_ZN7rocprim17ROCPRIM_400000_NS6detail17trampoline_kernelINS0_14default_configENS1_22reduce_config_selectorIbEEZNS1_11reduce_implILb1ES3_N6hipcub16HIPCUB_304000_NS22TransformInputIteratorIb7NonZeroIfEPflEEPllNS8_6detail34convert_binary_result_type_wrapperINS8_3SumESD_lEEEE10hipError_tPvRmT1_T2_T3_mT4_P12ihipStream_tbEUlT_E1_NS1_11comp_targetILNS1_3genE10ELNS1_11target_archE1200ELNS1_3gpuE4ELNS1_3repE0EEENS1_30default_config_static_selectorELNS0_4arch9wavefront6targetE1EEEvSM_, .Lfunc_end250-_ZN7rocprim17ROCPRIM_400000_NS6detail17trampoline_kernelINS0_14default_configENS1_22reduce_config_selectorIbEEZNS1_11reduce_implILb1ES3_N6hipcub16HIPCUB_304000_NS22TransformInputIteratorIb7NonZeroIfEPflEEPllNS8_6detail34convert_binary_result_type_wrapperINS8_3SumESD_lEEEE10hipError_tPvRmT1_T2_T3_mT4_P12ihipStream_tbEUlT_E1_NS1_11comp_targetILNS1_3genE10ELNS1_11target_archE1200ELNS1_3gpuE4ELNS1_3repE0EEENS1_30default_config_static_selectorELNS0_4arch9wavefront6targetE1EEEvSM_
                                        ; -- End function
	.set _ZN7rocprim17ROCPRIM_400000_NS6detail17trampoline_kernelINS0_14default_configENS1_22reduce_config_selectorIbEEZNS1_11reduce_implILb1ES3_N6hipcub16HIPCUB_304000_NS22TransformInputIteratorIb7NonZeroIfEPflEEPllNS8_6detail34convert_binary_result_type_wrapperINS8_3SumESD_lEEEE10hipError_tPvRmT1_T2_T3_mT4_P12ihipStream_tbEUlT_E1_NS1_11comp_targetILNS1_3genE10ELNS1_11target_archE1200ELNS1_3gpuE4ELNS1_3repE0EEENS1_30default_config_static_selectorELNS0_4arch9wavefront6targetE1EEEvSM_.num_vgpr, 0
	.set _ZN7rocprim17ROCPRIM_400000_NS6detail17trampoline_kernelINS0_14default_configENS1_22reduce_config_selectorIbEEZNS1_11reduce_implILb1ES3_N6hipcub16HIPCUB_304000_NS22TransformInputIteratorIb7NonZeroIfEPflEEPllNS8_6detail34convert_binary_result_type_wrapperINS8_3SumESD_lEEEE10hipError_tPvRmT1_T2_T3_mT4_P12ihipStream_tbEUlT_E1_NS1_11comp_targetILNS1_3genE10ELNS1_11target_archE1200ELNS1_3gpuE4ELNS1_3repE0EEENS1_30default_config_static_selectorELNS0_4arch9wavefront6targetE1EEEvSM_.num_agpr, 0
	.set _ZN7rocprim17ROCPRIM_400000_NS6detail17trampoline_kernelINS0_14default_configENS1_22reduce_config_selectorIbEEZNS1_11reduce_implILb1ES3_N6hipcub16HIPCUB_304000_NS22TransformInputIteratorIb7NonZeroIfEPflEEPllNS8_6detail34convert_binary_result_type_wrapperINS8_3SumESD_lEEEE10hipError_tPvRmT1_T2_T3_mT4_P12ihipStream_tbEUlT_E1_NS1_11comp_targetILNS1_3genE10ELNS1_11target_archE1200ELNS1_3gpuE4ELNS1_3repE0EEENS1_30default_config_static_selectorELNS0_4arch9wavefront6targetE1EEEvSM_.numbered_sgpr, 0
	.set _ZN7rocprim17ROCPRIM_400000_NS6detail17trampoline_kernelINS0_14default_configENS1_22reduce_config_selectorIbEEZNS1_11reduce_implILb1ES3_N6hipcub16HIPCUB_304000_NS22TransformInputIteratorIb7NonZeroIfEPflEEPllNS8_6detail34convert_binary_result_type_wrapperINS8_3SumESD_lEEEE10hipError_tPvRmT1_T2_T3_mT4_P12ihipStream_tbEUlT_E1_NS1_11comp_targetILNS1_3genE10ELNS1_11target_archE1200ELNS1_3gpuE4ELNS1_3repE0EEENS1_30default_config_static_selectorELNS0_4arch9wavefront6targetE1EEEvSM_.num_named_barrier, 0
	.set _ZN7rocprim17ROCPRIM_400000_NS6detail17trampoline_kernelINS0_14default_configENS1_22reduce_config_selectorIbEEZNS1_11reduce_implILb1ES3_N6hipcub16HIPCUB_304000_NS22TransformInputIteratorIb7NonZeroIfEPflEEPllNS8_6detail34convert_binary_result_type_wrapperINS8_3SumESD_lEEEE10hipError_tPvRmT1_T2_T3_mT4_P12ihipStream_tbEUlT_E1_NS1_11comp_targetILNS1_3genE10ELNS1_11target_archE1200ELNS1_3gpuE4ELNS1_3repE0EEENS1_30default_config_static_selectorELNS0_4arch9wavefront6targetE1EEEvSM_.private_seg_size, 0
	.set _ZN7rocprim17ROCPRIM_400000_NS6detail17trampoline_kernelINS0_14default_configENS1_22reduce_config_selectorIbEEZNS1_11reduce_implILb1ES3_N6hipcub16HIPCUB_304000_NS22TransformInputIteratorIb7NonZeroIfEPflEEPllNS8_6detail34convert_binary_result_type_wrapperINS8_3SumESD_lEEEE10hipError_tPvRmT1_T2_T3_mT4_P12ihipStream_tbEUlT_E1_NS1_11comp_targetILNS1_3genE10ELNS1_11target_archE1200ELNS1_3gpuE4ELNS1_3repE0EEENS1_30default_config_static_selectorELNS0_4arch9wavefront6targetE1EEEvSM_.uses_vcc, 0
	.set _ZN7rocprim17ROCPRIM_400000_NS6detail17trampoline_kernelINS0_14default_configENS1_22reduce_config_selectorIbEEZNS1_11reduce_implILb1ES3_N6hipcub16HIPCUB_304000_NS22TransformInputIteratorIb7NonZeroIfEPflEEPllNS8_6detail34convert_binary_result_type_wrapperINS8_3SumESD_lEEEE10hipError_tPvRmT1_T2_T3_mT4_P12ihipStream_tbEUlT_E1_NS1_11comp_targetILNS1_3genE10ELNS1_11target_archE1200ELNS1_3gpuE4ELNS1_3repE0EEENS1_30default_config_static_selectorELNS0_4arch9wavefront6targetE1EEEvSM_.uses_flat_scratch, 0
	.set _ZN7rocprim17ROCPRIM_400000_NS6detail17trampoline_kernelINS0_14default_configENS1_22reduce_config_selectorIbEEZNS1_11reduce_implILb1ES3_N6hipcub16HIPCUB_304000_NS22TransformInputIteratorIb7NonZeroIfEPflEEPllNS8_6detail34convert_binary_result_type_wrapperINS8_3SumESD_lEEEE10hipError_tPvRmT1_T2_T3_mT4_P12ihipStream_tbEUlT_E1_NS1_11comp_targetILNS1_3genE10ELNS1_11target_archE1200ELNS1_3gpuE4ELNS1_3repE0EEENS1_30default_config_static_selectorELNS0_4arch9wavefront6targetE1EEEvSM_.has_dyn_sized_stack, 0
	.set _ZN7rocprim17ROCPRIM_400000_NS6detail17trampoline_kernelINS0_14default_configENS1_22reduce_config_selectorIbEEZNS1_11reduce_implILb1ES3_N6hipcub16HIPCUB_304000_NS22TransformInputIteratorIb7NonZeroIfEPflEEPllNS8_6detail34convert_binary_result_type_wrapperINS8_3SumESD_lEEEE10hipError_tPvRmT1_T2_T3_mT4_P12ihipStream_tbEUlT_E1_NS1_11comp_targetILNS1_3genE10ELNS1_11target_archE1200ELNS1_3gpuE4ELNS1_3repE0EEENS1_30default_config_static_selectorELNS0_4arch9wavefront6targetE1EEEvSM_.has_recursion, 0
	.set _ZN7rocprim17ROCPRIM_400000_NS6detail17trampoline_kernelINS0_14default_configENS1_22reduce_config_selectorIbEEZNS1_11reduce_implILb1ES3_N6hipcub16HIPCUB_304000_NS22TransformInputIteratorIb7NonZeroIfEPflEEPllNS8_6detail34convert_binary_result_type_wrapperINS8_3SumESD_lEEEE10hipError_tPvRmT1_T2_T3_mT4_P12ihipStream_tbEUlT_E1_NS1_11comp_targetILNS1_3genE10ELNS1_11target_archE1200ELNS1_3gpuE4ELNS1_3repE0EEENS1_30default_config_static_selectorELNS0_4arch9wavefront6targetE1EEEvSM_.has_indirect_call, 0
	.section	.AMDGPU.csdata,"",@progbits
; Kernel info:
; codeLenInByte = 0
; TotalNumSgprs: 4
; NumVgprs: 0
; ScratchSize: 0
; MemoryBound: 0
; FloatMode: 240
; IeeeMode: 1
; LDSByteSize: 0 bytes/workgroup (compile time only)
; SGPRBlocks: 0
; VGPRBlocks: 0
; NumSGPRsForWavesPerEU: 4
; NumVGPRsForWavesPerEU: 1
; Occupancy: 10
; WaveLimiterHint : 0
; COMPUTE_PGM_RSRC2:SCRATCH_EN: 0
; COMPUTE_PGM_RSRC2:USER_SGPR: 6
; COMPUTE_PGM_RSRC2:TRAP_HANDLER: 0
; COMPUTE_PGM_RSRC2:TGID_X_EN: 1
; COMPUTE_PGM_RSRC2:TGID_Y_EN: 0
; COMPUTE_PGM_RSRC2:TGID_Z_EN: 0
; COMPUTE_PGM_RSRC2:TIDIG_COMP_CNT: 0
	.section	.text._ZN7rocprim17ROCPRIM_400000_NS6detail17trampoline_kernelINS0_14default_configENS1_22reduce_config_selectorIbEEZNS1_11reduce_implILb1ES3_N6hipcub16HIPCUB_304000_NS22TransformInputIteratorIb7NonZeroIfEPflEEPllNS8_6detail34convert_binary_result_type_wrapperINS8_3SumESD_lEEEE10hipError_tPvRmT1_T2_T3_mT4_P12ihipStream_tbEUlT_E1_NS1_11comp_targetILNS1_3genE9ELNS1_11target_archE1100ELNS1_3gpuE3ELNS1_3repE0EEENS1_30default_config_static_selectorELNS0_4arch9wavefront6targetE1EEEvSM_,"axG",@progbits,_ZN7rocprim17ROCPRIM_400000_NS6detail17trampoline_kernelINS0_14default_configENS1_22reduce_config_selectorIbEEZNS1_11reduce_implILb1ES3_N6hipcub16HIPCUB_304000_NS22TransformInputIteratorIb7NonZeroIfEPflEEPllNS8_6detail34convert_binary_result_type_wrapperINS8_3SumESD_lEEEE10hipError_tPvRmT1_T2_T3_mT4_P12ihipStream_tbEUlT_E1_NS1_11comp_targetILNS1_3genE9ELNS1_11target_archE1100ELNS1_3gpuE3ELNS1_3repE0EEENS1_30default_config_static_selectorELNS0_4arch9wavefront6targetE1EEEvSM_,comdat
	.protected	_ZN7rocprim17ROCPRIM_400000_NS6detail17trampoline_kernelINS0_14default_configENS1_22reduce_config_selectorIbEEZNS1_11reduce_implILb1ES3_N6hipcub16HIPCUB_304000_NS22TransformInputIteratorIb7NonZeroIfEPflEEPllNS8_6detail34convert_binary_result_type_wrapperINS8_3SumESD_lEEEE10hipError_tPvRmT1_T2_T3_mT4_P12ihipStream_tbEUlT_E1_NS1_11comp_targetILNS1_3genE9ELNS1_11target_archE1100ELNS1_3gpuE3ELNS1_3repE0EEENS1_30default_config_static_selectorELNS0_4arch9wavefront6targetE1EEEvSM_ ; -- Begin function _ZN7rocprim17ROCPRIM_400000_NS6detail17trampoline_kernelINS0_14default_configENS1_22reduce_config_selectorIbEEZNS1_11reduce_implILb1ES3_N6hipcub16HIPCUB_304000_NS22TransformInputIteratorIb7NonZeroIfEPflEEPllNS8_6detail34convert_binary_result_type_wrapperINS8_3SumESD_lEEEE10hipError_tPvRmT1_T2_T3_mT4_P12ihipStream_tbEUlT_E1_NS1_11comp_targetILNS1_3genE9ELNS1_11target_archE1100ELNS1_3gpuE3ELNS1_3repE0EEENS1_30default_config_static_selectorELNS0_4arch9wavefront6targetE1EEEvSM_
	.globl	_ZN7rocprim17ROCPRIM_400000_NS6detail17trampoline_kernelINS0_14default_configENS1_22reduce_config_selectorIbEEZNS1_11reduce_implILb1ES3_N6hipcub16HIPCUB_304000_NS22TransformInputIteratorIb7NonZeroIfEPflEEPllNS8_6detail34convert_binary_result_type_wrapperINS8_3SumESD_lEEEE10hipError_tPvRmT1_T2_T3_mT4_P12ihipStream_tbEUlT_E1_NS1_11comp_targetILNS1_3genE9ELNS1_11target_archE1100ELNS1_3gpuE3ELNS1_3repE0EEENS1_30default_config_static_selectorELNS0_4arch9wavefront6targetE1EEEvSM_
	.p2align	8
	.type	_ZN7rocprim17ROCPRIM_400000_NS6detail17trampoline_kernelINS0_14default_configENS1_22reduce_config_selectorIbEEZNS1_11reduce_implILb1ES3_N6hipcub16HIPCUB_304000_NS22TransformInputIteratorIb7NonZeroIfEPflEEPllNS8_6detail34convert_binary_result_type_wrapperINS8_3SumESD_lEEEE10hipError_tPvRmT1_T2_T3_mT4_P12ihipStream_tbEUlT_E1_NS1_11comp_targetILNS1_3genE9ELNS1_11target_archE1100ELNS1_3gpuE3ELNS1_3repE0EEENS1_30default_config_static_selectorELNS0_4arch9wavefront6targetE1EEEvSM_,@function
_ZN7rocprim17ROCPRIM_400000_NS6detail17trampoline_kernelINS0_14default_configENS1_22reduce_config_selectorIbEEZNS1_11reduce_implILb1ES3_N6hipcub16HIPCUB_304000_NS22TransformInputIteratorIb7NonZeroIfEPflEEPllNS8_6detail34convert_binary_result_type_wrapperINS8_3SumESD_lEEEE10hipError_tPvRmT1_T2_T3_mT4_P12ihipStream_tbEUlT_E1_NS1_11comp_targetILNS1_3genE9ELNS1_11target_archE1100ELNS1_3gpuE3ELNS1_3repE0EEENS1_30default_config_static_selectorELNS0_4arch9wavefront6targetE1EEEvSM_: ; @_ZN7rocprim17ROCPRIM_400000_NS6detail17trampoline_kernelINS0_14default_configENS1_22reduce_config_selectorIbEEZNS1_11reduce_implILb1ES3_N6hipcub16HIPCUB_304000_NS22TransformInputIteratorIb7NonZeroIfEPflEEPllNS8_6detail34convert_binary_result_type_wrapperINS8_3SumESD_lEEEE10hipError_tPvRmT1_T2_T3_mT4_P12ihipStream_tbEUlT_E1_NS1_11comp_targetILNS1_3genE9ELNS1_11target_archE1100ELNS1_3gpuE3ELNS1_3repE0EEENS1_30default_config_static_selectorELNS0_4arch9wavefront6targetE1EEEvSM_
; %bb.0:
	.section	.rodata,"a",@progbits
	.p2align	6, 0x0
	.amdhsa_kernel _ZN7rocprim17ROCPRIM_400000_NS6detail17trampoline_kernelINS0_14default_configENS1_22reduce_config_selectorIbEEZNS1_11reduce_implILb1ES3_N6hipcub16HIPCUB_304000_NS22TransformInputIteratorIb7NonZeroIfEPflEEPllNS8_6detail34convert_binary_result_type_wrapperINS8_3SumESD_lEEEE10hipError_tPvRmT1_T2_T3_mT4_P12ihipStream_tbEUlT_E1_NS1_11comp_targetILNS1_3genE9ELNS1_11target_archE1100ELNS1_3gpuE3ELNS1_3repE0EEENS1_30default_config_static_selectorELNS0_4arch9wavefront6targetE1EEEvSM_
		.amdhsa_group_segment_fixed_size 0
		.amdhsa_private_segment_fixed_size 0
		.amdhsa_kernarg_size 56
		.amdhsa_user_sgpr_count 6
		.amdhsa_user_sgpr_private_segment_buffer 1
		.amdhsa_user_sgpr_dispatch_ptr 0
		.amdhsa_user_sgpr_queue_ptr 0
		.amdhsa_user_sgpr_kernarg_segment_ptr 1
		.amdhsa_user_sgpr_dispatch_id 0
		.amdhsa_user_sgpr_flat_scratch_init 0
		.amdhsa_user_sgpr_private_segment_size 0
		.amdhsa_uses_dynamic_stack 0
		.amdhsa_system_sgpr_private_segment_wavefront_offset 0
		.amdhsa_system_sgpr_workgroup_id_x 1
		.amdhsa_system_sgpr_workgroup_id_y 0
		.amdhsa_system_sgpr_workgroup_id_z 0
		.amdhsa_system_sgpr_workgroup_info 0
		.amdhsa_system_vgpr_workitem_id 0
		.amdhsa_next_free_vgpr 1
		.amdhsa_next_free_sgpr 0
		.amdhsa_reserve_vcc 0
		.amdhsa_reserve_flat_scratch 0
		.amdhsa_float_round_mode_32 0
		.amdhsa_float_round_mode_16_64 0
		.amdhsa_float_denorm_mode_32 3
		.amdhsa_float_denorm_mode_16_64 3
		.amdhsa_dx10_clamp 1
		.amdhsa_ieee_mode 1
		.amdhsa_fp16_overflow 0
		.amdhsa_exception_fp_ieee_invalid_op 0
		.amdhsa_exception_fp_denorm_src 0
		.amdhsa_exception_fp_ieee_div_zero 0
		.amdhsa_exception_fp_ieee_overflow 0
		.amdhsa_exception_fp_ieee_underflow 0
		.amdhsa_exception_fp_ieee_inexact 0
		.amdhsa_exception_int_div_zero 0
	.end_amdhsa_kernel
	.section	.text._ZN7rocprim17ROCPRIM_400000_NS6detail17trampoline_kernelINS0_14default_configENS1_22reduce_config_selectorIbEEZNS1_11reduce_implILb1ES3_N6hipcub16HIPCUB_304000_NS22TransformInputIteratorIb7NonZeroIfEPflEEPllNS8_6detail34convert_binary_result_type_wrapperINS8_3SumESD_lEEEE10hipError_tPvRmT1_T2_T3_mT4_P12ihipStream_tbEUlT_E1_NS1_11comp_targetILNS1_3genE9ELNS1_11target_archE1100ELNS1_3gpuE3ELNS1_3repE0EEENS1_30default_config_static_selectorELNS0_4arch9wavefront6targetE1EEEvSM_,"axG",@progbits,_ZN7rocprim17ROCPRIM_400000_NS6detail17trampoline_kernelINS0_14default_configENS1_22reduce_config_selectorIbEEZNS1_11reduce_implILb1ES3_N6hipcub16HIPCUB_304000_NS22TransformInputIteratorIb7NonZeroIfEPflEEPllNS8_6detail34convert_binary_result_type_wrapperINS8_3SumESD_lEEEE10hipError_tPvRmT1_T2_T3_mT4_P12ihipStream_tbEUlT_E1_NS1_11comp_targetILNS1_3genE9ELNS1_11target_archE1100ELNS1_3gpuE3ELNS1_3repE0EEENS1_30default_config_static_selectorELNS0_4arch9wavefront6targetE1EEEvSM_,comdat
.Lfunc_end251:
	.size	_ZN7rocprim17ROCPRIM_400000_NS6detail17trampoline_kernelINS0_14default_configENS1_22reduce_config_selectorIbEEZNS1_11reduce_implILb1ES3_N6hipcub16HIPCUB_304000_NS22TransformInputIteratorIb7NonZeroIfEPflEEPllNS8_6detail34convert_binary_result_type_wrapperINS8_3SumESD_lEEEE10hipError_tPvRmT1_T2_T3_mT4_P12ihipStream_tbEUlT_E1_NS1_11comp_targetILNS1_3genE9ELNS1_11target_archE1100ELNS1_3gpuE3ELNS1_3repE0EEENS1_30default_config_static_selectorELNS0_4arch9wavefront6targetE1EEEvSM_, .Lfunc_end251-_ZN7rocprim17ROCPRIM_400000_NS6detail17trampoline_kernelINS0_14default_configENS1_22reduce_config_selectorIbEEZNS1_11reduce_implILb1ES3_N6hipcub16HIPCUB_304000_NS22TransformInputIteratorIb7NonZeroIfEPflEEPllNS8_6detail34convert_binary_result_type_wrapperINS8_3SumESD_lEEEE10hipError_tPvRmT1_T2_T3_mT4_P12ihipStream_tbEUlT_E1_NS1_11comp_targetILNS1_3genE9ELNS1_11target_archE1100ELNS1_3gpuE3ELNS1_3repE0EEENS1_30default_config_static_selectorELNS0_4arch9wavefront6targetE1EEEvSM_
                                        ; -- End function
	.set _ZN7rocprim17ROCPRIM_400000_NS6detail17trampoline_kernelINS0_14default_configENS1_22reduce_config_selectorIbEEZNS1_11reduce_implILb1ES3_N6hipcub16HIPCUB_304000_NS22TransformInputIteratorIb7NonZeroIfEPflEEPllNS8_6detail34convert_binary_result_type_wrapperINS8_3SumESD_lEEEE10hipError_tPvRmT1_T2_T3_mT4_P12ihipStream_tbEUlT_E1_NS1_11comp_targetILNS1_3genE9ELNS1_11target_archE1100ELNS1_3gpuE3ELNS1_3repE0EEENS1_30default_config_static_selectorELNS0_4arch9wavefront6targetE1EEEvSM_.num_vgpr, 0
	.set _ZN7rocprim17ROCPRIM_400000_NS6detail17trampoline_kernelINS0_14default_configENS1_22reduce_config_selectorIbEEZNS1_11reduce_implILb1ES3_N6hipcub16HIPCUB_304000_NS22TransformInputIteratorIb7NonZeroIfEPflEEPllNS8_6detail34convert_binary_result_type_wrapperINS8_3SumESD_lEEEE10hipError_tPvRmT1_T2_T3_mT4_P12ihipStream_tbEUlT_E1_NS1_11comp_targetILNS1_3genE9ELNS1_11target_archE1100ELNS1_3gpuE3ELNS1_3repE0EEENS1_30default_config_static_selectorELNS0_4arch9wavefront6targetE1EEEvSM_.num_agpr, 0
	.set _ZN7rocprim17ROCPRIM_400000_NS6detail17trampoline_kernelINS0_14default_configENS1_22reduce_config_selectorIbEEZNS1_11reduce_implILb1ES3_N6hipcub16HIPCUB_304000_NS22TransformInputIteratorIb7NonZeroIfEPflEEPllNS8_6detail34convert_binary_result_type_wrapperINS8_3SumESD_lEEEE10hipError_tPvRmT1_T2_T3_mT4_P12ihipStream_tbEUlT_E1_NS1_11comp_targetILNS1_3genE9ELNS1_11target_archE1100ELNS1_3gpuE3ELNS1_3repE0EEENS1_30default_config_static_selectorELNS0_4arch9wavefront6targetE1EEEvSM_.numbered_sgpr, 0
	.set _ZN7rocprim17ROCPRIM_400000_NS6detail17trampoline_kernelINS0_14default_configENS1_22reduce_config_selectorIbEEZNS1_11reduce_implILb1ES3_N6hipcub16HIPCUB_304000_NS22TransformInputIteratorIb7NonZeroIfEPflEEPllNS8_6detail34convert_binary_result_type_wrapperINS8_3SumESD_lEEEE10hipError_tPvRmT1_T2_T3_mT4_P12ihipStream_tbEUlT_E1_NS1_11comp_targetILNS1_3genE9ELNS1_11target_archE1100ELNS1_3gpuE3ELNS1_3repE0EEENS1_30default_config_static_selectorELNS0_4arch9wavefront6targetE1EEEvSM_.num_named_barrier, 0
	.set _ZN7rocprim17ROCPRIM_400000_NS6detail17trampoline_kernelINS0_14default_configENS1_22reduce_config_selectorIbEEZNS1_11reduce_implILb1ES3_N6hipcub16HIPCUB_304000_NS22TransformInputIteratorIb7NonZeroIfEPflEEPllNS8_6detail34convert_binary_result_type_wrapperINS8_3SumESD_lEEEE10hipError_tPvRmT1_T2_T3_mT4_P12ihipStream_tbEUlT_E1_NS1_11comp_targetILNS1_3genE9ELNS1_11target_archE1100ELNS1_3gpuE3ELNS1_3repE0EEENS1_30default_config_static_selectorELNS0_4arch9wavefront6targetE1EEEvSM_.private_seg_size, 0
	.set _ZN7rocprim17ROCPRIM_400000_NS6detail17trampoline_kernelINS0_14default_configENS1_22reduce_config_selectorIbEEZNS1_11reduce_implILb1ES3_N6hipcub16HIPCUB_304000_NS22TransformInputIteratorIb7NonZeroIfEPflEEPllNS8_6detail34convert_binary_result_type_wrapperINS8_3SumESD_lEEEE10hipError_tPvRmT1_T2_T3_mT4_P12ihipStream_tbEUlT_E1_NS1_11comp_targetILNS1_3genE9ELNS1_11target_archE1100ELNS1_3gpuE3ELNS1_3repE0EEENS1_30default_config_static_selectorELNS0_4arch9wavefront6targetE1EEEvSM_.uses_vcc, 0
	.set _ZN7rocprim17ROCPRIM_400000_NS6detail17trampoline_kernelINS0_14default_configENS1_22reduce_config_selectorIbEEZNS1_11reduce_implILb1ES3_N6hipcub16HIPCUB_304000_NS22TransformInputIteratorIb7NonZeroIfEPflEEPllNS8_6detail34convert_binary_result_type_wrapperINS8_3SumESD_lEEEE10hipError_tPvRmT1_T2_T3_mT4_P12ihipStream_tbEUlT_E1_NS1_11comp_targetILNS1_3genE9ELNS1_11target_archE1100ELNS1_3gpuE3ELNS1_3repE0EEENS1_30default_config_static_selectorELNS0_4arch9wavefront6targetE1EEEvSM_.uses_flat_scratch, 0
	.set _ZN7rocprim17ROCPRIM_400000_NS6detail17trampoline_kernelINS0_14default_configENS1_22reduce_config_selectorIbEEZNS1_11reduce_implILb1ES3_N6hipcub16HIPCUB_304000_NS22TransformInputIteratorIb7NonZeroIfEPflEEPllNS8_6detail34convert_binary_result_type_wrapperINS8_3SumESD_lEEEE10hipError_tPvRmT1_T2_T3_mT4_P12ihipStream_tbEUlT_E1_NS1_11comp_targetILNS1_3genE9ELNS1_11target_archE1100ELNS1_3gpuE3ELNS1_3repE0EEENS1_30default_config_static_selectorELNS0_4arch9wavefront6targetE1EEEvSM_.has_dyn_sized_stack, 0
	.set _ZN7rocprim17ROCPRIM_400000_NS6detail17trampoline_kernelINS0_14default_configENS1_22reduce_config_selectorIbEEZNS1_11reduce_implILb1ES3_N6hipcub16HIPCUB_304000_NS22TransformInputIteratorIb7NonZeroIfEPflEEPllNS8_6detail34convert_binary_result_type_wrapperINS8_3SumESD_lEEEE10hipError_tPvRmT1_T2_T3_mT4_P12ihipStream_tbEUlT_E1_NS1_11comp_targetILNS1_3genE9ELNS1_11target_archE1100ELNS1_3gpuE3ELNS1_3repE0EEENS1_30default_config_static_selectorELNS0_4arch9wavefront6targetE1EEEvSM_.has_recursion, 0
	.set _ZN7rocprim17ROCPRIM_400000_NS6detail17trampoline_kernelINS0_14default_configENS1_22reduce_config_selectorIbEEZNS1_11reduce_implILb1ES3_N6hipcub16HIPCUB_304000_NS22TransformInputIteratorIb7NonZeroIfEPflEEPllNS8_6detail34convert_binary_result_type_wrapperINS8_3SumESD_lEEEE10hipError_tPvRmT1_T2_T3_mT4_P12ihipStream_tbEUlT_E1_NS1_11comp_targetILNS1_3genE9ELNS1_11target_archE1100ELNS1_3gpuE3ELNS1_3repE0EEENS1_30default_config_static_selectorELNS0_4arch9wavefront6targetE1EEEvSM_.has_indirect_call, 0
	.section	.AMDGPU.csdata,"",@progbits
; Kernel info:
; codeLenInByte = 0
; TotalNumSgprs: 4
; NumVgprs: 0
; ScratchSize: 0
; MemoryBound: 0
; FloatMode: 240
; IeeeMode: 1
; LDSByteSize: 0 bytes/workgroup (compile time only)
; SGPRBlocks: 0
; VGPRBlocks: 0
; NumSGPRsForWavesPerEU: 4
; NumVGPRsForWavesPerEU: 1
; Occupancy: 10
; WaveLimiterHint : 0
; COMPUTE_PGM_RSRC2:SCRATCH_EN: 0
; COMPUTE_PGM_RSRC2:USER_SGPR: 6
; COMPUTE_PGM_RSRC2:TRAP_HANDLER: 0
; COMPUTE_PGM_RSRC2:TGID_X_EN: 1
; COMPUTE_PGM_RSRC2:TGID_Y_EN: 0
; COMPUTE_PGM_RSRC2:TGID_Z_EN: 0
; COMPUTE_PGM_RSRC2:TIDIG_COMP_CNT: 0
	.section	.text._ZN7rocprim17ROCPRIM_400000_NS6detail17trampoline_kernelINS0_14default_configENS1_22reduce_config_selectorIbEEZNS1_11reduce_implILb1ES3_N6hipcub16HIPCUB_304000_NS22TransformInputIteratorIb7NonZeroIfEPflEEPllNS8_6detail34convert_binary_result_type_wrapperINS8_3SumESD_lEEEE10hipError_tPvRmT1_T2_T3_mT4_P12ihipStream_tbEUlT_E1_NS1_11comp_targetILNS1_3genE8ELNS1_11target_archE1030ELNS1_3gpuE2ELNS1_3repE0EEENS1_30default_config_static_selectorELNS0_4arch9wavefront6targetE1EEEvSM_,"axG",@progbits,_ZN7rocprim17ROCPRIM_400000_NS6detail17trampoline_kernelINS0_14default_configENS1_22reduce_config_selectorIbEEZNS1_11reduce_implILb1ES3_N6hipcub16HIPCUB_304000_NS22TransformInputIteratorIb7NonZeroIfEPflEEPllNS8_6detail34convert_binary_result_type_wrapperINS8_3SumESD_lEEEE10hipError_tPvRmT1_T2_T3_mT4_P12ihipStream_tbEUlT_E1_NS1_11comp_targetILNS1_3genE8ELNS1_11target_archE1030ELNS1_3gpuE2ELNS1_3repE0EEENS1_30default_config_static_selectorELNS0_4arch9wavefront6targetE1EEEvSM_,comdat
	.protected	_ZN7rocprim17ROCPRIM_400000_NS6detail17trampoline_kernelINS0_14default_configENS1_22reduce_config_selectorIbEEZNS1_11reduce_implILb1ES3_N6hipcub16HIPCUB_304000_NS22TransformInputIteratorIb7NonZeroIfEPflEEPllNS8_6detail34convert_binary_result_type_wrapperINS8_3SumESD_lEEEE10hipError_tPvRmT1_T2_T3_mT4_P12ihipStream_tbEUlT_E1_NS1_11comp_targetILNS1_3genE8ELNS1_11target_archE1030ELNS1_3gpuE2ELNS1_3repE0EEENS1_30default_config_static_selectorELNS0_4arch9wavefront6targetE1EEEvSM_ ; -- Begin function _ZN7rocprim17ROCPRIM_400000_NS6detail17trampoline_kernelINS0_14default_configENS1_22reduce_config_selectorIbEEZNS1_11reduce_implILb1ES3_N6hipcub16HIPCUB_304000_NS22TransformInputIteratorIb7NonZeroIfEPflEEPllNS8_6detail34convert_binary_result_type_wrapperINS8_3SumESD_lEEEE10hipError_tPvRmT1_T2_T3_mT4_P12ihipStream_tbEUlT_E1_NS1_11comp_targetILNS1_3genE8ELNS1_11target_archE1030ELNS1_3gpuE2ELNS1_3repE0EEENS1_30default_config_static_selectorELNS0_4arch9wavefront6targetE1EEEvSM_
	.globl	_ZN7rocprim17ROCPRIM_400000_NS6detail17trampoline_kernelINS0_14default_configENS1_22reduce_config_selectorIbEEZNS1_11reduce_implILb1ES3_N6hipcub16HIPCUB_304000_NS22TransformInputIteratorIb7NonZeroIfEPflEEPllNS8_6detail34convert_binary_result_type_wrapperINS8_3SumESD_lEEEE10hipError_tPvRmT1_T2_T3_mT4_P12ihipStream_tbEUlT_E1_NS1_11comp_targetILNS1_3genE8ELNS1_11target_archE1030ELNS1_3gpuE2ELNS1_3repE0EEENS1_30default_config_static_selectorELNS0_4arch9wavefront6targetE1EEEvSM_
	.p2align	8
	.type	_ZN7rocprim17ROCPRIM_400000_NS6detail17trampoline_kernelINS0_14default_configENS1_22reduce_config_selectorIbEEZNS1_11reduce_implILb1ES3_N6hipcub16HIPCUB_304000_NS22TransformInputIteratorIb7NonZeroIfEPflEEPllNS8_6detail34convert_binary_result_type_wrapperINS8_3SumESD_lEEEE10hipError_tPvRmT1_T2_T3_mT4_P12ihipStream_tbEUlT_E1_NS1_11comp_targetILNS1_3genE8ELNS1_11target_archE1030ELNS1_3gpuE2ELNS1_3repE0EEENS1_30default_config_static_selectorELNS0_4arch9wavefront6targetE1EEEvSM_,@function
_ZN7rocprim17ROCPRIM_400000_NS6detail17trampoline_kernelINS0_14default_configENS1_22reduce_config_selectorIbEEZNS1_11reduce_implILb1ES3_N6hipcub16HIPCUB_304000_NS22TransformInputIteratorIb7NonZeroIfEPflEEPllNS8_6detail34convert_binary_result_type_wrapperINS8_3SumESD_lEEEE10hipError_tPvRmT1_T2_T3_mT4_P12ihipStream_tbEUlT_E1_NS1_11comp_targetILNS1_3genE8ELNS1_11target_archE1030ELNS1_3gpuE2ELNS1_3repE0EEENS1_30default_config_static_selectorELNS0_4arch9wavefront6targetE1EEEvSM_: ; @_ZN7rocprim17ROCPRIM_400000_NS6detail17trampoline_kernelINS0_14default_configENS1_22reduce_config_selectorIbEEZNS1_11reduce_implILb1ES3_N6hipcub16HIPCUB_304000_NS22TransformInputIteratorIb7NonZeroIfEPflEEPllNS8_6detail34convert_binary_result_type_wrapperINS8_3SumESD_lEEEE10hipError_tPvRmT1_T2_T3_mT4_P12ihipStream_tbEUlT_E1_NS1_11comp_targetILNS1_3genE8ELNS1_11target_archE1030ELNS1_3gpuE2ELNS1_3repE0EEENS1_30default_config_static_selectorELNS0_4arch9wavefront6targetE1EEEvSM_
; %bb.0:
	.section	.rodata,"a",@progbits
	.p2align	6, 0x0
	.amdhsa_kernel _ZN7rocprim17ROCPRIM_400000_NS6detail17trampoline_kernelINS0_14default_configENS1_22reduce_config_selectorIbEEZNS1_11reduce_implILb1ES3_N6hipcub16HIPCUB_304000_NS22TransformInputIteratorIb7NonZeroIfEPflEEPllNS8_6detail34convert_binary_result_type_wrapperINS8_3SumESD_lEEEE10hipError_tPvRmT1_T2_T3_mT4_P12ihipStream_tbEUlT_E1_NS1_11comp_targetILNS1_3genE8ELNS1_11target_archE1030ELNS1_3gpuE2ELNS1_3repE0EEENS1_30default_config_static_selectorELNS0_4arch9wavefront6targetE1EEEvSM_
		.amdhsa_group_segment_fixed_size 0
		.amdhsa_private_segment_fixed_size 0
		.amdhsa_kernarg_size 56
		.amdhsa_user_sgpr_count 6
		.amdhsa_user_sgpr_private_segment_buffer 1
		.amdhsa_user_sgpr_dispatch_ptr 0
		.amdhsa_user_sgpr_queue_ptr 0
		.amdhsa_user_sgpr_kernarg_segment_ptr 1
		.amdhsa_user_sgpr_dispatch_id 0
		.amdhsa_user_sgpr_flat_scratch_init 0
		.amdhsa_user_sgpr_private_segment_size 0
		.amdhsa_uses_dynamic_stack 0
		.amdhsa_system_sgpr_private_segment_wavefront_offset 0
		.amdhsa_system_sgpr_workgroup_id_x 1
		.amdhsa_system_sgpr_workgroup_id_y 0
		.amdhsa_system_sgpr_workgroup_id_z 0
		.amdhsa_system_sgpr_workgroup_info 0
		.amdhsa_system_vgpr_workitem_id 0
		.amdhsa_next_free_vgpr 1
		.amdhsa_next_free_sgpr 0
		.amdhsa_reserve_vcc 0
		.amdhsa_reserve_flat_scratch 0
		.amdhsa_float_round_mode_32 0
		.amdhsa_float_round_mode_16_64 0
		.amdhsa_float_denorm_mode_32 3
		.amdhsa_float_denorm_mode_16_64 3
		.amdhsa_dx10_clamp 1
		.amdhsa_ieee_mode 1
		.amdhsa_fp16_overflow 0
		.amdhsa_exception_fp_ieee_invalid_op 0
		.amdhsa_exception_fp_denorm_src 0
		.amdhsa_exception_fp_ieee_div_zero 0
		.amdhsa_exception_fp_ieee_overflow 0
		.amdhsa_exception_fp_ieee_underflow 0
		.amdhsa_exception_fp_ieee_inexact 0
		.amdhsa_exception_int_div_zero 0
	.end_amdhsa_kernel
	.section	.text._ZN7rocprim17ROCPRIM_400000_NS6detail17trampoline_kernelINS0_14default_configENS1_22reduce_config_selectorIbEEZNS1_11reduce_implILb1ES3_N6hipcub16HIPCUB_304000_NS22TransformInputIteratorIb7NonZeroIfEPflEEPllNS8_6detail34convert_binary_result_type_wrapperINS8_3SumESD_lEEEE10hipError_tPvRmT1_T2_T3_mT4_P12ihipStream_tbEUlT_E1_NS1_11comp_targetILNS1_3genE8ELNS1_11target_archE1030ELNS1_3gpuE2ELNS1_3repE0EEENS1_30default_config_static_selectorELNS0_4arch9wavefront6targetE1EEEvSM_,"axG",@progbits,_ZN7rocprim17ROCPRIM_400000_NS6detail17trampoline_kernelINS0_14default_configENS1_22reduce_config_selectorIbEEZNS1_11reduce_implILb1ES3_N6hipcub16HIPCUB_304000_NS22TransformInputIteratorIb7NonZeroIfEPflEEPllNS8_6detail34convert_binary_result_type_wrapperINS8_3SumESD_lEEEE10hipError_tPvRmT1_T2_T3_mT4_P12ihipStream_tbEUlT_E1_NS1_11comp_targetILNS1_3genE8ELNS1_11target_archE1030ELNS1_3gpuE2ELNS1_3repE0EEENS1_30default_config_static_selectorELNS0_4arch9wavefront6targetE1EEEvSM_,comdat
.Lfunc_end252:
	.size	_ZN7rocprim17ROCPRIM_400000_NS6detail17trampoline_kernelINS0_14default_configENS1_22reduce_config_selectorIbEEZNS1_11reduce_implILb1ES3_N6hipcub16HIPCUB_304000_NS22TransformInputIteratorIb7NonZeroIfEPflEEPllNS8_6detail34convert_binary_result_type_wrapperINS8_3SumESD_lEEEE10hipError_tPvRmT1_T2_T3_mT4_P12ihipStream_tbEUlT_E1_NS1_11comp_targetILNS1_3genE8ELNS1_11target_archE1030ELNS1_3gpuE2ELNS1_3repE0EEENS1_30default_config_static_selectorELNS0_4arch9wavefront6targetE1EEEvSM_, .Lfunc_end252-_ZN7rocprim17ROCPRIM_400000_NS6detail17trampoline_kernelINS0_14default_configENS1_22reduce_config_selectorIbEEZNS1_11reduce_implILb1ES3_N6hipcub16HIPCUB_304000_NS22TransformInputIteratorIb7NonZeroIfEPflEEPllNS8_6detail34convert_binary_result_type_wrapperINS8_3SumESD_lEEEE10hipError_tPvRmT1_T2_T3_mT4_P12ihipStream_tbEUlT_E1_NS1_11comp_targetILNS1_3genE8ELNS1_11target_archE1030ELNS1_3gpuE2ELNS1_3repE0EEENS1_30default_config_static_selectorELNS0_4arch9wavefront6targetE1EEEvSM_
                                        ; -- End function
	.set _ZN7rocprim17ROCPRIM_400000_NS6detail17trampoline_kernelINS0_14default_configENS1_22reduce_config_selectorIbEEZNS1_11reduce_implILb1ES3_N6hipcub16HIPCUB_304000_NS22TransformInputIteratorIb7NonZeroIfEPflEEPllNS8_6detail34convert_binary_result_type_wrapperINS8_3SumESD_lEEEE10hipError_tPvRmT1_T2_T3_mT4_P12ihipStream_tbEUlT_E1_NS1_11comp_targetILNS1_3genE8ELNS1_11target_archE1030ELNS1_3gpuE2ELNS1_3repE0EEENS1_30default_config_static_selectorELNS0_4arch9wavefront6targetE1EEEvSM_.num_vgpr, 0
	.set _ZN7rocprim17ROCPRIM_400000_NS6detail17trampoline_kernelINS0_14default_configENS1_22reduce_config_selectorIbEEZNS1_11reduce_implILb1ES3_N6hipcub16HIPCUB_304000_NS22TransformInputIteratorIb7NonZeroIfEPflEEPllNS8_6detail34convert_binary_result_type_wrapperINS8_3SumESD_lEEEE10hipError_tPvRmT1_T2_T3_mT4_P12ihipStream_tbEUlT_E1_NS1_11comp_targetILNS1_3genE8ELNS1_11target_archE1030ELNS1_3gpuE2ELNS1_3repE0EEENS1_30default_config_static_selectorELNS0_4arch9wavefront6targetE1EEEvSM_.num_agpr, 0
	.set _ZN7rocprim17ROCPRIM_400000_NS6detail17trampoline_kernelINS0_14default_configENS1_22reduce_config_selectorIbEEZNS1_11reduce_implILb1ES3_N6hipcub16HIPCUB_304000_NS22TransformInputIteratorIb7NonZeroIfEPflEEPllNS8_6detail34convert_binary_result_type_wrapperINS8_3SumESD_lEEEE10hipError_tPvRmT1_T2_T3_mT4_P12ihipStream_tbEUlT_E1_NS1_11comp_targetILNS1_3genE8ELNS1_11target_archE1030ELNS1_3gpuE2ELNS1_3repE0EEENS1_30default_config_static_selectorELNS0_4arch9wavefront6targetE1EEEvSM_.numbered_sgpr, 0
	.set _ZN7rocprim17ROCPRIM_400000_NS6detail17trampoline_kernelINS0_14default_configENS1_22reduce_config_selectorIbEEZNS1_11reduce_implILb1ES3_N6hipcub16HIPCUB_304000_NS22TransformInputIteratorIb7NonZeroIfEPflEEPllNS8_6detail34convert_binary_result_type_wrapperINS8_3SumESD_lEEEE10hipError_tPvRmT1_T2_T3_mT4_P12ihipStream_tbEUlT_E1_NS1_11comp_targetILNS1_3genE8ELNS1_11target_archE1030ELNS1_3gpuE2ELNS1_3repE0EEENS1_30default_config_static_selectorELNS0_4arch9wavefront6targetE1EEEvSM_.num_named_barrier, 0
	.set _ZN7rocprim17ROCPRIM_400000_NS6detail17trampoline_kernelINS0_14default_configENS1_22reduce_config_selectorIbEEZNS1_11reduce_implILb1ES3_N6hipcub16HIPCUB_304000_NS22TransformInputIteratorIb7NonZeroIfEPflEEPllNS8_6detail34convert_binary_result_type_wrapperINS8_3SumESD_lEEEE10hipError_tPvRmT1_T2_T3_mT4_P12ihipStream_tbEUlT_E1_NS1_11comp_targetILNS1_3genE8ELNS1_11target_archE1030ELNS1_3gpuE2ELNS1_3repE0EEENS1_30default_config_static_selectorELNS0_4arch9wavefront6targetE1EEEvSM_.private_seg_size, 0
	.set _ZN7rocprim17ROCPRIM_400000_NS6detail17trampoline_kernelINS0_14default_configENS1_22reduce_config_selectorIbEEZNS1_11reduce_implILb1ES3_N6hipcub16HIPCUB_304000_NS22TransformInputIteratorIb7NonZeroIfEPflEEPllNS8_6detail34convert_binary_result_type_wrapperINS8_3SumESD_lEEEE10hipError_tPvRmT1_T2_T3_mT4_P12ihipStream_tbEUlT_E1_NS1_11comp_targetILNS1_3genE8ELNS1_11target_archE1030ELNS1_3gpuE2ELNS1_3repE0EEENS1_30default_config_static_selectorELNS0_4arch9wavefront6targetE1EEEvSM_.uses_vcc, 0
	.set _ZN7rocprim17ROCPRIM_400000_NS6detail17trampoline_kernelINS0_14default_configENS1_22reduce_config_selectorIbEEZNS1_11reduce_implILb1ES3_N6hipcub16HIPCUB_304000_NS22TransformInputIteratorIb7NonZeroIfEPflEEPllNS8_6detail34convert_binary_result_type_wrapperINS8_3SumESD_lEEEE10hipError_tPvRmT1_T2_T3_mT4_P12ihipStream_tbEUlT_E1_NS1_11comp_targetILNS1_3genE8ELNS1_11target_archE1030ELNS1_3gpuE2ELNS1_3repE0EEENS1_30default_config_static_selectorELNS0_4arch9wavefront6targetE1EEEvSM_.uses_flat_scratch, 0
	.set _ZN7rocprim17ROCPRIM_400000_NS6detail17trampoline_kernelINS0_14default_configENS1_22reduce_config_selectorIbEEZNS1_11reduce_implILb1ES3_N6hipcub16HIPCUB_304000_NS22TransformInputIteratorIb7NonZeroIfEPflEEPllNS8_6detail34convert_binary_result_type_wrapperINS8_3SumESD_lEEEE10hipError_tPvRmT1_T2_T3_mT4_P12ihipStream_tbEUlT_E1_NS1_11comp_targetILNS1_3genE8ELNS1_11target_archE1030ELNS1_3gpuE2ELNS1_3repE0EEENS1_30default_config_static_selectorELNS0_4arch9wavefront6targetE1EEEvSM_.has_dyn_sized_stack, 0
	.set _ZN7rocprim17ROCPRIM_400000_NS6detail17trampoline_kernelINS0_14default_configENS1_22reduce_config_selectorIbEEZNS1_11reduce_implILb1ES3_N6hipcub16HIPCUB_304000_NS22TransformInputIteratorIb7NonZeroIfEPflEEPllNS8_6detail34convert_binary_result_type_wrapperINS8_3SumESD_lEEEE10hipError_tPvRmT1_T2_T3_mT4_P12ihipStream_tbEUlT_E1_NS1_11comp_targetILNS1_3genE8ELNS1_11target_archE1030ELNS1_3gpuE2ELNS1_3repE0EEENS1_30default_config_static_selectorELNS0_4arch9wavefront6targetE1EEEvSM_.has_recursion, 0
	.set _ZN7rocprim17ROCPRIM_400000_NS6detail17trampoline_kernelINS0_14default_configENS1_22reduce_config_selectorIbEEZNS1_11reduce_implILb1ES3_N6hipcub16HIPCUB_304000_NS22TransformInputIteratorIb7NonZeroIfEPflEEPllNS8_6detail34convert_binary_result_type_wrapperINS8_3SumESD_lEEEE10hipError_tPvRmT1_T2_T3_mT4_P12ihipStream_tbEUlT_E1_NS1_11comp_targetILNS1_3genE8ELNS1_11target_archE1030ELNS1_3gpuE2ELNS1_3repE0EEENS1_30default_config_static_selectorELNS0_4arch9wavefront6targetE1EEEvSM_.has_indirect_call, 0
	.section	.AMDGPU.csdata,"",@progbits
; Kernel info:
; codeLenInByte = 0
; TotalNumSgprs: 4
; NumVgprs: 0
; ScratchSize: 0
; MemoryBound: 0
; FloatMode: 240
; IeeeMode: 1
; LDSByteSize: 0 bytes/workgroup (compile time only)
; SGPRBlocks: 0
; VGPRBlocks: 0
; NumSGPRsForWavesPerEU: 4
; NumVGPRsForWavesPerEU: 1
; Occupancy: 10
; WaveLimiterHint : 0
; COMPUTE_PGM_RSRC2:SCRATCH_EN: 0
; COMPUTE_PGM_RSRC2:USER_SGPR: 6
; COMPUTE_PGM_RSRC2:TRAP_HANDLER: 0
; COMPUTE_PGM_RSRC2:TGID_X_EN: 1
; COMPUTE_PGM_RSRC2:TGID_Y_EN: 0
; COMPUTE_PGM_RSRC2:TGID_Z_EN: 0
; COMPUTE_PGM_RSRC2:TIDIG_COMP_CNT: 0
	.section	.text._ZN7rocprim17ROCPRIM_400000_NS6detail17trampoline_kernelINS0_14default_configENS1_25partition_config_selectorILNS1_17partition_subalgoE5ElNS0_10empty_typeEbEEZZNS1_14partition_implILS5_5ELb0ES3_mN6hipcub16HIPCUB_304000_NS21CountingInputIteratorIllEEPS6_NSA_22TransformInputIteratorIb7NonZeroIfEPflEENS0_5tupleIJPlS6_EEENSJ_IJSD_SD_EEES6_SK_JS6_EEE10hipError_tPvRmT3_T4_T5_T6_T7_T9_mT8_P12ihipStream_tbDpT10_ENKUlT_T0_E_clISt17integral_constantIbLb0EES16_EEDaS11_S12_EUlS11_E_NS1_11comp_targetILNS1_3genE0ELNS1_11target_archE4294967295ELNS1_3gpuE0ELNS1_3repE0EEENS1_30default_config_static_selectorELNS0_4arch9wavefront6targetE1EEEvT1_,"axG",@progbits,_ZN7rocprim17ROCPRIM_400000_NS6detail17trampoline_kernelINS0_14default_configENS1_25partition_config_selectorILNS1_17partition_subalgoE5ElNS0_10empty_typeEbEEZZNS1_14partition_implILS5_5ELb0ES3_mN6hipcub16HIPCUB_304000_NS21CountingInputIteratorIllEEPS6_NSA_22TransformInputIteratorIb7NonZeroIfEPflEENS0_5tupleIJPlS6_EEENSJ_IJSD_SD_EEES6_SK_JS6_EEE10hipError_tPvRmT3_T4_T5_T6_T7_T9_mT8_P12ihipStream_tbDpT10_ENKUlT_T0_E_clISt17integral_constantIbLb0EES16_EEDaS11_S12_EUlS11_E_NS1_11comp_targetILNS1_3genE0ELNS1_11target_archE4294967295ELNS1_3gpuE0ELNS1_3repE0EEENS1_30default_config_static_selectorELNS0_4arch9wavefront6targetE1EEEvT1_,comdat
	.protected	_ZN7rocprim17ROCPRIM_400000_NS6detail17trampoline_kernelINS0_14default_configENS1_25partition_config_selectorILNS1_17partition_subalgoE5ElNS0_10empty_typeEbEEZZNS1_14partition_implILS5_5ELb0ES3_mN6hipcub16HIPCUB_304000_NS21CountingInputIteratorIllEEPS6_NSA_22TransformInputIteratorIb7NonZeroIfEPflEENS0_5tupleIJPlS6_EEENSJ_IJSD_SD_EEES6_SK_JS6_EEE10hipError_tPvRmT3_T4_T5_T6_T7_T9_mT8_P12ihipStream_tbDpT10_ENKUlT_T0_E_clISt17integral_constantIbLb0EES16_EEDaS11_S12_EUlS11_E_NS1_11comp_targetILNS1_3genE0ELNS1_11target_archE4294967295ELNS1_3gpuE0ELNS1_3repE0EEENS1_30default_config_static_selectorELNS0_4arch9wavefront6targetE1EEEvT1_ ; -- Begin function _ZN7rocprim17ROCPRIM_400000_NS6detail17trampoline_kernelINS0_14default_configENS1_25partition_config_selectorILNS1_17partition_subalgoE5ElNS0_10empty_typeEbEEZZNS1_14partition_implILS5_5ELb0ES3_mN6hipcub16HIPCUB_304000_NS21CountingInputIteratorIllEEPS6_NSA_22TransformInputIteratorIb7NonZeroIfEPflEENS0_5tupleIJPlS6_EEENSJ_IJSD_SD_EEES6_SK_JS6_EEE10hipError_tPvRmT3_T4_T5_T6_T7_T9_mT8_P12ihipStream_tbDpT10_ENKUlT_T0_E_clISt17integral_constantIbLb0EES16_EEDaS11_S12_EUlS11_E_NS1_11comp_targetILNS1_3genE0ELNS1_11target_archE4294967295ELNS1_3gpuE0ELNS1_3repE0EEENS1_30default_config_static_selectorELNS0_4arch9wavefront6targetE1EEEvT1_
	.globl	_ZN7rocprim17ROCPRIM_400000_NS6detail17trampoline_kernelINS0_14default_configENS1_25partition_config_selectorILNS1_17partition_subalgoE5ElNS0_10empty_typeEbEEZZNS1_14partition_implILS5_5ELb0ES3_mN6hipcub16HIPCUB_304000_NS21CountingInputIteratorIllEEPS6_NSA_22TransformInputIteratorIb7NonZeroIfEPflEENS0_5tupleIJPlS6_EEENSJ_IJSD_SD_EEES6_SK_JS6_EEE10hipError_tPvRmT3_T4_T5_T6_T7_T9_mT8_P12ihipStream_tbDpT10_ENKUlT_T0_E_clISt17integral_constantIbLb0EES16_EEDaS11_S12_EUlS11_E_NS1_11comp_targetILNS1_3genE0ELNS1_11target_archE4294967295ELNS1_3gpuE0ELNS1_3repE0EEENS1_30default_config_static_selectorELNS0_4arch9wavefront6targetE1EEEvT1_
	.p2align	8
	.type	_ZN7rocprim17ROCPRIM_400000_NS6detail17trampoline_kernelINS0_14default_configENS1_25partition_config_selectorILNS1_17partition_subalgoE5ElNS0_10empty_typeEbEEZZNS1_14partition_implILS5_5ELb0ES3_mN6hipcub16HIPCUB_304000_NS21CountingInputIteratorIllEEPS6_NSA_22TransformInputIteratorIb7NonZeroIfEPflEENS0_5tupleIJPlS6_EEENSJ_IJSD_SD_EEES6_SK_JS6_EEE10hipError_tPvRmT3_T4_T5_T6_T7_T9_mT8_P12ihipStream_tbDpT10_ENKUlT_T0_E_clISt17integral_constantIbLb0EES16_EEDaS11_S12_EUlS11_E_NS1_11comp_targetILNS1_3genE0ELNS1_11target_archE4294967295ELNS1_3gpuE0ELNS1_3repE0EEENS1_30default_config_static_selectorELNS0_4arch9wavefront6targetE1EEEvT1_,@function
_ZN7rocprim17ROCPRIM_400000_NS6detail17trampoline_kernelINS0_14default_configENS1_25partition_config_selectorILNS1_17partition_subalgoE5ElNS0_10empty_typeEbEEZZNS1_14partition_implILS5_5ELb0ES3_mN6hipcub16HIPCUB_304000_NS21CountingInputIteratorIllEEPS6_NSA_22TransformInputIteratorIb7NonZeroIfEPflEENS0_5tupleIJPlS6_EEENSJ_IJSD_SD_EEES6_SK_JS6_EEE10hipError_tPvRmT3_T4_T5_T6_T7_T9_mT8_P12ihipStream_tbDpT10_ENKUlT_T0_E_clISt17integral_constantIbLb0EES16_EEDaS11_S12_EUlS11_E_NS1_11comp_targetILNS1_3genE0ELNS1_11target_archE4294967295ELNS1_3gpuE0ELNS1_3repE0EEENS1_30default_config_static_selectorELNS0_4arch9wavefront6targetE1EEEvT1_: ; @_ZN7rocprim17ROCPRIM_400000_NS6detail17trampoline_kernelINS0_14default_configENS1_25partition_config_selectorILNS1_17partition_subalgoE5ElNS0_10empty_typeEbEEZZNS1_14partition_implILS5_5ELb0ES3_mN6hipcub16HIPCUB_304000_NS21CountingInputIteratorIllEEPS6_NSA_22TransformInputIteratorIb7NonZeroIfEPflEENS0_5tupleIJPlS6_EEENSJ_IJSD_SD_EEES6_SK_JS6_EEE10hipError_tPvRmT3_T4_T5_T6_T7_T9_mT8_P12ihipStream_tbDpT10_ENKUlT_T0_E_clISt17integral_constantIbLb0EES16_EEDaS11_S12_EUlS11_E_NS1_11comp_targetILNS1_3genE0ELNS1_11target_archE4294967295ELNS1_3gpuE0ELNS1_3repE0EEENS1_30default_config_static_selectorELNS0_4arch9wavefront6targetE1EEEvT1_
; %bb.0:
	.section	.rodata,"a",@progbits
	.p2align	6, 0x0
	.amdhsa_kernel _ZN7rocprim17ROCPRIM_400000_NS6detail17trampoline_kernelINS0_14default_configENS1_25partition_config_selectorILNS1_17partition_subalgoE5ElNS0_10empty_typeEbEEZZNS1_14partition_implILS5_5ELb0ES3_mN6hipcub16HIPCUB_304000_NS21CountingInputIteratorIllEEPS6_NSA_22TransformInputIteratorIb7NonZeroIfEPflEENS0_5tupleIJPlS6_EEENSJ_IJSD_SD_EEES6_SK_JS6_EEE10hipError_tPvRmT3_T4_T5_T6_T7_T9_mT8_P12ihipStream_tbDpT10_ENKUlT_T0_E_clISt17integral_constantIbLb0EES16_EEDaS11_S12_EUlS11_E_NS1_11comp_targetILNS1_3genE0ELNS1_11target_archE4294967295ELNS1_3gpuE0ELNS1_3repE0EEENS1_30default_config_static_selectorELNS0_4arch9wavefront6targetE1EEEvT1_
		.amdhsa_group_segment_fixed_size 0
		.amdhsa_private_segment_fixed_size 0
		.amdhsa_kernarg_size 120
		.amdhsa_user_sgpr_count 6
		.amdhsa_user_sgpr_private_segment_buffer 1
		.amdhsa_user_sgpr_dispatch_ptr 0
		.amdhsa_user_sgpr_queue_ptr 0
		.amdhsa_user_sgpr_kernarg_segment_ptr 1
		.amdhsa_user_sgpr_dispatch_id 0
		.amdhsa_user_sgpr_flat_scratch_init 0
		.amdhsa_user_sgpr_private_segment_size 0
		.amdhsa_uses_dynamic_stack 0
		.amdhsa_system_sgpr_private_segment_wavefront_offset 0
		.amdhsa_system_sgpr_workgroup_id_x 1
		.amdhsa_system_sgpr_workgroup_id_y 0
		.amdhsa_system_sgpr_workgroup_id_z 0
		.amdhsa_system_sgpr_workgroup_info 0
		.amdhsa_system_vgpr_workitem_id 0
		.amdhsa_next_free_vgpr 1
		.amdhsa_next_free_sgpr 0
		.amdhsa_reserve_vcc 0
		.amdhsa_reserve_flat_scratch 0
		.amdhsa_float_round_mode_32 0
		.amdhsa_float_round_mode_16_64 0
		.amdhsa_float_denorm_mode_32 3
		.amdhsa_float_denorm_mode_16_64 3
		.amdhsa_dx10_clamp 1
		.amdhsa_ieee_mode 1
		.amdhsa_fp16_overflow 0
		.amdhsa_exception_fp_ieee_invalid_op 0
		.amdhsa_exception_fp_denorm_src 0
		.amdhsa_exception_fp_ieee_div_zero 0
		.amdhsa_exception_fp_ieee_overflow 0
		.amdhsa_exception_fp_ieee_underflow 0
		.amdhsa_exception_fp_ieee_inexact 0
		.amdhsa_exception_int_div_zero 0
	.end_amdhsa_kernel
	.section	.text._ZN7rocprim17ROCPRIM_400000_NS6detail17trampoline_kernelINS0_14default_configENS1_25partition_config_selectorILNS1_17partition_subalgoE5ElNS0_10empty_typeEbEEZZNS1_14partition_implILS5_5ELb0ES3_mN6hipcub16HIPCUB_304000_NS21CountingInputIteratorIllEEPS6_NSA_22TransformInputIteratorIb7NonZeroIfEPflEENS0_5tupleIJPlS6_EEENSJ_IJSD_SD_EEES6_SK_JS6_EEE10hipError_tPvRmT3_T4_T5_T6_T7_T9_mT8_P12ihipStream_tbDpT10_ENKUlT_T0_E_clISt17integral_constantIbLb0EES16_EEDaS11_S12_EUlS11_E_NS1_11comp_targetILNS1_3genE0ELNS1_11target_archE4294967295ELNS1_3gpuE0ELNS1_3repE0EEENS1_30default_config_static_selectorELNS0_4arch9wavefront6targetE1EEEvT1_,"axG",@progbits,_ZN7rocprim17ROCPRIM_400000_NS6detail17trampoline_kernelINS0_14default_configENS1_25partition_config_selectorILNS1_17partition_subalgoE5ElNS0_10empty_typeEbEEZZNS1_14partition_implILS5_5ELb0ES3_mN6hipcub16HIPCUB_304000_NS21CountingInputIteratorIllEEPS6_NSA_22TransformInputIteratorIb7NonZeroIfEPflEENS0_5tupleIJPlS6_EEENSJ_IJSD_SD_EEES6_SK_JS6_EEE10hipError_tPvRmT3_T4_T5_T6_T7_T9_mT8_P12ihipStream_tbDpT10_ENKUlT_T0_E_clISt17integral_constantIbLb0EES16_EEDaS11_S12_EUlS11_E_NS1_11comp_targetILNS1_3genE0ELNS1_11target_archE4294967295ELNS1_3gpuE0ELNS1_3repE0EEENS1_30default_config_static_selectorELNS0_4arch9wavefront6targetE1EEEvT1_,comdat
.Lfunc_end253:
	.size	_ZN7rocprim17ROCPRIM_400000_NS6detail17trampoline_kernelINS0_14default_configENS1_25partition_config_selectorILNS1_17partition_subalgoE5ElNS0_10empty_typeEbEEZZNS1_14partition_implILS5_5ELb0ES3_mN6hipcub16HIPCUB_304000_NS21CountingInputIteratorIllEEPS6_NSA_22TransformInputIteratorIb7NonZeroIfEPflEENS0_5tupleIJPlS6_EEENSJ_IJSD_SD_EEES6_SK_JS6_EEE10hipError_tPvRmT3_T4_T5_T6_T7_T9_mT8_P12ihipStream_tbDpT10_ENKUlT_T0_E_clISt17integral_constantIbLb0EES16_EEDaS11_S12_EUlS11_E_NS1_11comp_targetILNS1_3genE0ELNS1_11target_archE4294967295ELNS1_3gpuE0ELNS1_3repE0EEENS1_30default_config_static_selectorELNS0_4arch9wavefront6targetE1EEEvT1_, .Lfunc_end253-_ZN7rocprim17ROCPRIM_400000_NS6detail17trampoline_kernelINS0_14default_configENS1_25partition_config_selectorILNS1_17partition_subalgoE5ElNS0_10empty_typeEbEEZZNS1_14partition_implILS5_5ELb0ES3_mN6hipcub16HIPCUB_304000_NS21CountingInputIteratorIllEEPS6_NSA_22TransformInputIteratorIb7NonZeroIfEPflEENS0_5tupleIJPlS6_EEENSJ_IJSD_SD_EEES6_SK_JS6_EEE10hipError_tPvRmT3_T4_T5_T6_T7_T9_mT8_P12ihipStream_tbDpT10_ENKUlT_T0_E_clISt17integral_constantIbLb0EES16_EEDaS11_S12_EUlS11_E_NS1_11comp_targetILNS1_3genE0ELNS1_11target_archE4294967295ELNS1_3gpuE0ELNS1_3repE0EEENS1_30default_config_static_selectorELNS0_4arch9wavefront6targetE1EEEvT1_
                                        ; -- End function
	.set _ZN7rocprim17ROCPRIM_400000_NS6detail17trampoline_kernelINS0_14default_configENS1_25partition_config_selectorILNS1_17partition_subalgoE5ElNS0_10empty_typeEbEEZZNS1_14partition_implILS5_5ELb0ES3_mN6hipcub16HIPCUB_304000_NS21CountingInputIteratorIllEEPS6_NSA_22TransformInputIteratorIb7NonZeroIfEPflEENS0_5tupleIJPlS6_EEENSJ_IJSD_SD_EEES6_SK_JS6_EEE10hipError_tPvRmT3_T4_T5_T6_T7_T9_mT8_P12ihipStream_tbDpT10_ENKUlT_T0_E_clISt17integral_constantIbLb0EES16_EEDaS11_S12_EUlS11_E_NS1_11comp_targetILNS1_3genE0ELNS1_11target_archE4294967295ELNS1_3gpuE0ELNS1_3repE0EEENS1_30default_config_static_selectorELNS0_4arch9wavefront6targetE1EEEvT1_.num_vgpr, 0
	.set _ZN7rocprim17ROCPRIM_400000_NS6detail17trampoline_kernelINS0_14default_configENS1_25partition_config_selectorILNS1_17partition_subalgoE5ElNS0_10empty_typeEbEEZZNS1_14partition_implILS5_5ELb0ES3_mN6hipcub16HIPCUB_304000_NS21CountingInputIteratorIllEEPS6_NSA_22TransformInputIteratorIb7NonZeroIfEPflEENS0_5tupleIJPlS6_EEENSJ_IJSD_SD_EEES6_SK_JS6_EEE10hipError_tPvRmT3_T4_T5_T6_T7_T9_mT8_P12ihipStream_tbDpT10_ENKUlT_T0_E_clISt17integral_constantIbLb0EES16_EEDaS11_S12_EUlS11_E_NS1_11comp_targetILNS1_3genE0ELNS1_11target_archE4294967295ELNS1_3gpuE0ELNS1_3repE0EEENS1_30default_config_static_selectorELNS0_4arch9wavefront6targetE1EEEvT1_.num_agpr, 0
	.set _ZN7rocprim17ROCPRIM_400000_NS6detail17trampoline_kernelINS0_14default_configENS1_25partition_config_selectorILNS1_17partition_subalgoE5ElNS0_10empty_typeEbEEZZNS1_14partition_implILS5_5ELb0ES3_mN6hipcub16HIPCUB_304000_NS21CountingInputIteratorIllEEPS6_NSA_22TransformInputIteratorIb7NonZeroIfEPflEENS0_5tupleIJPlS6_EEENSJ_IJSD_SD_EEES6_SK_JS6_EEE10hipError_tPvRmT3_T4_T5_T6_T7_T9_mT8_P12ihipStream_tbDpT10_ENKUlT_T0_E_clISt17integral_constantIbLb0EES16_EEDaS11_S12_EUlS11_E_NS1_11comp_targetILNS1_3genE0ELNS1_11target_archE4294967295ELNS1_3gpuE0ELNS1_3repE0EEENS1_30default_config_static_selectorELNS0_4arch9wavefront6targetE1EEEvT1_.numbered_sgpr, 0
	.set _ZN7rocprim17ROCPRIM_400000_NS6detail17trampoline_kernelINS0_14default_configENS1_25partition_config_selectorILNS1_17partition_subalgoE5ElNS0_10empty_typeEbEEZZNS1_14partition_implILS5_5ELb0ES3_mN6hipcub16HIPCUB_304000_NS21CountingInputIteratorIllEEPS6_NSA_22TransformInputIteratorIb7NonZeroIfEPflEENS0_5tupleIJPlS6_EEENSJ_IJSD_SD_EEES6_SK_JS6_EEE10hipError_tPvRmT3_T4_T5_T6_T7_T9_mT8_P12ihipStream_tbDpT10_ENKUlT_T0_E_clISt17integral_constantIbLb0EES16_EEDaS11_S12_EUlS11_E_NS1_11comp_targetILNS1_3genE0ELNS1_11target_archE4294967295ELNS1_3gpuE0ELNS1_3repE0EEENS1_30default_config_static_selectorELNS0_4arch9wavefront6targetE1EEEvT1_.num_named_barrier, 0
	.set _ZN7rocprim17ROCPRIM_400000_NS6detail17trampoline_kernelINS0_14default_configENS1_25partition_config_selectorILNS1_17partition_subalgoE5ElNS0_10empty_typeEbEEZZNS1_14partition_implILS5_5ELb0ES3_mN6hipcub16HIPCUB_304000_NS21CountingInputIteratorIllEEPS6_NSA_22TransformInputIteratorIb7NonZeroIfEPflEENS0_5tupleIJPlS6_EEENSJ_IJSD_SD_EEES6_SK_JS6_EEE10hipError_tPvRmT3_T4_T5_T6_T7_T9_mT8_P12ihipStream_tbDpT10_ENKUlT_T0_E_clISt17integral_constantIbLb0EES16_EEDaS11_S12_EUlS11_E_NS1_11comp_targetILNS1_3genE0ELNS1_11target_archE4294967295ELNS1_3gpuE0ELNS1_3repE0EEENS1_30default_config_static_selectorELNS0_4arch9wavefront6targetE1EEEvT1_.private_seg_size, 0
	.set _ZN7rocprim17ROCPRIM_400000_NS6detail17trampoline_kernelINS0_14default_configENS1_25partition_config_selectorILNS1_17partition_subalgoE5ElNS0_10empty_typeEbEEZZNS1_14partition_implILS5_5ELb0ES3_mN6hipcub16HIPCUB_304000_NS21CountingInputIteratorIllEEPS6_NSA_22TransformInputIteratorIb7NonZeroIfEPflEENS0_5tupleIJPlS6_EEENSJ_IJSD_SD_EEES6_SK_JS6_EEE10hipError_tPvRmT3_T4_T5_T6_T7_T9_mT8_P12ihipStream_tbDpT10_ENKUlT_T0_E_clISt17integral_constantIbLb0EES16_EEDaS11_S12_EUlS11_E_NS1_11comp_targetILNS1_3genE0ELNS1_11target_archE4294967295ELNS1_3gpuE0ELNS1_3repE0EEENS1_30default_config_static_selectorELNS0_4arch9wavefront6targetE1EEEvT1_.uses_vcc, 0
	.set _ZN7rocprim17ROCPRIM_400000_NS6detail17trampoline_kernelINS0_14default_configENS1_25partition_config_selectorILNS1_17partition_subalgoE5ElNS0_10empty_typeEbEEZZNS1_14partition_implILS5_5ELb0ES3_mN6hipcub16HIPCUB_304000_NS21CountingInputIteratorIllEEPS6_NSA_22TransformInputIteratorIb7NonZeroIfEPflEENS0_5tupleIJPlS6_EEENSJ_IJSD_SD_EEES6_SK_JS6_EEE10hipError_tPvRmT3_T4_T5_T6_T7_T9_mT8_P12ihipStream_tbDpT10_ENKUlT_T0_E_clISt17integral_constantIbLb0EES16_EEDaS11_S12_EUlS11_E_NS1_11comp_targetILNS1_3genE0ELNS1_11target_archE4294967295ELNS1_3gpuE0ELNS1_3repE0EEENS1_30default_config_static_selectorELNS0_4arch9wavefront6targetE1EEEvT1_.uses_flat_scratch, 0
	.set _ZN7rocprim17ROCPRIM_400000_NS6detail17trampoline_kernelINS0_14default_configENS1_25partition_config_selectorILNS1_17partition_subalgoE5ElNS0_10empty_typeEbEEZZNS1_14partition_implILS5_5ELb0ES3_mN6hipcub16HIPCUB_304000_NS21CountingInputIteratorIllEEPS6_NSA_22TransformInputIteratorIb7NonZeroIfEPflEENS0_5tupleIJPlS6_EEENSJ_IJSD_SD_EEES6_SK_JS6_EEE10hipError_tPvRmT3_T4_T5_T6_T7_T9_mT8_P12ihipStream_tbDpT10_ENKUlT_T0_E_clISt17integral_constantIbLb0EES16_EEDaS11_S12_EUlS11_E_NS1_11comp_targetILNS1_3genE0ELNS1_11target_archE4294967295ELNS1_3gpuE0ELNS1_3repE0EEENS1_30default_config_static_selectorELNS0_4arch9wavefront6targetE1EEEvT1_.has_dyn_sized_stack, 0
	.set _ZN7rocprim17ROCPRIM_400000_NS6detail17trampoline_kernelINS0_14default_configENS1_25partition_config_selectorILNS1_17partition_subalgoE5ElNS0_10empty_typeEbEEZZNS1_14partition_implILS5_5ELb0ES3_mN6hipcub16HIPCUB_304000_NS21CountingInputIteratorIllEEPS6_NSA_22TransformInputIteratorIb7NonZeroIfEPflEENS0_5tupleIJPlS6_EEENSJ_IJSD_SD_EEES6_SK_JS6_EEE10hipError_tPvRmT3_T4_T5_T6_T7_T9_mT8_P12ihipStream_tbDpT10_ENKUlT_T0_E_clISt17integral_constantIbLb0EES16_EEDaS11_S12_EUlS11_E_NS1_11comp_targetILNS1_3genE0ELNS1_11target_archE4294967295ELNS1_3gpuE0ELNS1_3repE0EEENS1_30default_config_static_selectorELNS0_4arch9wavefront6targetE1EEEvT1_.has_recursion, 0
	.set _ZN7rocprim17ROCPRIM_400000_NS6detail17trampoline_kernelINS0_14default_configENS1_25partition_config_selectorILNS1_17partition_subalgoE5ElNS0_10empty_typeEbEEZZNS1_14partition_implILS5_5ELb0ES3_mN6hipcub16HIPCUB_304000_NS21CountingInputIteratorIllEEPS6_NSA_22TransformInputIteratorIb7NonZeroIfEPflEENS0_5tupleIJPlS6_EEENSJ_IJSD_SD_EEES6_SK_JS6_EEE10hipError_tPvRmT3_T4_T5_T6_T7_T9_mT8_P12ihipStream_tbDpT10_ENKUlT_T0_E_clISt17integral_constantIbLb0EES16_EEDaS11_S12_EUlS11_E_NS1_11comp_targetILNS1_3genE0ELNS1_11target_archE4294967295ELNS1_3gpuE0ELNS1_3repE0EEENS1_30default_config_static_selectorELNS0_4arch9wavefront6targetE1EEEvT1_.has_indirect_call, 0
	.section	.AMDGPU.csdata,"",@progbits
; Kernel info:
; codeLenInByte = 0
; TotalNumSgprs: 4
; NumVgprs: 0
; ScratchSize: 0
; MemoryBound: 0
; FloatMode: 240
; IeeeMode: 1
; LDSByteSize: 0 bytes/workgroup (compile time only)
; SGPRBlocks: 0
; VGPRBlocks: 0
; NumSGPRsForWavesPerEU: 4
; NumVGPRsForWavesPerEU: 1
; Occupancy: 10
; WaveLimiterHint : 0
; COMPUTE_PGM_RSRC2:SCRATCH_EN: 0
; COMPUTE_PGM_RSRC2:USER_SGPR: 6
; COMPUTE_PGM_RSRC2:TRAP_HANDLER: 0
; COMPUTE_PGM_RSRC2:TGID_X_EN: 1
; COMPUTE_PGM_RSRC2:TGID_Y_EN: 0
; COMPUTE_PGM_RSRC2:TGID_Z_EN: 0
; COMPUTE_PGM_RSRC2:TIDIG_COMP_CNT: 0
	.section	.text._ZN7rocprim17ROCPRIM_400000_NS6detail17trampoline_kernelINS0_14default_configENS1_25partition_config_selectorILNS1_17partition_subalgoE5ElNS0_10empty_typeEbEEZZNS1_14partition_implILS5_5ELb0ES3_mN6hipcub16HIPCUB_304000_NS21CountingInputIteratorIllEEPS6_NSA_22TransformInputIteratorIb7NonZeroIfEPflEENS0_5tupleIJPlS6_EEENSJ_IJSD_SD_EEES6_SK_JS6_EEE10hipError_tPvRmT3_T4_T5_T6_T7_T9_mT8_P12ihipStream_tbDpT10_ENKUlT_T0_E_clISt17integral_constantIbLb0EES16_EEDaS11_S12_EUlS11_E_NS1_11comp_targetILNS1_3genE5ELNS1_11target_archE942ELNS1_3gpuE9ELNS1_3repE0EEENS1_30default_config_static_selectorELNS0_4arch9wavefront6targetE1EEEvT1_,"axG",@progbits,_ZN7rocprim17ROCPRIM_400000_NS6detail17trampoline_kernelINS0_14default_configENS1_25partition_config_selectorILNS1_17partition_subalgoE5ElNS0_10empty_typeEbEEZZNS1_14partition_implILS5_5ELb0ES3_mN6hipcub16HIPCUB_304000_NS21CountingInputIteratorIllEEPS6_NSA_22TransformInputIteratorIb7NonZeroIfEPflEENS0_5tupleIJPlS6_EEENSJ_IJSD_SD_EEES6_SK_JS6_EEE10hipError_tPvRmT3_T4_T5_T6_T7_T9_mT8_P12ihipStream_tbDpT10_ENKUlT_T0_E_clISt17integral_constantIbLb0EES16_EEDaS11_S12_EUlS11_E_NS1_11comp_targetILNS1_3genE5ELNS1_11target_archE942ELNS1_3gpuE9ELNS1_3repE0EEENS1_30default_config_static_selectorELNS0_4arch9wavefront6targetE1EEEvT1_,comdat
	.protected	_ZN7rocprim17ROCPRIM_400000_NS6detail17trampoline_kernelINS0_14default_configENS1_25partition_config_selectorILNS1_17partition_subalgoE5ElNS0_10empty_typeEbEEZZNS1_14partition_implILS5_5ELb0ES3_mN6hipcub16HIPCUB_304000_NS21CountingInputIteratorIllEEPS6_NSA_22TransformInputIteratorIb7NonZeroIfEPflEENS0_5tupleIJPlS6_EEENSJ_IJSD_SD_EEES6_SK_JS6_EEE10hipError_tPvRmT3_T4_T5_T6_T7_T9_mT8_P12ihipStream_tbDpT10_ENKUlT_T0_E_clISt17integral_constantIbLb0EES16_EEDaS11_S12_EUlS11_E_NS1_11comp_targetILNS1_3genE5ELNS1_11target_archE942ELNS1_3gpuE9ELNS1_3repE0EEENS1_30default_config_static_selectorELNS0_4arch9wavefront6targetE1EEEvT1_ ; -- Begin function _ZN7rocprim17ROCPRIM_400000_NS6detail17trampoline_kernelINS0_14default_configENS1_25partition_config_selectorILNS1_17partition_subalgoE5ElNS0_10empty_typeEbEEZZNS1_14partition_implILS5_5ELb0ES3_mN6hipcub16HIPCUB_304000_NS21CountingInputIteratorIllEEPS6_NSA_22TransformInputIteratorIb7NonZeroIfEPflEENS0_5tupleIJPlS6_EEENSJ_IJSD_SD_EEES6_SK_JS6_EEE10hipError_tPvRmT3_T4_T5_T6_T7_T9_mT8_P12ihipStream_tbDpT10_ENKUlT_T0_E_clISt17integral_constantIbLb0EES16_EEDaS11_S12_EUlS11_E_NS1_11comp_targetILNS1_3genE5ELNS1_11target_archE942ELNS1_3gpuE9ELNS1_3repE0EEENS1_30default_config_static_selectorELNS0_4arch9wavefront6targetE1EEEvT1_
	.globl	_ZN7rocprim17ROCPRIM_400000_NS6detail17trampoline_kernelINS0_14default_configENS1_25partition_config_selectorILNS1_17partition_subalgoE5ElNS0_10empty_typeEbEEZZNS1_14partition_implILS5_5ELb0ES3_mN6hipcub16HIPCUB_304000_NS21CountingInputIteratorIllEEPS6_NSA_22TransformInputIteratorIb7NonZeroIfEPflEENS0_5tupleIJPlS6_EEENSJ_IJSD_SD_EEES6_SK_JS6_EEE10hipError_tPvRmT3_T4_T5_T6_T7_T9_mT8_P12ihipStream_tbDpT10_ENKUlT_T0_E_clISt17integral_constantIbLb0EES16_EEDaS11_S12_EUlS11_E_NS1_11comp_targetILNS1_3genE5ELNS1_11target_archE942ELNS1_3gpuE9ELNS1_3repE0EEENS1_30default_config_static_selectorELNS0_4arch9wavefront6targetE1EEEvT1_
	.p2align	8
	.type	_ZN7rocprim17ROCPRIM_400000_NS6detail17trampoline_kernelINS0_14default_configENS1_25partition_config_selectorILNS1_17partition_subalgoE5ElNS0_10empty_typeEbEEZZNS1_14partition_implILS5_5ELb0ES3_mN6hipcub16HIPCUB_304000_NS21CountingInputIteratorIllEEPS6_NSA_22TransformInputIteratorIb7NonZeroIfEPflEENS0_5tupleIJPlS6_EEENSJ_IJSD_SD_EEES6_SK_JS6_EEE10hipError_tPvRmT3_T4_T5_T6_T7_T9_mT8_P12ihipStream_tbDpT10_ENKUlT_T0_E_clISt17integral_constantIbLb0EES16_EEDaS11_S12_EUlS11_E_NS1_11comp_targetILNS1_3genE5ELNS1_11target_archE942ELNS1_3gpuE9ELNS1_3repE0EEENS1_30default_config_static_selectorELNS0_4arch9wavefront6targetE1EEEvT1_,@function
_ZN7rocprim17ROCPRIM_400000_NS6detail17trampoline_kernelINS0_14default_configENS1_25partition_config_selectorILNS1_17partition_subalgoE5ElNS0_10empty_typeEbEEZZNS1_14partition_implILS5_5ELb0ES3_mN6hipcub16HIPCUB_304000_NS21CountingInputIteratorIllEEPS6_NSA_22TransformInputIteratorIb7NonZeroIfEPflEENS0_5tupleIJPlS6_EEENSJ_IJSD_SD_EEES6_SK_JS6_EEE10hipError_tPvRmT3_T4_T5_T6_T7_T9_mT8_P12ihipStream_tbDpT10_ENKUlT_T0_E_clISt17integral_constantIbLb0EES16_EEDaS11_S12_EUlS11_E_NS1_11comp_targetILNS1_3genE5ELNS1_11target_archE942ELNS1_3gpuE9ELNS1_3repE0EEENS1_30default_config_static_selectorELNS0_4arch9wavefront6targetE1EEEvT1_: ; @_ZN7rocprim17ROCPRIM_400000_NS6detail17trampoline_kernelINS0_14default_configENS1_25partition_config_selectorILNS1_17partition_subalgoE5ElNS0_10empty_typeEbEEZZNS1_14partition_implILS5_5ELb0ES3_mN6hipcub16HIPCUB_304000_NS21CountingInputIteratorIllEEPS6_NSA_22TransformInputIteratorIb7NonZeroIfEPflEENS0_5tupleIJPlS6_EEENSJ_IJSD_SD_EEES6_SK_JS6_EEE10hipError_tPvRmT3_T4_T5_T6_T7_T9_mT8_P12ihipStream_tbDpT10_ENKUlT_T0_E_clISt17integral_constantIbLb0EES16_EEDaS11_S12_EUlS11_E_NS1_11comp_targetILNS1_3genE5ELNS1_11target_archE942ELNS1_3gpuE9ELNS1_3repE0EEENS1_30default_config_static_selectorELNS0_4arch9wavefront6targetE1EEEvT1_
; %bb.0:
	.section	.rodata,"a",@progbits
	.p2align	6, 0x0
	.amdhsa_kernel _ZN7rocprim17ROCPRIM_400000_NS6detail17trampoline_kernelINS0_14default_configENS1_25partition_config_selectorILNS1_17partition_subalgoE5ElNS0_10empty_typeEbEEZZNS1_14partition_implILS5_5ELb0ES3_mN6hipcub16HIPCUB_304000_NS21CountingInputIteratorIllEEPS6_NSA_22TransformInputIteratorIb7NonZeroIfEPflEENS0_5tupleIJPlS6_EEENSJ_IJSD_SD_EEES6_SK_JS6_EEE10hipError_tPvRmT3_T4_T5_T6_T7_T9_mT8_P12ihipStream_tbDpT10_ENKUlT_T0_E_clISt17integral_constantIbLb0EES16_EEDaS11_S12_EUlS11_E_NS1_11comp_targetILNS1_3genE5ELNS1_11target_archE942ELNS1_3gpuE9ELNS1_3repE0EEENS1_30default_config_static_selectorELNS0_4arch9wavefront6targetE1EEEvT1_
		.amdhsa_group_segment_fixed_size 0
		.amdhsa_private_segment_fixed_size 0
		.amdhsa_kernarg_size 120
		.amdhsa_user_sgpr_count 6
		.amdhsa_user_sgpr_private_segment_buffer 1
		.amdhsa_user_sgpr_dispatch_ptr 0
		.amdhsa_user_sgpr_queue_ptr 0
		.amdhsa_user_sgpr_kernarg_segment_ptr 1
		.amdhsa_user_sgpr_dispatch_id 0
		.amdhsa_user_sgpr_flat_scratch_init 0
		.amdhsa_user_sgpr_private_segment_size 0
		.amdhsa_uses_dynamic_stack 0
		.amdhsa_system_sgpr_private_segment_wavefront_offset 0
		.amdhsa_system_sgpr_workgroup_id_x 1
		.amdhsa_system_sgpr_workgroup_id_y 0
		.amdhsa_system_sgpr_workgroup_id_z 0
		.amdhsa_system_sgpr_workgroup_info 0
		.amdhsa_system_vgpr_workitem_id 0
		.amdhsa_next_free_vgpr 1
		.amdhsa_next_free_sgpr 0
		.amdhsa_reserve_vcc 0
		.amdhsa_reserve_flat_scratch 0
		.amdhsa_float_round_mode_32 0
		.amdhsa_float_round_mode_16_64 0
		.amdhsa_float_denorm_mode_32 3
		.amdhsa_float_denorm_mode_16_64 3
		.amdhsa_dx10_clamp 1
		.amdhsa_ieee_mode 1
		.amdhsa_fp16_overflow 0
		.amdhsa_exception_fp_ieee_invalid_op 0
		.amdhsa_exception_fp_denorm_src 0
		.amdhsa_exception_fp_ieee_div_zero 0
		.amdhsa_exception_fp_ieee_overflow 0
		.amdhsa_exception_fp_ieee_underflow 0
		.amdhsa_exception_fp_ieee_inexact 0
		.amdhsa_exception_int_div_zero 0
	.end_amdhsa_kernel
	.section	.text._ZN7rocprim17ROCPRIM_400000_NS6detail17trampoline_kernelINS0_14default_configENS1_25partition_config_selectorILNS1_17partition_subalgoE5ElNS0_10empty_typeEbEEZZNS1_14partition_implILS5_5ELb0ES3_mN6hipcub16HIPCUB_304000_NS21CountingInputIteratorIllEEPS6_NSA_22TransformInputIteratorIb7NonZeroIfEPflEENS0_5tupleIJPlS6_EEENSJ_IJSD_SD_EEES6_SK_JS6_EEE10hipError_tPvRmT3_T4_T5_T6_T7_T9_mT8_P12ihipStream_tbDpT10_ENKUlT_T0_E_clISt17integral_constantIbLb0EES16_EEDaS11_S12_EUlS11_E_NS1_11comp_targetILNS1_3genE5ELNS1_11target_archE942ELNS1_3gpuE9ELNS1_3repE0EEENS1_30default_config_static_selectorELNS0_4arch9wavefront6targetE1EEEvT1_,"axG",@progbits,_ZN7rocprim17ROCPRIM_400000_NS6detail17trampoline_kernelINS0_14default_configENS1_25partition_config_selectorILNS1_17partition_subalgoE5ElNS0_10empty_typeEbEEZZNS1_14partition_implILS5_5ELb0ES3_mN6hipcub16HIPCUB_304000_NS21CountingInputIteratorIllEEPS6_NSA_22TransformInputIteratorIb7NonZeroIfEPflEENS0_5tupleIJPlS6_EEENSJ_IJSD_SD_EEES6_SK_JS6_EEE10hipError_tPvRmT3_T4_T5_T6_T7_T9_mT8_P12ihipStream_tbDpT10_ENKUlT_T0_E_clISt17integral_constantIbLb0EES16_EEDaS11_S12_EUlS11_E_NS1_11comp_targetILNS1_3genE5ELNS1_11target_archE942ELNS1_3gpuE9ELNS1_3repE0EEENS1_30default_config_static_selectorELNS0_4arch9wavefront6targetE1EEEvT1_,comdat
.Lfunc_end254:
	.size	_ZN7rocprim17ROCPRIM_400000_NS6detail17trampoline_kernelINS0_14default_configENS1_25partition_config_selectorILNS1_17partition_subalgoE5ElNS0_10empty_typeEbEEZZNS1_14partition_implILS5_5ELb0ES3_mN6hipcub16HIPCUB_304000_NS21CountingInputIteratorIllEEPS6_NSA_22TransformInputIteratorIb7NonZeroIfEPflEENS0_5tupleIJPlS6_EEENSJ_IJSD_SD_EEES6_SK_JS6_EEE10hipError_tPvRmT3_T4_T5_T6_T7_T9_mT8_P12ihipStream_tbDpT10_ENKUlT_T0_E_clISt17integral_constantIbLb0EES16_EEDaS11_S12_EUlS11_E_NS1_11comp_targetILNS1_3genE5ELNS1_11target_archE942ELNS1_3gpuE9ELNS1_3repE0EEENS1_30default_config_static_selectorELNS0_4arch9wavefront6targetE1EEEvT1_, .Lfunc_end254-_ZN7rocprim17ROCPRIM_400000_NS6detail17trampoline_kernelINS0_14default_configENS1_25partition_config_selectorILNS1_17partition_subalgoE5ElNS0_10empty_typeEbEEZZNS1_14partition_implILS5_5ELb0ES3_mN6hipcub16HIPCUB_304000_NS21CountingInputIteratorIllEEPS6_NSA_22TransformInputIteratorIb7NonZeroIfEPflEENS0_5tupleIJPlS6_EEENSJ_IJSD_SD_EEES6_SK_JS6_EEE10hipError_tPvRmT3_T4_T5_T6_T7_T9_mT8_P12ihipStream_tbDpT10_ENKUlT_T0_E_clISt17integral_constantIbLb0EES16_EEDaS11_S12_EUlS11_E_NS1_11comp_targetILNS1_3genE5ELNS1_11target_archE942ELNS1_3gpuE9ELNS1_3repE0EEENS1_30default_config_static_selectorELNS0_4arch9wavefront6targetE1EEEvT1_
                                        ; -- End function
	.set _ZN7rocprim17ROCPRIM_400000_NS6detail17trampoline_kernelINS0_14default_configENS1_25partition_config_selectorILNS1_17partition_subalgoE5ElNS0_10empty_typeEbEEZZNS1_14partition_implILS5_5ELb0ES3_mN6hipcub16HIPCUB_304000_NS21CountingInputIteratorIllEEPS6_NSA_22TransformInputIteratorIb7NonZeroIfEPflEENS0_5tupleIJPlS6_EEENSJ_IJSD_SD_EEES6_SK_JS6_EEE10hipError_tPvRmT3_T4_T5_T6_T7_T9_mT8_P12ihipStream_tbDpT10_ENKUlT_T0_E_clISt17integral_constantIbLb0EES16_EEDaS11_S12_EUlS11_E_NS1_11comp_targetILNS1_3genE5ELNS1_11target_archE942ELNS1_3gpuE9ELNS1_3repE0EEENS1_30default_config_static_selectorELNS0_4arch9wavefront6targetE1EEEvT1_.num_vgpr, 0
	.set _ZN7rocprim17ROCPRIM_400000_NS6detail17trampoline_kernelINS0_14default_configENS1_25partition_config_selectorILNS1_17partition_subalgoE5ElNS0_10empty_typeEbEEZZNS1_14partition_implILS5_5ELb0ES3_mN6hipcub16HIPCUB_304000_NS21CountingInputIteratorIllEEPS6_NSA_22TransformInputIteratorIb7NonZeroIfEPflEENS0_5tupleIJPlS6_EEENSJ_IJSD_SD_EEES6_SK_JS6_EEE10hipError_tPvRmT3_T4_T5_T6_T7_T9_mT8_P12ihipStream_tbDpT10_ENKUlT_T0_E_clISt17integral_constantIbLb0EES16_EEDaS11_S12_EUlS11_E_NS1_11comp_targetILNS1_3genE5ELNS1_11target_archE942ELNS1_3gpuE9ELNS1_3repE0EEENS1_30default_config_static_selectorELNS0_4arch9wavefront6targetE1EEEvT1_.num_agpr, 0
	.set _ZN7rocprim17ROCPRIM_400000_NS6detail17trampoline_kernelINS0_14default_configENS1_25partition_config_selectorILNS1_17partition_subalgoE5ElNS0_10empty_typeEbEEZZNS1_14partition_implILS5_5ELb0ES3_mN6hipcub16HIPCUB_304000_NS21CountingInputIteratorIllEEPS6_NSA_22TransformInputIteratorIb7NonZeroIfEPflEENS0_5tupleIJPlS6_EEENSJ_IJSD_SD_EEES6_SK_JS6_EEE10hipError_tPvRmT3_T4_T5_T6_T7_T9_mT8_P12ihipStream_tbDpT10_ENKUlT_T0_E_clISt17integral_constantIbLb0EES16_EEDaS11_S12_EUlS11_E_NS1_11comp_targetILNS1_3genE5ELNS1_11target_archE942ELNS1_3gpuE9ELNS1_3repE0EEENS1_30default_config_static_selectorELNS0_4arch9wavefront6targetE1EEEvT1_.numbered_sgpr, 0
	.set _ZN7rocprim17ROCPRIM_400000_NS6detail17trampoline_kernelINS0_14default_configENS1_25partition_config_selectorILNS1_17partition_subalgoE5ElNS0_10empty_typeEbEEZZNS1_14partition_implILS5_5ELb0ES3_mN6hipcub16HIPCUB_304000_NS21CountingInputIteratorIllEEPS6_NSA_22TransformInputIteratorIb7NonZeroIfEPflEENS0_5tupleIJPlS6_EEENSJ_IJSD_SD_EEES6_SK_JS6_EEE10hipError_tPvRmT3_T4_T5_T6_T7_T9_mT8_P12ihipStream_tbDpT10_ENKUlT_T0_E_clISt17integral_constantIbLb0EES16_EEDaS11_S12_EUlS11_E_NS1_11comp_targetILNS1_3genE5ELNS1_11target_archE942ELNS1_3gpuE9ELNS1_3repE0EEENS1_30default_config_static_selectorELNS0_4arch9wavefront6targetE1EEEvT1_.num_named_barrier, 0
	.set _ZN7rocprim17ROCPRIM_400000_NS6detail17trampoline_kernelINS0_14default_configENS1_25partition_config_selectorILNS1_17partition_subalgoE5ElNS0_10empty_typeEbEEZZNS1_14partition_implILS5_5ELb0ES3_mN6hipcub16HIPCUB_304000_NS21CountingInputIteratorIllEEPS6_NSA_22TransformInputIteratorIb7NonZeroIfEPflEENS0_5tupleIJPlS6_EEENSJ_IJSD_SD_EEES6_SK_JS6_EEE10hipError_tPvRmT3_T4_T5_T6_T7_T9_mT8_P12ihipStream_tbDpT10_ENKUlT_T0_E_clISt17integral_constantIbLb0EES16_EEDaS11_S12_EUlS11_E_NS1_11comp_targetILNS1_3genE5ELNS1_11target_archE942ELNS1_3gpuE9ELNS1_3repE0EEENS1_30default_config_static_selectorELNS0_4arch9wavefront6targetE1EEEvT1_.private_seg_size, 0
	.set _ZN7rocprim17ROCPRIM_400000_NS6detail17trampoline_kernelINS0_14default_configENS1_25partition_config_selectorILNS1_17partition_subalgoE5ElNS0_10empty_typeEbEEZZNS1_14partition_implILS5_5ELb0ES3_mN6hipcub16HIPCUB_304000_NS21CountingInputIteratorIllEEPS6_NSA_22TransformInputIteratorIb7NonZeroIfEPflEENS0_5tupleIJPlS6_EEENSJ_IJSD_SD_EEES6_SK_JS6_EEE10hipError_tPvRmT3_T4_T5_T6_T7_T9_mT8_P12ihipStream_tbDpT10_ENKUlT_T0_E_clISt17integral_constantIbLb0EES16_EEDaS11_S12_EUlS11_E_NS1_11comp_targetILNS1_3genE5ELNS1_11target_archE942ELNS1_3gpuE9ELNS1_3repE0EEENS1_30default_config_static_selectorELNS0_4arch9wavefront6targetE1EEEvT1_.uses_vcc, 0
	.set _ZN7rocprim17ROCPRIM_400000_NS6detail17trampoline_kernelINS0_14default_configENS1_25partition_config_selectorILNS1_17partition_subalgoE5ElNS0_10empty_typeEbEEZZNS1_14partition_implILS5_5ELb0ES3_mN6hipcub16HIPCUB_304000_NS21CountingInputIteratorIllEEPS6_NSA_22TransformInputIteratorIb7NonZeroIfEPflEENS0_5tupleIJPlS6_EEENSJ_IJSD_SD_EEES6_SK_JS6_EEE10hipError_tPvRmT3_T4_T5_T6_T7_T9_mT8_P12ihipStream_tbDpT10_ENKUlT_T0_E_clISt17integral_constantIbLb0EES16_EEDaS11_S12_EUlS11_E_NS1_11comp_targetILNS1_3genE5ELNS1_11target_archE942ELNS1_3gpuE9ELNS1_3repE0EEENS1_30default_config_static_selectorELNS0_4arch9wavefront6targetE1EEEvT1_.uses_flat_scratch, 0
	.set _ZN7rocprim17ROCPRIM_400000_NS6detail17trampoline_kernelINS0_14default_configENS1_25partition_config_selectorILNS1_17partition_subalgoE5ElNS0_10empty_typeEbEEZZNS1_14partition_implILS5_5ELb0ES3_mN6hipcub16HIPCUB_304000_NS21CountingInputIteratorIllEEPS6_NSA_22TransformInputIteratorIb7NonZeroIfEPflEENS0_5tupleIJPlS6_EEENSJ_IJSD_SD_EEES6_SK_JS6_EEE10hipError_tPvRmT3_T4_T5_T6_T7_T9_mT8_P12ihipStream_tbDpT10_ENKUlT_T0_E_clISt17integral_constantIbLb0EES16_EEDaS11_S12_EUlS11_E_NS1_11comp_targetILNS1_3genE5ELNS1_11target_archE942ELNS1_3gpuE9ELNS1_3repE0EEENS1_30default_config_static_selectorELNS0_4arch9wavefront6targetE1EEEvT1_.has_dyn_sized_stack, 0
	.set _ZN7rocprim17ROCPRIM_400000_NS6detail17trampoline_kernelINS0_14default_configENS1_25partition_config_selectorILNS1_17partition_subalgoE5ElNS0_10empty_typeEbEEZZNS1_14partition_implILS5_5ELb0ES3_mN6hipcub16HIPCUB_304000_NS21CountingInputIteratorIllEEPS6_NSA_22TransformInputIteratorIb7NonZeroIfEPflEENS0_5tupleIJPlS6_EEENSJ_IJSD_SD_EEES6_SK_JS6_EEE10hipError_tPvRmT3_T4_T5_T6_T7_T9_mT8_P12ihipStream_tbDpT10_ENKUlT_T0_E_clISt17integral_constantIbLb0EES16_EEDaS11_S12_EUlS11_E_NS1_11comp_targetILNS1_3genE5ELNS1_11target_archE942ELNS1_3gpuE9ELNS1_3repE0EEENS1_30default_config_static_selectorELNS0_4arch9wavefront6targetE1EEEvT1_.has_recursion, 0
	.set _ZN7rocprim17ROCPRIM_400000_NS6detail17trampoline_kernelINS0_14default_configENS1_25partition_config_selectorILNS1_17partition_subalgoE5ElNS0_10empty_typeEbEEZZNS1_14partition_implILS5_5ELb0ES3_mN6hipcub16HIPCUB_304000_NS21CountingInputIteratorIllEEPS6_NSA_22TransformInputIteratorIb7NonZeroIfEPflEENS0_5tupleIJPlS6_EEENSJ_IJSD_SD_EEES6_SK_JS6_EEE10hipError_tPvRmT3_T4_T5_T6_T7_T9_mT8_P12ihipStream_tbDpT10_ENKUlT_T0_E_clISt17integral_constantIbLb0EES16_EEDaS11_S12_EUlS11_E_NS1_11comp_targetILNS1_3genE5ELNS1_11target_archE942ELNS1_3gpuE9ELNS1_3repE0EEENS1_30default_config_static_selectorELNS0_4arch9wavefront6targetE1EEEvT1_.has_indirect_call, 0
	.section	.AMDGPU.csdata,"",@progbits
; Kernel info:
; codeLenInByte = 0
; TotalNumSgprs: 4
; NumVgprs: 0
; ScratchSize: 0
; MemoryBound: 0
; FloatMode: 240
; IeeeMode: 1
; LDSByteSize: 0 bytes/workgroup (compile time only)
; SGPRBlocks: 0
; VGPRBlocks: 0
; NumSGPRsForWavesPerEU: 4
; NumVGPRsForWavesPerEU: 1
; Occupancy: 10
; WaveLimiterHint : 0
; COMPUTE_PGM_RSRC2:SCRATCH_EN: 0
; COMPUTE_PGM_RSRC2:USER_SGPR: 6
; COMPUTE_PGM_RSRC2:TRAP_HANDLER: 0
; COMPUTE_PGM_RSRC2:TGID_X_EN: 1
; COMPUTE_PGM_RSRC2:TGID_Y_EN: 0
; COMPUTE_PGM_RSRC2:TGID_Z_EN: 0
; COMPUTE_PGM_RSRC2:TIDIG_COMP_CNT: 0
	.section	.text._ZN7rocprim17ROCPRIM_400000_NS6detail17trampoline_kernelINS0_14default_configENS1_25partition_config_selectorILNS1_17partition_subalgoE5ElNS0_10empty_typeEbEEZZNS1_14partition_implILS5_5ELb0ES3_mN6hipcub16HIPCUB_304000_NS21CountingInputIteratorIllEEPS6_NSA_22TransformInputIteratorIb7NonZeroIfEPflEENS0_5tupleIJPlS6_EEENSJ_IJSD_SD_EEES6_SK_JS6_EEE10hipError_tPvRmT3_T4_T5_T6_T7_T9_mT8_P12ihipStream_tbDpT10_ENKUlT_T0_E_clISt17integral_constantIbLb0EES16_EEDaS11_S12_EUlS11_E_NS1_11comp_targetILNS1_3genE4ELNS1_11target_archE910ELNS1_3gpuE8ELNS1_3repE0EEENS1_30default_config_static_selectorELNS0_4arch9wavefront6targetE1EEEvT1_,"axG",@progbits,_ZN7rocprim17ROCPRIM_400000_NS6detail17trampoline_kernelINS0_14default_configENS1_25partition_config_selectorILNS1_17partition_subalgoE5ElNS0_10empty_typeEbEEZZNS1_14partition_implILS5_5ELb0ES3_mN6hipcub16HIPCUB_304000_NS21CountingInputIteratorIllEEPS6_NSA_22TransformInputIteratorIb7NonZeroIfEPflEENS0_5tupleIJPlS6_EEENSJ_IJSD_SD_EEES6_SK_JS6_EEE10hipError_tPvRmT3_T4_T5_T6_T7_T9_mT8_P12ihipStream_tbDpT10_ENKUlT_T0_E_clISt17integral_constantIbLb0EES16_EEDaS11_S12_EUlS11_E_NS1_11comp_targetILNS1_3genE4ELNS1_11target_archE910ELNS1_3gpuE8ELNS1_3repE0EEENS1_30default_config_static_selectorELNS0_4arch9wavefront6targetE1EEEvT1_,comdat
	.protected	_ZN7rocprim17ROCPRIM_400000_NS6detail17trampoline_kernelINS0_14default_configENS1_25partition_config_selectorILNS1_17partition_subalgoE5ElNS0_10empty_typeEbEEZZNS1_14partition_implILS5_5ELb0ES3_mN6hipcub16HIPCUB_304000_NS21CountingInputIteratorIllEEPS6_NSA_22TransformInputIteratorIb7NonZeroIfEPflEENS0_5tupleIJPlS6_EEENSJ_IJSD_SD_EEES6_SK_JS6_EEE10hipError_tPvRmT3_T4_T5_T6_T7_T9_mT8_P12ihipStream_tbDpT10_ENKUlT_T0_E_clISt17integral_constantIbLb0EES16_EEDaS11_S12_EUlS11_E_NS1_11comp_targetILNS1_3genE4ELNS1_11target_archE910ELNS1_3gpuE8ELNS1_3repE0EEENS1_30default_config_static_selectorELNS0_4arch9wavefront6targetE1EEEvT1_ ; -- Begin function _ZN7rocprim17ROCPRIM_400000_NS6detail17trampoline_kernelINS0_14default_configENS1_25partition_config_selectorILNS1_17partition_subalgoE5ElNS0_10empty_typeEbEEZZNS1_14partition_implILS5_5ELb0ES3_mN6hipcub16HIPCUB_304000_NS21CountingInputIteratorIllEEPS6_NSA_22TransformInputIteratorIb7NonZeroIfEPflEENS0_5tupleIJPlS6_EEENSJ_IJSD_SD_EEES6_SK_JS6_EEE10hipError_tPvRmT3_T4_T5_T6_T7_T9_mT8_P12ihipStream_tbDpT10_ENKUlT_T0_E_clISt17integral_constantIbLb0EES16_EEDaS11_S12_EUlS11_E_NS1_11comp_targetILNS1_3genE4ELNS1_11target_archE910ELNS1_3gpuE8ELNS1_3repE0EEENS1_30default_config_static_selectorELNS0_4arch9wavefront6targetE1EEEvT1_
	.globl	_ZN7rocprim17ROCPRIM_400000_NS6detail17trampoline_kernelINS0_14default_configENS1_25partition_config_selectorILNS1_17partition_subalgoE5ElNS0_10empty_typeEbEEZZNS1_14partition_implILS5_5ELb0ES3_mN6hipcub16HIPCUB_304000_NS21CountingInputIteratorIllEEPS6_NSA_22TransformInputIteratorIb7NonZeroIfEPflEENS0_5tupleIJPlS6_EEENSJ_IJSD_SD_EEES6_SK_JS6_EEE10hipError_tPvRmT3_T4_T5_T6_T7_T9_mT8_P12ihipStream_tbDpT10_ENKUlT_T0_E_clISt17integral_constantIbLb0EES16_EEDaS11_S12_EUlS11_E_NS1_11comp_targetILNS1_3genE4ELNS1_11target_archE910ELNS1_3gpuE8ELNS1_3repE0EEENS1_30default_config_static_selectorELNS0_4arch9wavefront6targetE1EEEvT1_
	.p2align	8
	.type	_ZN7rocprim17ROCPRIM_400000_NS6detail17trampoline_kernelINS0_14default_configENS1_25partition_config_selectorILNS1_17partition_subalgoE5ElNS0_10empty_typeEbEEZZNS1_14partition_implILS5_5ELb0ES3_mN6hipcub16HIPCUB_304000_NS21CountingInputIteratorIllEEPS6_NSA_22TransformInputIteratorIb7NonZeroIfEPflEENS0_5tupleIJPlS6_EEENSJ_IJSD_SD_EEES6_SK_JS6_EEE10hipError_tPvRmT3_T4_T5_T6_T7_T9_mT8_P12ihipStream_tbDpT10_ENKUlT_T0_E_clISt17integral_constantIbLb0EES16_EEDaS11_S12_EUlS11_E_NS1_11comp_targetILNS1_3genE4ELNS1_11target_archE910ELNS1_3gpuE8ELNS1_3repE0EEENS1_30default_config_static_selectorELNS0_4arch9wavefront6targetE1EEEvT1_,@function
_ZN7rocprim17ROCPRIM_400000_NS6detail17trampoline_kernelINS0_14default_configENS1_25partition_config_selectorILNS1_17partition_subalgoE5ElNS0_10empty_typeEbEEZZNS1_14partition_implILS5_5ELb0ES3_mN6hipcub16HIPCUB_304000_NS21CountingInputIteratorIllEEPS6_NSA_22TransformInputIteratorIb7NonZeroIfEPflEENS0_5tupleIJPlS6_EEENSJ_IJSD_SD_EEES6_SK_JS6_EEE10hipError_tPvRmT3_T4_T5_T6_T7_T9_mT8_P12ihipStream_tbDpT10_ENKUlT_T0_E_clISt17integral_constantIbLb0EES16_EEDaS11_S12_EUlS11_E_NS1_11comp_targetILNS1_3genE4ELNS1_11target_archE910ELNS1_3gpuE8ELNS1_3repE0EEENS1_30default_config_static_selectorELNS0_4arch9wavefront6targetE1EEEvT1_: ; @_ZN7rocprim17ROCPRIM_400000_NS6detail17trampoline_kernelINS0_14default_configENS1_25partition_config_selectorILNS1_17partition_subalgoE5ElNS0_10empty_typeEbEEZZNS1_14partition_implILS5_5ELb0ES3_mN6hipcub16HIPCUB_304000_NS21CountingInputIteratorIllEEPS6_NSA_22TransformInputIteratorIb7NonZeroIfEPflEENS0_5tupleIJPlS6_EEENSJ_IJSD_SD_EEES6_SK_JS6_EEE10hipError_tPvRmT3_T4_T5_T6_T7_T9_mT8_P12ihipStream_tbDpT10_ENKUlT_T0_E_clISt17integral_constantIbLb0EES16_EEDaS11_S12_EUlS11_E_NS1_11comp_targetILNS1_3genE4ELNS1_11target_archE910ELNS1_3gpuE8ELNS1_3repE0EEENS1_30default_config_static_selectorELNS0_4arch9wavefront6targetE1EEEvT1_
; %bb.0:
	.section	.rodata,"a",@progbits
	.p2align	6, 0x0
	.amdhsa_kernel _ZN7rocprim17ROCPRIM_400000_NS6detail17trampoline_kernelINS0_14default_configENS1_25partition_config_selectorILNS1_17partition_subalgoE5ElNS0_10empty_typeEbEEZZNS1_14partition_implILS5_5ELb0ES3_mN6hipcub16HIPCUB_304000_NS21CountingInputIteratorIllEEPS6_NSA_22TransformInputIteratorIb7NonZeroIfEPflEENS0_5tupleIJPlS6_EEENSJ_IJSD_SD_EEES6_SK_JS6_EEE10hipError_tPvRmT3_T4_T5_T6_T7_T9_mT8_P12ihipStream_tbDpT10_ENKUlT_T0_E_clISt17integral_constantIbLb0EES16_EEDaS11_S12_EUlS11_E_NS1_11comp_targetILNS1_3genE4ELNS1_11target_archE910ELNS1_3gpuE8ELNS1_3repE0EEENS1_30default_config_static_selectorELNS0_4arch9wavefront6targetE1EEEvT1_
		.amdhsa_group_segment_fixed_size 0
		.amdhsa_private_segment_fixed_size 0
		.amdhsa_kernarg_size 120
		.amdhsa_user_sgpr_count 6
		.amdhsa_user_sgpr_private_segment_buffer 1
		.amdhsa_user_sgpr_dispatch_ptr 0
		.amdhsa_user_sgpr_queue_ptr 0
		.amdhsa_user_sgpr_kernarg_segment_ptr 1
		.amdhsa_user_sgpr_dispatch_id 0
		.amdhsa_user_sgpr_flat_scratch_init 0
		.amdhsa_user_sgpr_private_segment_size 0
		.amdhsa_uses_dynamic_stack 0
		.amdhsa_system_sgpr_private_segment_wavefront_offset 0
		.amdhsa_system_sgpr_workgroup_id_x 1
		.amdhsa_system_sgpr_workgroup_id_y 0
		.amdhsa_system_sgpr_workgroup_id_z 0
		.amdhsa_system_sgpr_workgroup_info 0
		.amdhsa_system_vgpr_workitem_id 0
		.amdhsa_next_free_vgpr 1
		.amdhsa_next_free_sgpr 0
		.amdhsa_reserve_vcc 0
		.amdhsa_reserve_flat_scratch 0
		.amdhsa_float_round_mode_32 0
		.amdhsa_float_round_mode_16_64 0
		.amdhsa_float_denorm_mode_32 3
		.amdhsa_float_denorm_mode_16_64 3
		.amdhsa_dx10_clamp 1
		.amdhsa_ieee_mode 1
		.amdhsa_fp16_overflow 0
		.amdhsa_exception_fp_ieee_invalid_op 0
		.amdhsa_exception_fp_denorm_src 0
		.amdhsa_exception_fp_ieee_div_zero 0
		.amdhsa_exception_fp_ieee_overflow 0
		.amdhsa_exception_fp_ieee_underflow 0
		.amdhsa_exception_fp_ieee_inexact 0
		.amdhsa_exception_int_div_zero 0
	.end_amdhsa_kernel
	.section	.text._ZN7rocprim17ROCPRIM_400000_NS6detail17trampoline_kernelINS0_14default_configENS1_25partition_config_selectorILNS1_17partition_subalgoE5ElNS0_10empty_typeEbEEZZNS1_14partition_implILS5_5ELb0ES3_mN6hipcub16HIPCUB_304000_NS21CountingInputIteratorIllEEPS6_NSA_22TransformInputIteratorIb7NonZeroIfEPflEENS0_5tupleIJPlS6_EEENSJ_IJSD_SD_EEES6_SK_JS6_EEE10hipError_tPvRmT3_T4_T5_T6_T7_T9_mT8_P12ihipStream_tbDpT10_ENKUlT_T0_E_clISt17integral_constantIbLb0EES16_EEDaS11_S12_EUlS11_E_NS1_11comp_targetILNS1_3genE4ELNS1_11target_archE910ELNS1_3gpuE8ELNS1_3repE0EEENS1_30default_config_static_selectorELNS0_4arch9wavefront6targetE1EEEvT1_,"axG",@progbits,_ZN7rocprim17ROCPRIM_400000_NS6detail17trampoline_kernelINS0_14default_configENS1_25partition_config_selectorILNS1_17partition_subalgoE5ElNS0_10empty_typeEbEEZZNS1_14partition_implILS5_5ELb0ES3_mN6hipcub16HIPCUB_304000_NS21CountingInputIteratorIllEEPS6_NSA_22TransformInputIteratorIb7NonZeroIfEPflEENS0_5tupleIJPlS6_EEENSJ_IJSD_SD_EEES6_SK_JS6_EEE10hipError_tPvRmT3_T4_T5_T6_T7_T9_mT8_P12ihipStream_tbDpT10_ENKUlT_T0_E_clISt17integral_constantIbLb0EES16_EEDaS11_S12_EUlS11_E_NS1_11comp_targetILNS1_3genE4ELNS1_11target_archE910ELNS1_3gpuE8ELNS1_3repE0EEENS1_30default_config_static_selectorELNS0_4arch9wavefront6targetE1EEEvT1_,comdat
.Lfunc_end255:
	.size	_ZN7rocprim17ROCPRIM_400000_NS6detail17trampoline_kernelINS0_14default_configENS1_25partition_config_selectorILNS1_17partition_subalgoE5ElNS0_10empty_typeEbEEZZNS1_14partition_implILS5_5ELb0ES3_mN6hipcub16HIPCUB_304000_NS21CountingInputIteratorIllEEPS6_NSA_22TransformInputIteratorIb7NonZeroIfEPflEENS0_5tupleIJPlS6_EEENSJ_IJSD_SD_EEES6_SK_JS6_EEE10hipError_tPvRmT3_T4_T5_T6_T7_T9_mT8_P12ihipStream_tbDpT10_ENKUlT_T0_E_clISt17integral_constantIbLb0EES16_EEDaS11_S12_EUlS11_E_NS1_11comp_targetILNS1_3genE4ELNS1_11target_archE910ELNS1_3gpuE8ELNS1_3repE0EEENS1_30default_config_static_selectorELNS0_4arch9wavefront6targetE1EEEvT1_, .Lfunc_end255-_ZN7rocprim17ROCPRIM_400000_NS6detail17trampoline_kernelINS0_14default_configENS1_25partition_config_selectorILNS1_17partition_subalgoE5ElNS0_10empty_typeEbEEZZNS1_14partition_implILS5_5ELb0ES3_mN6hipcub16HIPCUB_304000_NS21CountingInputIteratorIllEEPS6_NSA_22TransformInputIteratorIb7NonZeroIfEPflEENS0_5tupleIJPlS6_EEENSJ_IJSD_SD_EEES6_SK_JS6_EEE10hipError_tPvRmT3_T4_T5_T6_T7_T9_mT8_P12ihipStream_tbDpT10_ENKUlT_T0_E_clISt17integral_constantIbLb0EES16_EEDaS11_S12_EUlS11_E_NS1_11comp_targetILNS1_3genE4ELNS1_11target_archE910ELNS1_3gpuE8ELNS1_3repE0EEENS1_30default_config_static_selectorELNS0_4arch9wavefront6targetE1EEEvT1_
                                        ; -- End function
	.set _ZN7rocprim17ROCPRIM_400000_NS6detail17trampoline_kernelINS0_14default_configENS1_25partition_config_selectorILNS1_17partition_subalgoE5ElNS0_10empty_typeEbEEZZNS1_14partition_implILS5_5ELb0ES3_mN6hipcub16HIPCUB_304000_NS21CountingInputIteratorIllEEPS6_NSA_22TransformInputIteratorIb7NonZeroIfEPflEENS0_5tupleIJPlS6_EEENSJ_IJSD_SD_EEES6_SK_JS6_EEE10hipError_tPvRmT3_T4_T5_T6_T7_T9_mT8_P12ihipStream_tbDpT10_ENKUlT_T0_E_clISt17integral_constantIbLb0EES16_EEDaS11_S12_EUlS11_E_NS1_11comp_targetILNS1_3genE4ELNS1_11target_archE910ELNS1_3gpuE8ELNS1_3repE0EEENS1_30default_config_static_selectorELNS0_4arch9wavefront6targetE1EEEvT1_.num_vgpr, 0
	.set _ZN7rocprim17ROCPRIM_400000_NS6detail17trampoline_kernelINS0_14default_configENS1_25partition_config_selectorILNS1_17partition_subalgoE5ElNS0_10empty_typeEbEEZZNS1_14partition_implILS5_5ELb0ES3_mN6hipcub16HIPCUB_304000_NS21CountingInputIteratorIllEEPS6_NSA_22TransformInputIteratorIb7NonZeroIfEPflEENS0_5tupleIJPlS6_EEENSJ_IJSD_SD_EEES6_SK_JS6_EEE10hipError_tPvRmT3_T4_T5_T6_T7_T9_mT8_P12ihipStream_tbDpT10_ENKUlT_T0_E_clISt17integral_constantIbLb0EES16_EEDaS11_S12_EUlS11_E_NS1_11comp_targetILNS1_3genE4ELNS1_11target_archE910ELNS1_3gpuE8ELNS1_3repE0EEENS1_30default_config_static_selectorELNS0_4arch9wavefront6targetE1EEEvT1_.num_agpr, 0
	.set _ZN7rocprim17ROCPRIM_400000_NS6detail17trampoline_kernelINS0_14default_configENS1_25partition_config_selectorILNS1_17partition_subalgoE5ElNS0_10empty_typeEbEEZZNS1_14partition_implILS5_5ELb0ES3_mN6hipcub16HIPCUB_304000_NS21CountingInputIteratorIllEEPS6_NSA_22TransformInputIteratorIb7NonZeroIfEPflEENS0_5tupleIJPlS6_EEENSJ_IJSD_SD_EEES6_SK_JS6_EEE10hipError_tPvRmT3_T4_T5_T6_T7_T9_mT8_P12ihipStream_tbDpT10_ENKUlT_T0_E_clISt17integral_constantIbLb0EES16_EEDaS11_S12_EUlS11_E_NS1_11comp_targetILNS1_3genE4ELNS1_11target_archE910ELNS1_3gpuE8ELNS1_3repE0EEENS1_30default_config_static_selectorELNS0_4arch9wavefront6targetE1EEEvT1_.numbered_sgpr, 0
	.set _ZN7rocprim17ROCPRIM_400000_NS6detail17trampoline_kernelINS0_14default_configENS1_25partition_config_selectorILNS1_17partition_subalgoE5ElNS0_10empty_typeEbEEZZNS1_14partition_implILS5_5ELb0ES3_mN6hipcub16HIPCUB_304000_NS21CountingInputIteratorIllEEPS6_NSA_22TransformInputIteratorIb7NonZeroIfEPflEENS0_5tupleIJPlS6_EEENSJ_IJSD_SD_EEES6_SK_JS6_EEE10hipError_tPvRmT3_T4_T5_T6_T7_T9_mT8_P12ihipStream_tbDpT10_ENKUlT_T0_E_clISt17integral_constantIbLb0EES16_EEDaS11_S12_EUlS11_E_NS1_11comp_targetILNS1_3genE4ELNS1_11target_archE910ELNS1_3gpuE8ELNS1_3repE0EEENS1_30default_config_static_selectorELNS0_4arch9wavefront6targetE1EEEvT1_.num_named_barrier, 0
	.set _ZN7rocprim17ROCPRIM_400000_NS6detail17trampoline_kernelINS0_14default_configENS1_25partition_config_selectorILNS1_17partition_subalgoE5ElNS0_10empty_typeEbEEZZNS1_14partition_implILS5_5ELb0ES3_mN6hipcub16HIPCUB_304000_NS21CountingInputIteratorIllEEPS6_NSA_22TransformInputIteratorIb7NonZeroIfEPflEENS0_5tupleIJPlS6_EEENSJ_IJSD_SD_EEES6_SK_JS6_EEE10hipError_tPvRmT3_T4_T5_T6_T7_T9_mT8_P12ihipStream_tbDpT10_ENKUlT_T0_E_clISt17integral_constantIbLb0EES16_EEDaS11_S12_EUlS11_E_NS1_11comp_targetILNS1_3genE4ELNS1_11target_archE910ELNS1_3gpuE8ELNS1_3repE0EEENS1_30default_config_static_selectorELNS0_4arch9wavefront6targetE1EEEvT1_.private_seg_size, 0
	.set _ZN7rocprim17ROCPRIM_400000_NS6detail17trampoline_kernelINS0_14default_configENS1_25partition_config_selectorILNS1_17partition_subalgoE5ElNS0_10empty_typeEbEEZZNS1_14partition_implILS5_5ELb0ES3_mN6hipcub16HIPCUB_304000_NS21CountingInputIteratorIllEEPS6_NSA_22TransformInputIteratorIb7NonZeroIfEPflEENS0_5tupleIJPlS6_EEENSJ_IJSD_SD_EEES6_SK_JS6_EEE10hipError_tPvRmT3_T4_T5_T6_T7_T9_mT8_P12ihipStream_tbDpT10_ENKUlT_T0_E_clISt17integral_constantIbLb0EES16_EEDaS11_S12_EUlS11_E_NS1_11comp_targetILNS1_3genE4ELNS1_11target_archE910ELNS1_3gpuE8ELNS1_3repE0EEENS1_30default_config_static_selectorELNS0_4arch9wavefront6targetE1EEEvT1_.uses_vcc, 0
	.set _ZN7rocprim17ROCPRIM_400000_NS6detail17trampoline_kernelINS0_14default_configENS1_25partition_config_selectorILNS1_17partition_subalgoE5ElNS0_10empty_typeEbEEZZNS1_14partition_implILS5_5ELb0ES3_mN6hipcub16HIPCUB_304000_NS21CountingInputIteratorIllEEPS6_NSA_22TransformInputIteratorIb7NonZeroIfEPflEENS0_5tupleIJPlS6_EEENSJ_IJSD_SD_EEES6_SK_JS6_EEE10hipError_tPvRmT3_T4_T5_T6_T7_T9_mT8_P12ihipStream_tbDpT10_ENKUlT_T0_E_clISt17integral_constantIbLb0EES16_EEDaS11_S12_EUlS11_E_NS1_11comp_targetILNS1_3genE4ELNS1_11target_archE910ELNS1_3gpuE8ELNS1_3repE0EEENS1_30default_config_static_selectorELNS0_4arch9wavefront6targetE1EEEvT1_.uses_flat_scratch, 0
	.set _ZN7rocprim17ROCPRIM_400000_NS6detail17trampoline_kernelINS0_14default_configENS1_25partition_config_selectorILNS1_17partition_subalgoE5ElNS0_10empty_typeEbEEZZNS1_14partition_implILS5_5ELb0ES3_mN6hipcub16HIPCUB_304000_NS21CountingInputIteratorIllEEPS6_NSA_22TransformInputIteratorIb7NonZeroIfEPflEENS0_5tupleIJPlS6_EEENSJ_IJSD_SD_EEES6_SK_JS6_EEE10hipError_tPvRmT3_T4_T5_T6_T7_T9_mT8_P12ihipStream_tbDpT10_ENKUlT_T0_E_clISt17integral_constantIbLb0EES16_EEDaS11_S12_EUlS11_E_NS1_11comp_targetILNS1_3genE4ELNS1_11target_archE910ELNS1_3gpuE8ELNS1_3repE0EEENS1_30default_config_static_selectorELNS0_4arch9wavefront6targetE1EEEvT1_.has_dyn_sized_stack, 0
	.set _ZN7rocprim17ROCPRIM_400000_NS6detail17trampoline_kernelINS0_14default_configENS1_25partition_config_selectorILNS1_17partition_subalgoE5ElNS0_10empty_typeEbEEZZNS1_14partition_implILS5_5ELb0ES3_mN6hipcub16HIPCUB_304000_NS21CountingInputIteratorIllEEPS6_NSA_22TransformInputIteratorIb7NonZeroIfEPflEENS0_5tupleIJPlS6_EEENSJ_IJSD_SD_EEES6_SK_JS6_EEE10hipError_tPvRmT3_T4_T5_T6_T7_T9_mT8_P12ihipStream_tbDpT10_ENKUlT_T0_E_clISt17integral_constantIbLb0EES16_EEDaS11_S12_EUlS11_E_NS1_11comp_targetILNS1_3genE4ELNS1_11target_archE910ELNS1_3gpuE8ELNS1_3repE0EEENS1_30default_config_static_selectorELNS0_4arch9wavefront6targetE1EEEvT1_.has_recursion, 0
	.set _ZN7rocprim17ROCPRIM_400000_NS6detail17trampoline_kernelINS0_14default_configENS1_25partition_config_selectorILNS1_17partition_subalgoE5ElNS0_10empty_typeEbEEZZNS1_14partition_implILS5_5ELb0ES3_mN6hipcub16HIPCUB_304000_NS21CountingInputIteratorIllEEPS6_NSA_22TransformInputIteratorIb7NonZeroIfEPflEENS0_5tupleIJPlS6_EEENSJ_IJSD_SD_EEES6_SK_JS6_EEE10hipError_tPvRmT3_T4_T5_T6_T7_T9_mT8_P12ihipStream_tbDpT10_ENKUlT_T0_E_clISt17integral_constantIbLb0EES16_EEDaS11_S12_EUlS11_E_NS1_11comp_targetILNS1_3genE4ELNS1_11target_archE910ELNS1_3gpuE8ELNS1_3repE0EEENS1_30default_config_static_selectorELNS0_4arch9wavefront6targetE1EEEvT1_.has_indirect_call, 0
	.section	.AMDGPU.csdata,"",@progbits
; Kernel info:
; codeLenInByte = 0
; TotalNumSgprs: 4
; NumVgprs: 0
; ScratchSize: 0
; MemoryBound: 0
; FloatMode: 240
; IeeeMode: 1
; LDSByteSize: 0 bytes/workgroup (compile time only)
; SGPRBlocks: 0
; VGPRBlocks: 0
; NumSGPRsForWavesPerEU: 4
; NumVGPRsForWavesPerEU: 1
; Occupancy: 10
; WaveLimiterHint : 0
; COMPUTE_PGM_RSRC2:SCRATCH_EN: 0
; COMPUTE_PGM_RSRC2:USER_SGPR: 6
; COMPUTE_PGM_RSRC2:TRAP_HANDLER: 0
; COMPUTE_PGM_RSRC2:TGID_X_EN: 1
; COMPUTE_PGM_RSRC2:TGID_Y_EN: 0
; COMPUTE_PGM_RSRC2:TGID_Z_EN: 0
; COMPUTE_PGM_RSRC2:TIDIG_COMP_CNT: 0
	.section	.text._ZN7rocprim17ROCPRIM_400000_NS6detail17trampoline_kernelINS0_14default_configENS1_25partition_config_selectorILNS1_17partition_subalgoE5ElNS0_10empty_typeEbEEZZNS1_14partition_implILS5_5ELb0ES3_mN6hipcub16HIPCUB_304000_NS21CountingInputIteratorIllEEPS6_NSA_22TransformInputIteratorIb7NonZeroIfEPflEENS0_5tupleIJPlS6_EEENSJ_IJSD_SD_EEES6_SK_JS6_EEE10hipError_tPvRmT3_T4_T5_T6_T7_T9_mT8_P12ihipStream_tbDpT10_ENKUlT_T0_E_clISt17integral_constantIbLb0EES16_EEDaS11_S12_EUlS11_E_NS1_11comp_targetILNS1_3genE3ELNS1_11target_archE908ELNS1_3gpuE7ELNS1_3repE0EEENS1_30default_config_static_selectorELNS0_4arch9wavefront6targetE1EEEvT1_,"axG",@progbits,_ZN7rocprim17ROCPRIM_400000_NS6detail17trampoline_kernelINS0_14default_configENS1_25partition_config_selectorILNS1_17partition_subalgoE5ElNS0_10empty_typeEbEEZZNS1_14partition_implILS5_5ELb0ES3_mN6hipcub16HIPCUB_304000_NS21CountingInputIteratorIllEEPS6_NSA_22TransformInputIteratorIb7NonZeroIfEPflEENS0_5tupleIJPlS6_EEENSJ_IJSD_SD_EEES6_SK_JS6_EEE10hipError_tPvRmT3_T4_T5_T6_T7_T9_mT8_P12ihipStream_tbDpT10_ENKUlT_T0_E_clISt17integral_constantIbLb0EES16_EEDaS11_S12_EUlS11_E_NS1_11comp_targetILNS1_3genE3ELNS1_11target_archE908ELNS1_3gpuE7ELNS1_3repE0EEENS1_30default_config_static_selectorELNS0_4arch9wavefront6targetE1EEEvT1_,comdat
	.protected	_ZN7rocprim17ROCPRIM_400000_NS6detail17trampoline_kernelINS0_14default_configENS1_25partition_config_selectorILNS1_17partition_subalgoE5ElNS0_10empty_typeEbEEZZNS1_14partition_implILS5_5ELb0ES3_mN6hipcub16HIPCUB_304000_NS21CountingInputIteratorIllEEPS6_NSA_22TransformInputIteratorIb7NonZeroIfEPflEENS0_5tupleIJPlS6_EEENSJ_IJSD_SD_EEES6_SK_JS6_EEE10hipError_tPvRmT3_T4_T5_T6_T7_T9_mT8_P12ihipStream_tbDpT10_ENKUlT_T0_E_clISt17integral_constantIbLb0EES16_EEDaS11_S12_EUlS11_E_NS1_11comp_targetILNS1_3genE3ELNS1_11target_archE908ELNS1_3gpuE7ELNS1_3repE0EEENS1_30default_config_static_selectorELNS0_4arch9wavefront6targetE1EEEvT1_ ; -- Begin function _ZN7rocprim17ROCPRIM_400000_NS6detail17trampoline_kernelINS0_14default_configENS1_25partition_config_selectorILNS1_17partition_subalgoE5ElNS0_10empty_typeEbEEZZNS1_14partition_implILS5_5ELb0ES3_mN6hipcub16HIPCUB_304000_NS21CountingInputIteratorIllEEPS6_NSA_22TransformInputIteratorIb7NonZeroIfEPflEENS0_5tupleIJPlS6_EEENSJ_IJSD_SD_EEES6_SK_JS6_EEE10hipError_tPvRmT3_T4_T5_T6_T7_T9_mT8_P12ihipStream_tbDpT10_ENKUlT_T0_E_clISt17integral_constantIbLb0EES16_EEDaS11_S12_EUlS11_E_NS1_11comp_targetILNS1_3genE3ELNS1_11target_archE908ELNS1_3gpuE7ELNS1_3repE0EEENS1_30default_config_static_selectorELNS0_4arch9wavefront6targetE1EEEvT1_
	.globl	_ZN7rocprim17ROCPRIM_400000_NS6detail17trampoline_kernelINS0_14default_configENS1_25partition_config_selectorILNS1_17partition_subalgoE5ElNS0_10empty_typeEbEEZZNS1_14partition_implILS5_5ELb0ES3_mN6hipcub16HIPCUB_304000_NS21CountingInputIteratorIllEEPS6_NSA_22TransformInputIteratorIb7NonZeroIfEPflEENS0_5tupleIJPlS6_EEENSJ_IJSD_SD_EEES6_SK_JS6_EEE10hipError_tPvRmT3_T4_T5_T6_T7_T9_mT8_P12ihipStream_tbDpT10_ENKUlT_T0_E_clISt17integral_constantIbLb0EES16_EEDaS11_S12_EUlS11_E_NS1_11comp_targetILNS1_3genE3ELNS1_11target_archE908ELNS1_3gpuE7ELNS1_3repE0EEENS1_30default_config_static_selectorELNS0_4arch9wavefront6targetE1EEEvT1_
	.p2align	8
	.type	_ZN7rocprim17ROCPRIM_400000_NS6detail17trampoline_kernelINS0_14default_configENS1_25partition_config_selectorILNS1_17partition_subalgoE5ElNS0_10empty_typeEbEEZZNS1_14partition_implILS5_5ELb0ES3_mN6hipcub16HIPCUB_304000_NS21CountingInputIteratorIllEEPS6_NSA_22TransformInputIteratorIb7NonZeroIfEPflEENS0_5tupleIJPlS6_EEENSJ_IJSD_SD_EEES6_SK_JS6_EEE10hipError_tPvRmT3_T4_T5_T6_T7_T9_mT8_P12ihipStream_tbDpT10_ENKUlT_T0_E_clISt17integral_constantIbLb0EES16_EEDaS11_S12_EUlS11_E_NS1_11comp_targetILNS1_3genE3ELNS1_11target_archE908ELNS1_3gpuE7ELNS1_3repE0EEENS1_30default_config_static_selectorELNS0_4arch9wavefront6targetE1EEEvT1_,@function
_ZN7rocprim17ROCPRIM_400000_NS6detail17trampoline_kernelINS0_14default_configENS1_25partition_config_selectorILNS1_17partition_subalgoE5ElNS0_10empty_typeEbEEZZNS1_14partition_implILS5_5ELb0ES3_mN6hipcub16HIPCUB_304000_NS21CountingInputIteratorIllEEPS6_NSA_22TransformInputIteratorIb7NonZeroIfEPflEENS0_5tupleIJPlS6_EEENSJ_IJSD_SD_EEES6_SK_JS6_EEE10hipError_tPvRmT3_T4_T5_T6_T7_T9_mT8_P12ihipStream_tbDpT10_ENKUlT_T0_E_clISt17integral_constantIbLb0EES16_EEDaS11_S12_EUlS11_E_NS1_11comp_targetILNS1_3genE3ELNS1_11target_archE908ELNS1_3gpuE7ELNS1_3repE0EEENS1_30default_config_static_selectorELNS0_4arch9wavefront6targetE1EEEvT1_: ; @_ZN7rocprim17ROCPRIM_400000_NS6detail17trampoline_kernelINS0_14default_configENS1_25partition_config_selectorILNS1_17partition_subalgoE5ElNS0_10empty_typeEbEEZZNS1_14partition_implILS5_5ELb0ES3_mN6hipcub16HIPCUB_304000_NS21CountingInputIteratorIllEEPS6_NSA_22TransformInputIteratorIb7NonZeroIfEPflEENS0_5tupleIJPlS6_EEENSJ_IJSD_SD_EEES6_SK_JS6_EEE10hipError_tPvRmT3_T4_T5_T6_T7_T9_mT8_P12ihipStream_tbDpT10_ENKUlT_T0_E_clISt17integral_constantIbLb0EES16_EEDaS11_S12_EUlS11_E_NS1_11comp_targetILNS1_3genE3ELNS1_11target_archE908ELNS1_3gpuE7ELNS1_3repE0EEENS1_30default_config_static_selectorELNS0_4arch9wavefront6targetE1EEEvT1_
; %bb.0:
	.section	.rodata,"a",@progbits
	.p2align	6, 0x0
	.amdhsa_kernel _ZN7rocprim17ROCPRIM_400000_NS6detail17trampoline_kernelINS0_14default_configENS1_25partition_config_selectorILNS1_17partition_subalgoE5ElNS0_10empty_typeEbEEZZNS1_14partition_implILS5_5ELb0ES3_mN6hipcub16HIPCUB_304000_NS21CountingInputIteratorIllEEPS6_NSA_22TransformInputIteratorIb7NonZeroIfEPflEENS0_5tupleIJPlS6_EEENSJ_IJSD_SD_EEES6_SK_JS6_EEE10hipError_tPvRmT3_T4_T5_T6_T7_T9_mT8_P12ihipStream_tbDpT10_ENKUlT_T0_E_clISt17integral_constantIbLb0EES16_EEDaS11_S12_EUlS11_E_NS1_11comp_targetILNS1_3genE3ELNS1_11target_archE908ELNS1_3gpuE7ELNS1_3repE0EEENS1_30default_config_static_selectorELNS0_4arch9wavefront6targetE1EEEvT1_
		.amdhsa_group_segment_fixed_size 0
		.amdhsa_private_segment_fixed_size 0
		.amdhsa_kernarg_size 120
		.amdhsa_user_sgpr_count 6
		.amdhsa_user_sgpr_private_segment_buffer 1
		.amdhsa_user_sgpr_dispatch_ptr 0
		.amdhsa_user_sgpr_queue_ptr 0
		.amdhsa_user_sgpr_kernarg_segment_ptr 1
		.amdhsa_user_sgpr_dispatch_id 0
		.amdhsa_user_sgpr_flat_scratch_init 0
		.amdhsa_user_sgpr_private_segment_size 0
		.amdhsa_uses_dynamic_stack 0
		.amdhsa_system_sgpr_private_segment_wavefront_offset 0
		.amdhsa_system_sgpr_workgroup_id_x 1
		.amdhsa_system_sgpr_workgroup_id_y 0
		.amdhsa_system_sgpr_workgroup_id_z 0
		.amdhsa_system_sgpr_workgroup_info 0
		.amdhsa_system_vgpr_workitem_id 0
		.amdhsa_next_free_vgpr 1
		.amdhsa_next_free_sgpr 0
		.amdhsa_reserve_vcc 0
		.amdhsa_reserve_flat_scratch 0
		.amdhsa_float_round_mode_32 0
		.amdhsa_float_round_mode_16_64 0
		.amdhsa_float_denorm_mode_32 3
		.amdhsa_float_denorm_mode_16_64 3
		.amdhsa_dx10_clamp 1
		.amdhsa_ieee_mode 1
		.amdhsa_fp16_overflow 0
		.amdhsa_exception_fp_ieee_invalid_op 0
		.amdhsa_exception_fp_denorm_src 0
		.amdhsa_exception_fp_ieee_div_zero 0
		.amdhsa_exception_fp_ieee_overflow 0
		.amdhsa_exception_fp_ieee_underflow 0
		.amdhsa_exception_fp_ieee_inexact 0
		.amdhsa_exception_int_div_zero 0
	.end_amdhsa_kernel
	.section	.text._ZN7rocprim17ROCPRIM_400000_NS6detail17trampoline_kernelINS0_14default_configENS1_25partition_config_selectorILNS1_17partition_subalgoE5ElNS0_10empty_typeEbEEZZNS1_14partition_implILS5_5ELb0ES3_mN6hipcub16HIPCUB_304000_NS21CountingInputIteratorIllEEPS6_NSA_22TransformInputIteratorIb7NonZeroIfEPflEENS0_5tupleIJPlS6_EEENSJ_IJSD_SD_EEES6_SK_JS6_EEE10hipError_tPvRmT3_T4_T5_T6_T7_T9_mT8_P12ihipStream_tbDpT10_ENKUlT_T0_E_clISt17integral_constantIbLb0EES16_EEDaS11_S12_EUlS11_E_NS1_11comp_targetILNS1_3genE3ELNS1_11target_archE908ELNS1_3gpuE7ELNS1_3repE0EEENS1_30default_config_static_selectorELNS0_4arch9wavefront6targetE1EEEvT1_,"axG",@progbits,_ZN7rocprim17ROCPRIM_400000_NS6detail17trampoline_kernelINS0_14default_configENS1_25partition_config_selectorILNS1_17partition_subalgoE5ElNS0_10empty_typeEbEEZZNS1_14partition_implILS5_5ELb0ES3_mN6hipcub16HIPCUB_304000_NS21CountingInputIteratorIllEEPS6_NSA_22TransformInputIteratorIb7NonZeroIfEPflEENS0_5tupleIJPlS6_EEENSJ_IJSD_SD_EEES6_SK_JS6_EEE10hipError_tPvRmT3_T4_T5_T6_T7_T9_mT8_P12ihipStream_tbDpT10_ENKUlT_T0_E_clISt17integral_constantIbLb0EES16_EEDaS11_S12_EUlS11_E_NS1_11comp_targetILNS1_3genE3ELNS1_11target_archE908ELNS1_3gpuE7ELNS1_3repE0EEENS1_30default_config_static_selectorELNS0_4arch9wavefront6targetE1EEEvT1_,comdat
.Lfunc_end256:
	.size	_ZN7rocprim17ROCPRIM_400000_NS6detail17trampoline_kernelINS0_14default_configENS1_25partition_config_selectorILNS1_17partition_subalgoE5ElNS0_10empty_typeEbEEZZNS1_14partition_implILS5_5ELb0ES3_mN6hipcub16HIPCUB_304000_NS21CountingInputIteratorIllEEPS6_NSA_22TransformInputIteratorIb7NonZeroIfEPflEENS0_5tupleIJPlS6_EEENSJ_IJSD_SD_EEES6_SK_JS6_EEE10hipError_tPvRmT3_T4_T5_T6_T7_T9_mT8_P12ihipStream_tbDpT10_ENKUlT_T0_E_clISt17integral_constantIbLb0EES16_EEDaS11_S12_EUlS11_E_NS1_11comp_targetILNS1_3genE3ELNS1_11target_archE908ELNS1_3gpuE7ELNS1_3repE0EEENS1_30default_config_static_selectorELNS0_4arch9wavefront6targetE1EEEvT1_, .Lfunc_end256-_ZN7rocprim17ROCPRIM_400000_NS6detail17trampoline_kernelINS0_14default_configENS1_25partition_config_selectorILNS1_17partition_subalgoE5ElNS0_10empty_typeEbEEZZNS1_14partition_implILS5_5ELb0ES3_mN6hipcub16HIPCUB_304000_NS21CountingInputIteratorIllEEPS6_NSA_22TransformInputIteratorIb7NonZeroIfEPflEENS0_5tupleIJPlS6_EEENSJ_IJSD_SD_EEES6_SK_JS6_EEE10hipError_tPvRmT3_T4_T5_T6_T7_T9_mT8_P12ihipStream_tbDpT10_ENKUlT_T0_E_clISt17integral_constantIbLb0EES16_EEDaS11_S12_EUlS11_E_NS1_11comp_targetILNS1_3genE3ELNS1_11target_archE908ELNS1_3gpuE7ELNS1_3repE0EEENS1_30default_config_static_selectorELNS0_4arch9wavefront6targetE1EEEvT1_
                                        ; -- End function
	.set _ZN7rocprim17ROCPRIM_400000_NS6detail17trampoline_kernelINS0_14default_configENS1_25partition_config_selectorILNS1_17partition_subalgoE5ElNS0_10empty_typeEbEEZZNS1_14partition_implILS5_5ELb0ES3_mN6hipcub16HIPCUB_304000_NS21CountingInputIteratorIllEEPS6_NSA_22TransformInputIteratorIb7NonZeroIfEPflEENS0_5tupleIJPlS6_EEENSJ_IJSD_SD_EEES6_SK_JS6_EEE10hipError_tPvRmT3_T4_T5_T6_T7_T9_mT8_P12ihipStream_tbDpT10_ENKUlT_T0_E_clISt17integral_constantIbLb0EES16_EEDaS11_S12_EUlS11_E_NS1_11comp_targetILNS1_3genE3ELNS1_11target_archE908ELNS1_3gpuE7ELNS1_3repE0EEENS1_30default_config_static_selectorELNS0_4arch9wavefront6targetE1EEEvT1_.num_vgpr, 0
	.set _ZN7rocprim17ROCPRIM_400000_NS6detail17trampoline_kernelINS0_14default_configENS1_25partition_config_selectorILNS1_17partition_subalgoE5ElNS0_10empty_typeEbEEZZNS1_14partition_implILS5_5ELb0ES3_mN6hipcub16HIPCUB_304000_NS21CountingInputIteratorIllEEPS6_NSA_22TransformInputIteratorIb7NonZeroIfEPflEENS0_5tupleIJPlS6_EEENSJ_IJSD_SD_EEES6_SK_JS6_EEE10hipError_tPvRmT3_T4_T5_T6_T7_T9_mT8_P12ihipStream_tbDpT10_ENKUlT_T0_E_clISt17integral_constantIbLb0EES16_EEDaS11_S12_EUlS11_E_NS1_11comp_targetILNS1_3genE3ELNS1_11target_archE908ELNS1_3gpuE7ELNS1_3repE0EEENS1_30default_config_static_selectorELNS0_4arch9wavefront6targetE1EEEvT1_.num_agpr, 0
	.set _ZN7rocprim17ROCPRIM_400000_NS6detail17trampoline_kernelINS0_14default_configENS1_25partition_config_selectorILNS1_17partition_subalgoE5ElNS0_10empty_typeEbEEZZNS1_14partition_implILS5_5ELb0ES3_mN6hipcub16HIPCUB_304000_NS21CountingInputIteratorIllEEPS6_NSA_22TransformInputIteratorIb7NonZeroIfEPflEENS0_5tupleIJPlS6_EEENSJ_IJSD_SD_EEES6_SK_JS6_EEE10hipError_tPvRmT3_T4_T5_T6_T7_T9_mT8_P12ihipStream_tbDpT10_ENKUlT_T0_E_clISt17integral_constantIbLb0EES16_EEDaS11_S12_EUlS11_E_NS1_11comp_targetILNS1_3genE3ELNS1_11target_archE908ELNS1_3gpuE7ELNS1_3repE0EEENS1_30default_config_static_selectorELNS0_4arch9wavefront6targetE1EEEvT1_.numbered_sgpr, 0
	.set _ZN7rocprim17ROCPRIM_400000_NS6detail17trampoline_kernelINS0_14default_configENS1_25partition_config_selectorILNS1_17partition_subalgoE5ElNS0_10empty_typeEbEEZZNS1_14partition_implILS5_5ELb0ES3_mN6hipcub16HIPCUB_304000_NS21CountingInputIteratorIllEEPS6_NSA_22TransformInputIteratorIb7NonZeroIfEPflEENS0_5tupleIJPlS6_EEENSJ_IJSD_SD_EEES6_SK_JS6_EEE10hipError_tPvRmT3_T4_T5_T6_T7_T9_mT8_P12ihipStream_tbDpT10_ENKUlT_T0_E_clISt17integral_constantIbLb0EES16_EEDaS11_S12_EUlS11_E_NS1_11comp_targetILNS1_3genE3ELNS1_11target_archE908ELNS1_3gpuE7ELNS1_3repE0EEENS1_30default_config_static_selectorELNS0_4arch9wavefront6targetE1EEEvT1_.num_named_barrier, 0
	.set _ZN7rocprim17ROCPRIM_400000_NS6detail17trampoline_kernelINS0_14default_configENS1_25partition_config_selectorILNS1_17partition_subalgoE5ElNS0_10empty_typeEbEEZZNS1_14partition_implILS5_5ELb0ES3_mN6hipcub16HIPCUB_304000_NS21CountingInputIteratorIllEEPS6_NSA_22TransformInputIteratorIb7NonZeroIfEPflEENS0_5tupleIJPlS6_EEENSJ_IJSD_SD_EEES6_SK_JS6_EEE10hipError_tPvRmT3_T4_T5_T6_T7_T9_mT8_P12ihipStream_tbDpT10_ENKUlT_T0_E_clISt17integral_constantIbLb0EES16_EEDaS11_S12_EUlS11_E_NS1_11comp_targetILNS1_3genE3ELNS1_11target_archE908ELNS1_3gpuE7ELNS1_3repE0EEENS1_30default_config_static_selectorELNS0_4arch9wavefront6targetE1EEEvT1_.private_seg_size, 0
	.set _ZN7rocprim17ROCPRIM_400000_NS6detail17trampoline_kernelINS0_14default_configENS1_25partition_config_selectorILNS1_17partition_subalgoE5ElNS0_10empty_typeEbEEZZNS1_14partition_implILS5_5ELb0ES3_mN6hipcub16HIPCUB_304000_NS21CountingInputIteratorIllEEPS6_NSA_22TransformInputIteratorIb7NonZeroIfEPflEENS0_5tupleIJPlS6_EEENSJ_IJSD_SD_EEES6_SK_JS6_EEE10hipError_tPvRmT3_T4_T5_T6_T7_T9_mT8_P12ihipStream_tbDpT10_ENKUlT_T0_E_clISt17integral_constantIbLb0EES16_EEDaS11_S12_EUlS11_E_NS1_11comp_targetILNS1_3genE3ELNS1_11target_archE908ELNS1_3gpuE7ELNS1_3repE0EEENS1_30default_config_static_selectorELNS0_4arch9wavefront6targetE1EEEvT1_.uses_vcc, 0
	.set _ZN7rocprim17ROCPRIM_400000_NS6detail17trampoline_kernelINS0_14default_configENS1_25partition_config_selectorILNS1_17partition_subalgoE5ElNS0_10empty_typeEbEEZZNS1_14partition_implILS5_5ELb0ES3_mN6hipcub16HIPCUB_304000_NS21CountingInputIteratorIllEEPS6_NSA_22TransformInputIteratorIb7NonZeroIfEPflEENS0_5tupleIJPlS6_EEENSJ_IJSD_SD_EEES6_SK_JS6_EEE10hipError_tPvRmT3_T4_T5_T6_T7_T9_mT8_P12ihipStream_tbDpT10_ENKUlT_T0_E_clISt17integral_constantIbLb0EES16_EEDaS11_S12_EUlS11_E_NS1_11comp_targetILNS1_3genE3ELNS1_11target_archE908ELNS1_3gpuE7ELNS1_3repE0EEENS1_30default_config_static_selectorELNS0_4arch9wavefront6targetE1EEEvT1_.uses_flat_scratch, 0
	.set _ZN7rocprim17ROCPRIM_400000_NS6detail17trampoline_kernelINS0_14default_configENS1_25partition_config_selectorILNS1_17partition_subalgoE5ElNS0_10empty_typeEbEEZZNS1_14partition_implILS5_5ELb0ES3_mN6hipcub16HIPCUB_304000_NS21CountingInputIteratorIllEEPS6_NSA_22TransformInputIteratorIb7NonZeroIfEPflEENS0_5tupleIJPlS6_EEENSJ_IJSD_SD_EEES6_SK_JS6_EEE10hipError_tPvRmT3_T4_T5_T6_T7_T9_mT8_P12ihipStream_tbDpT10_ENKUlT_T0_E_clISt17integral_constantIbLb0EES16_EEDaS11_S12_EUlS11_E_NS1_11comp_targetILNS1_3genE3ELNS1_11target_archE908ELNS1_3gpuE7ELNS1_3repE0EEENS1_30default_config_static_selectorELNS0_4arch9wavefront6targetE1EEEvT1_.has_dyn_sized_stack, 0
	.set _ZN7rocprim17ROCPRIM_400000_NS6detail17trampoline_kernelINS0_14default_configENS1_25partition_config_selectorILNS1_17partition_subalgoE5ElNS0_10empty_typeEbEEZZNS1_14partition_implILS5_5ELb0ES3_mN6hipcub16HIPCUB_304000_NS21CountingInputIteratorIllEEPS6_NSA_22TransformInputIteratorIb7NonZeroIfEPflEENS0_5tupleIJPlS6_EEENSJ_IJSD_SD_EEES6_SK_JS6_EEE10hipError_tPvRmT3_T4_T5_T6_T7_T9_mT8_P12ihipStream_tbDpT10_ENKUlT_T0_E_clISt17integral_constantIbLb0EES16_EEDaS11_S12_EUlS11_E_NS1_11comp_targetILNS1_3genE3ELNS1_11target_archE908ELNS1_3gpuE7ELNS1_3repE0EEENS1_30default_config_static_selectorELNS0_4arch9wavefront6targetE1EEEvT1_.has_recursion, 0
	.set _ZN7rocprim17ROCPRIM_400000_NS6detail17trampoline_kernelINS0_14default_configENS1_25partition_config_selectorILNS1_17partition_subalgoE5ElNS0_10empty_typeEbEEZZNS1_14partition_implILS5_5ELb0ES3_mN6hipcub16HIPCUB_304000_NS21CountingInputIteratorIllEEPS6_NSA_22TransformInputIteratorIb7NonZeroIfEPflEENS0_5tupleIJPlS6_EEENSJ_IJSD_SD_EEES6_SK_JS6_EEE10hipError_tPvRmT3_T4_T5_T6_T7_T9_mT8_P12ihipStream_tbDpT10_ENKUlT_T0_E_clISt17integral_constantIbLb0EES16_EEDaS11_S12_EUlS11_E_NS1_11comp_targetILNS1_3genE3ELNS1_11target_archE908ELNS1_3gpuE7ELNS1_3repE0EEENS1_30default_config_static_selectorELNS0_4arch9wavefront6targetE1EEEvT1_.has_indirect_call, 0
	.section	.AMDGPU.csdata,"",@progbits
; Kernel info:
; codeLenInByte = 0
; TotalNumSgprs: 4
; NumVgprs: 0
; ScratchSize: 0
; MemoryBound: 0
; FloatMode: 240
; IeeeMode: 1
; LDSByteSize: 0 bytes/workgroup (compile time only)
; SGPRBlocks: 0
; VGPRBlocks: 0
; NumSGPRsForWavesPerEU: 4
; NumVGPRsForWavesPerEU: 1
; Occupancy: 10
; WaveLimiterHint : 0
; COMPUTE_PGM_RSRC2:SCRATCH_EN: 0
; COMPUTE_PGM_RSRC2:USER_SGPR: 6
; COMPUTE_PGM_RSRC2:TRAP_HANDLER: 0
; COMPUTE_PGM_RSRC2:TGID_X_EN: 1
; COMPUTE_PGM_RSRC2:TGID_Y_EN: 0
; COMPUTE_PGM_RSRC2:TGID_Z_EN: 0
; COMPUTE_PGM_RSRC2:TIDIG_COMP_CNT: 0
	.section	.text._ZN7rocprim17ROCPRIM_400000_NS6detail17trampoline_kernelINS0_14default_configENS1_25partition_config_selectorILNS1_17partition_subalgoE5ElNS0_10empty_typeEbEEZZNS1_14partition_implILS5_5ELb0ES3_mN6hipcub16HIPCUB_304000_NS21CountingInputIteratorIllEEPS6_NSA_22TransformInputIteratorIb7NonZeroIfEPflEENS0_5tupleIJPlS6_EEENSJ_IJSD_SD_EEES6_SK_JS6_EEE10hipError_tPvRmT3_T4_T5_T6_T7_T9_mT8_P12ihipStream_tbDpT10_ENKUlT_T0_E_clISt17integral_constantIbLb0EES16_EEDaS11_S12_EUlS11_E_NS1_11comp_targetILNS1_3genE2ELNS1_11target_archE906ELNS1_3gpuE6ELNS1_3repE0EEENS1_30default_config_static_selectorELNS0_4arch9wavefront6targetE1EEEvT1_,"axG",@progbits,_ZN7rocprim17ROCPRIM_400000_NS6detail17trampoline_kernelINS0_14default_configENS1_25partition_config_selectorILNS1_17partition_subalgoE5ElNS0_10empty_typeEbEEZZNS1_14partition_implILS5_5ELb0ES3_mN6hipcub16HIPCUB_304000_NS21CountingInputIteratorIllEEPS6_NSA_22TransformInputIteratorIb7NonZeroIfEPflEENS0_5tupleIJPlS6_EEENSJ_IJSD_SD_EEES6_SK_JS6_EEE10hipError_tPvRmT3_T4_T5_T6_T7_T9_mT8_P12ihipStream_tbDpT10_ENKUlT_T0_E_clISt17integral_constantIbLb0EES16_EEDaS11_S12_EUlS11_E_NS1_11comp_targetILNS1_3genE2ELNS1_11target_archE906ELNS1_3gpuE6ELNS1_3repE0EEENS1_30default_config_static_selectorELNS0_4arch9wavefront6targetE1EEEvT1_,comdat
	.protected	_ZN7rocprim17ROCPRIM_400000_NS6detail17trampoline_kernelINS0_14default_configENS1_25partition_config_selectorILNS1_17partition_subalgoE5ElNS0_10empty_typeEbEEZZNS1_14partition_implILS5_5ELb0ES3_mN6hipcub16HIPCUB_304000_NS21CountingInputIteratorIllEEPS6_NSA_22TransformInputIteratorIb7NonZeroIfEPflEENS0_5tupleIJPlS6_EEENSJ_IJSD_SD_EEES6_SK_JS6_EEE10hipError_tPvRmT3_T4_T5_T6_T7_T9_mT8_P12ihipStream_tbDpT10_ENKUlT_T0_E_clISt17integral_constantIbLb0EES16_EEDaS11_S12_EUlS11_E_NS1_11comp_targetILNS1_3genE2ELNS1_11target_archE906ELNS1_3gpuE6ELNS1_3repE0EEENS1_30default_config_static_selectorELNS0_4arch9wavefront6targetE1EEEvT1_ ; -- Begin function _ZN7rocprim17ROCPRIM_400000_NS6detail17trampoline_kernelINS0_14default_configENS1_25partition_config_selectorILNS1_17partition_subalgoE5ElNS0_10empty_typeEbEEZZNS1_14partition_implILS5_5ELb0ES3_mN6hipcub16HIPCUB_304000_NS21CountingInputIteratorIllEEPS6_NSA_22TransformInputIteratorIb7NonZeroIfEPflEENS0_5tupleIJPlS6_EEENSJ_IJSD_SD_EEES6_SK_JS6_EEE10hipError_tPvRmT3_T4_T5_T6_T7_T9_mT8_P12ihipStream_tbDpT10_ENKUlT_T0_E_clISt17integral_constantIbLb0EES16_EEDaS11_S12_EUlS11_E_NS1_11comp_targetILNS1_3genE2ELNS1_11target_archE906ELNS1_3gpuE6ELNS1_3repE0EEENS1_30default_config_static_selectorELNS0_4arch9wavefront6targetE1EEEvT1_
	.globl	_ZN7rocprim17ROCPRIM_400000_NS6detail17trampoline_kernelINS0_14default_configENS1_25partition_config_selectorILNS1_17partition_subalgoE5ElNS0_10empty_typeEbEEZZNS1_14partition_implILS5_5ELb0ES3_mN6hipcub16HIPCUB_304000_NS21CountingInputIteratorIllEEPS6_NSA_22TransformInputIteratorIb7NonZeroIfEPflEENS0_5tupleIJPlS6_EEENSJ_IJSD_SD_EEES6_SK_JS6_EEE10hipError_tPvRmT3_T4_T5_T6_T7_T9_mT8_P12ihipStream_tbDpT10_ENKUlT_T0_E_clISt17integral_constantIbLb0EES16_EEDaS11_S12_EUlS11_E_NS1_11comp_targetILNS1_3genE2ELNS1_11target_archE906ELNS1_3gpuE6ELNS1_3repE0EEENS1_30default_config_static_selectorELNS0_4arch9wavefront6targetE1EEEvT1_
	.p2align	8
	.type	_ZN7rocprim17ROCPRIM_400000_NS6detail17trampoline_kernelINS0_14default_configENS1_25partition_config_selectorILNS1_17partition_subalgoE5ElNS0_10empty_typeEbEEZZNS1_14partition_implILS5_5ELb0ES3_mN6hipcub16HIPCUB_304000_NS21CountingInputIteratorIllEEPS6_NSA_22TransformInputIteratorIb7NonZeroIfEPflEENS0_5tupleIJPlS6_EEENSJ_IJSD_SD_EEES6_SK_JS6_EEE10hipError_tPvRmT3_T4_T5_T6_T7_T9_mT8_P12ihipStream_tbDpT10_ENKUlT_T0_E_clISt17integral_constantIbLb0EES16_EEDaS11_S12_EUlS11_E_NS1_11comp_targetILNS1_3genE2ELNS1_11target_archE906ELNS1_3gpuE6ELNS1_3repE0EEENS1_30default_config_static_selectorELNS0_4arch9wavefront6targetE1EEEvT1_,@function
_ZN7rocprim17ROCPRIM_400000_NS6detail17trampoline_kernelINS0_14default_configENS1_25partition_config_selectorILNS1_17partition_subalgoE5ElNS0_10empty_typeEbEEZZNS1_14partition_implILS5_5ELb0ES3_mN6hipcub16HIPCUB_304000_NS21CountingInputIteratorIllEEPS6_NSA_22TransformInputIteratorIb7NonZeroIfEPflEENS0_5tupleIJPlS6_EEENSJ_IJSD_SD_EEES6_SK_JS6_EEE10hipError_tPvRmT3_T4_T5_T6_T7_T9_mT8_P12ihipStream_tbDpT10_ENKUlT_T0_E_clISt17integral_constantIbLb0EES16_EEDaS11_S12_EUlS11_E_NS1_11comp_targetILNS1_3genE2ELNS1_11target_archE906ELNS1_3gpuE6ELNS1_3repE0EEENS1_30default_config_static_selectorELNS0_4arch9wavefront6targetE1EEEvT1_: ; @_ZN7rocprim17ROCPRIM_400000_NS6detail17trampoline_kernelINS0_14default_configENS1_25partition_config_selectorILNS1_17partition_subalgoE5ElNS0_10empty_typeEbEEZZNS1_14partition_implILS5_5ELb0ES3_mN6hipcub16HIPCUB_304000_NS21CountingInputIteratorIllEEPS6_NSA_22TransformInputIteratorIb7NonZeroIfEPflEENS0_5tupleIJPlS6_EEENSJ_IJSD_SD_EEES6_SK_JS6_EEE10hipError_tPvRmT3_T4_T5_T6_T7_T9_mT8_P12ihipStream_tbDpT10_ENKUlT_T0_E_clISt17integral_constantIbLb0EES16_EEDaS11_S12_EUlS11_E_NS1_11comp_targetILNS1_3genE2ELNS1_11target_archE906ELNS1_3gpuE6ELNS1_3repE0EEENS1_30default_config_static_selectorELNS0_4arch9wavefront6targetE1EEEvT1_
; %bb.0:
	s_load_dwordx4 s[0:3], s[4:5], 0x8
	s_load_dwordx2 s[8:9], s[4:5], 0x58
	s_load_dwordx4 s[12:15], s[4:5], 0x48
	s_load_dwordx2 s[18:19], s[4:5], 0x20
	s_load_dword s7, s[4:5], 0x70
	s_waitcnt lgkmcnt(0)
	s_add_u32 s22, s2, s0
	s_addc_u32 s23, s3, s1
	s_load_dwordx2 s[10:11], s[14:15], 0x0
	s_mul_i32 s0, s6, 0x700
	s_add_i32 s16, s7, -1
	s_mulk_i32 s7, 0x700
	s_add_u32 s14, s2, s7
	s_addc_u32 s15, s3, 0
	v_mov_b32_e32 v1, s14
	v_mov_b32_e32 v2, s15
	v_cmp_le_u64_e32 vcc, s[8:9], v[1:2]
	s_cmp_eq_u32 s6, s16
	s_cselect_b64 s[14:15], -1, 0
	s_and_b64 s[16:17], s[14:15], vcc
	s_xor_b64 s[16:17], s[16:17], -1
	s_mov_b32 s1, 0
	s_mov_b64 s[20:21], -1
	s_and_b64 vcc, exec, s[16:17]
	s_cbranch_vccz .LBB257_2
; %bb.1:
	s_add_u32 s9, s22, s0
	s_addc_u32 s20, s23, 0
	v_mov_b32_e32 v2, s20
	v_add_co_u32_e32 v1, vcc, s9, v0
	v_addc_co_u32_e32 v2, vcc, 0, v2, vcc
	v_add_co_u32_e32 v3, vcc, 0x100, v1
	v_addc_co_u32_e32 v4, vcc, 0, v2, vcc
	;; [unrolled: 2-line block ×6, first 2 shown]
	v_add_co_u32_e32 v13, vcc, 0x600, v1
	v_lshlrev_b32_e32 v15, 3, v0
	v_addc_co_u32_e32 v14, vcc, 0, v2, vcc
	ds_write2st64_b64 v15, v[1:2], v[3:4] offset1:4
	ds_write2st64_b64 v15, v[5:6], v[7:8] offset0:8 offset1:12
	ds_write2st64_b64 v15, v[9:10], v[11:12] offset0:16 offset1:20
	ds_write_b64 v15, v[13:14] offset:12288
	s_waitcnt lgkmcnt(0)
	s_barrier
	s_mov_b64 s[20:21], 0
.LBB257_2:
	s_andn2_b64 vcc, exec, s[20:21]
	s_cbranch_vccnz .LBB257_4
; %bb.3:
	s_add_u32 s9, s22, s0
	s_addc_u32 s20, s23, 0
	v_mov_b32_e32 v2, s20
	v_add_co_u32_e32 v1, vcc, s9, v0
	v_addc_co_u32_e32 v2, vcc, 0, v2, vcc
	v_or_b32_e32 v3, 0x100, v0
	v_mov_b32_e32 v4, s20
	v_add_co_u32_e32 v3, vcc, s9, v3
	v_addc_co_u32_e32 v4, vcc, 0, v4, vcc
	v_or_b32_e32 v5, 0x200, v0
	;; [unrolled: 4-line block ×6, first 2 shown]
	v_mov_b32_e32 v14, s20
	v_add_co_u32_e32 v13, vcc, s9, v13
	v_lshlrev_b32_e32 v15, 3, v0
	v_addc_co_u32_e32 v14, vcc, 0, v14, vcc
	ds_write2st64_b64 v15, v[1:2], v[3:4] offset1:4
	ds_write2st64_b64 v15, v[5:6], v[7:8] offset0:8 offset1:12
	ds_write2st64_b64 v15, v[9:10], v[11:12] offset0:16 offset1:20
	ds_write_b64 v15, v[13:14] offset:12288
	s_waitcnt lgkmcnt(0)
	s_barrier
.LBB257_4:
	v_mul_u32_u24_e32 v1, 7, v0
	v_lshlrev_b32_e32 v13, 3, v1
	s_waitcnt lgkmcnt(0)
	ds_read_b64 v[21:22], v13 offset:48
	ds_read2_b64 v[1:4], v13 offset0:4 offset1:5
	ds_read2_b64 v[5:8], v13 offset0:2 offset1:3
	ds_read2_b64 v[9:12], v13 offset1:1
	s_lshl_b64 s[20:21], s[2:3], 2
	s_add_u32 s3, s18, s20
	s_addc_u32 s9, s19, s21
	s_lshl_b64 s[0:1], s[0:1], 2
	s_add_u32 s0, s3, s0
	s_addc_u32 s1, s9, s1
	s_mov_b64 s[20:21], -1
	s_and_b64 vcc, exec, s[16:17]
	v_lshlrev_b32_e32 v17, 2, v0
	s_waitcnt lgkmcnt(0)
	s_barrier
	s_cbranch_vccz .LBB257_6
; %bb.5:
	global_load_dword v16, v17, s[0:1]
	global_load_dword v18, v17, s[0:1] offset:1024
	v_mov_b32_e32 v14, s1
	v_add_co_u32_e32 v15, vcc, s0, v17
	v_addc_co_u32_e32 v19, vcc, 0, v14, vcc
	global_load_dword v20, v17, s[0:1] offset:2048
	global_load_dword v23, v17, s[0:1] offset:3072
	s_movk_i32 s3, 0x1000
	v_add_co_u32_e32 v14, vcc, s3, v15
	v_addc_co_u32_e32 v15, vcc, 0, v19, vcc
	global_load_dword v19, v[14:15], off
	global_load_dword v24, v[14:15], off offset:1024
	global_load_dword v25, v[14:15], off offset:2048
	s_mov_b64 s[20:21], 0
	s_waitcnt vmcnt(6)
	v_cmp_neq_f32_e32 vcc, 0, v16
	v_cndmask_b32_e64 v14, 0, 1, vcc
	s_waitcnt vmcnt(5)
	v_cmp_neq_f32_e32 vcc, 0, v18
	v_cndmask_b32_e64 v15, 0, 1, vcc
	;; [unrolled: 3-line block ×4, first 2 shown]
	ds_write_b8 v0, v14
	ds_write_b8 v0, v15 offset:256
	ds_write_b8 v0, v16 offset:512
	;; [unrolled: 1-line block ×3, first 2 shown]
	s_waitcnt vmcnt(2)
	v_cmp_neq_f32_e32 vcc, 0, v19
	v_cndmask_b32_e64 v14, 0, 1, vcc
	s_waitcnt vmcnt(1)
	v_cmp_neq_f32_e32 vcc, 0, v24
	v_cndmask_b32_e64 v15, 0, 1, vcc
	;; [unrolled: 3-line block ×3, first 2 shown]
	ds_write_b8 v0, v14 offset:1024
	ds_write_b8 v0, v15 offset:1280
	ds_write_b8 v0, v16 offset:1536
	s_waitcnt lgkmcnt(0)
	s_barrier
.LBB257_6:
	s_load_dwordx2 s[18:19], s[4:5], 0x68
	s_andn2_b64 vcc, exec, s[20:21]
	s_cbranch_vccnz .LBB257_22
; %bb.7:
	s_add_i32 s7, s7, s2
	s_sub_i32 s7, s8, s7
	s_addk_i32 s7, 0x700
	v_mov_b32_e32 v14, 0
	v_cmp_gt_u32_e32 vcc, s7, v0
	s_mov_b32 s8, 0
	v_mov_b32_e32 v16, v14
	v_mov_b32_e32 v15, v14
	s_and_saveexec_b64 s[2:3], vcc
	s_cbranch_execz .LBB257_9
; %bb.8:
	global_load_dword v14, v17, s[0:1]
	v_mov_b32_e32 v16, s8
	s_waitcnt vmcnt(0)
	v_cmp_neq_f32_e32 vcc, 0, v14
	v_cndmask_b32_e64 v14, 0, 1, vcc
	v_mov_b32_e32 v15, v14
.LBB257_9:
	s_or_b64 exec, exec, s[2:3]
	v_or_b32_e32 v18, 0x100, v0
	v_cmp_gt_u32_e32 vcc, s7, v18
	s_and_saveexec_b64 s[2:3], vcc
	s_cbranch_execz .LBB257_11
; %bb.10:
	global_load_dword v18, v17, s[0:1] offset:1024
	v_mov_b32_e32 v19, 8
	v_lshrrev_b32_sdwa v19, v19, v16 dst_sel:BYTE_1 dst_unused:UNUSED_PAD src0_sel:DWORD src1_sel:DWORD
	v_bfe_u32 v20, v16, 16, 8
	v_lshrrev_b32_e32 v23, 16, v14
	s_mov_b32 s8, 0xc0c0304
	v_or_b32_sdwa v16, v16, v19 dst_sel:DWORD dst_unused:UNUSED_PAD src0_sel:BYTE_0 src1_sel:DWORD
	v_and_b32_e32 v16, 0xffff, v16
	v_lshl_or_b32 v16, v20, 16, v16
	s_waitcnt vmcnt(0)
	v_cmp_neq_f32_e32 vcc, 0, v18
	v_cndmask_b32_e64 v18, 0, 1, vcc
	v_lshlrev_b16_e32 v18, 8, v18
	v_or_b32_sdwa v18, v14, v18 dst_sel:DWORD dst_unused:UNUSED_PAD src0_sel:BYTE_0 src1_sel:DWORD
	v_and_b32_e32 v18, 0xffff, v18
	v_perm_b32 v14, v23, v14, s8
	v_lshl_or_b32 v14, v14, 16, v18
.LBB257_11:
	s_or_b64 exec, exec, s[2:3]
	v_or_b32_e32 v18, 0x200, v0
	v_cmp_gt_u32_e32 vcc, s7, v18
	s_and_saveexec_b64 s[2:3], vcc
	s_cbranch_execz .LBB257_13
; %bb.12:
	global_load_dword v18, v17, s[0:1] offset:2048
	v_mov_b32_e32 v19, 8
	v_lshrrev_b32_e32 v23, 24, v14
	v_lshrrev_b32_sdwa v19, v19, v16 dst_sel:BYTE_1 dst_unused:UNUSED_PAD src0_sel:DWORD src1_sel:DWORD
	v_bfe_u32 v20, v16, 16, 8
	s_mov_b32 s8, 0xc0c0104
	v_lshlrev_b16_e32 v23, 8, v23
	v_or_b32_sdwa v16, v16, v19 dst_sel:DWORD dst_unused:UNUSED_PAD src0_sel:BYTE_0 src1_sel:DWORD
	v_and_b32_e32 v16, 0xffff, v16
	v_perm_b32 v14, v14, v14, s8
	v_lshl_or_b32 v16, v20, 16, v16
	s_waitcnt vmcnt(0)
	v_cmp_neq_f32_e32 vcc, 0, v18
	v_cndmask_b32_e64 v18, 0, 1, vcc
	v_or_b32_sdwa v18, v18, v23 dst_sel:WORD_1 dst_unused:UNUSED_PAD src0_sel:DWORD src1_sel:DWORD
	v_or_b32_e32 v14, v14, v18
.LBB257_13:
	s_or_b64 exec, exec, s[2:3]
	v_or_b32_e32 v18, 0x300, v0
	v_cmp_gt_u32_e32 vcc, s7, v18
	s_and_saveexec_b64 s[2:3], vcc
	s_cbranch_execz .LBB257_15
; %bb.14:
	global_load_dword v17, v17, s[0:1] offset:3072
	v_mov_b32_e32 v18, 8
	s_movk_i32 s8, 0xff
	v_lshrrev_b32_sdwa v18, v18, v16 dst_sel:BYTE_1 dst_unused:UNUSED_PAD src0_sel:DWORD src1_sel:DWORD
	v_bfe_u32 v19, v16, 16, 8
	s_mov_b32 s9, 0xc0c0104
	v_and_b32_sdwa v20, v14, s8 dst_sel:DWORD dst_unused:UNUSED_PAD src0_sel:WORD_1 src1_sel:DWORD
	v_or_b32_sdwa v16, v16, v18 dst_sel:DWORD dst_unused:UNUSED_PAD src0_sel:BYTE_0 src1_sel:DWORD
	v_and_b32_e32 v16, 0xffff, v16
	v_perm_b32 v14, v14, v14, s9
	v_lshl_or_b32 v16, v19, 16, v16
	s_waitcnt vmcnt(0)
	v_cmp_neq_f32_e32 vcc, 0, v17
	v_cndmask_b32_e64 v17, 0, 1, vcc
	v_lshlrev_b16_e32 v17, 8, v17
	v_or_b32_sdwa v17, v20, v17 dst_sel:WORD_1 dst_unused:UNUSED_PAD src0_sel:DWORD src1_sel:DWORD
	v_or_b32_e32 v14, v14, v17
.LBB257_15:
	s_or_b64 exec, exec, s[2:3]
	v_or_b32_e32 v17, 0x400, v0
	v_cmp_gt_u32_e32 vcc, s7, v17
	s_and_saveexec_b64 s[2:3], vcc
	s_cbranch_execz .LBB257_17
; %bb.16:
	v_lshlrev_b32_e32 v17, 2, v17
	global_load_dword v17, v17, s[0:1]
	v_mov_b32_e32 v18, 8
	v_bfe_u32 v19, v16, 16, 8
	v_lshrrev_b32_sdwa v16, v18, v16 dst_sel:BYTE_1 dst_unused:UNUSED_PAD src0_sel:DWORD src1_sel:DWORD
	s_mov_b32 s8, 0x3020104
	v_perm_b32 v14, v14, v14, s8
	s_waitcnt vmcnt(0)
	v_cmp_neq_f32_e32 vcc, 0, v17
	v_cndmask_b32_e64 v17, 0, 1, vcc
	v_or_b32_e32 v16, v17, v16
	v_and_b32_e32 v16, 0xffff, v16
	v_lshl_or_b32 v16, v19, 16, v16
.LBB257_17:
	s_or_b64 exec, exec, s[2:3]
	v_or_b32_e32 v17, 0x500, v0
	v_cmp_gt_u32_e32 vcc, s7, v17
	s_and_saveexec_b64 s[2:3], vcc
	s_cbranch_execz .LBB257_19
; %bb.18:
	v_lshlrev_b32_e32 v17, 2, v17
	global_load_dword v17, v17, s[0:1]
	v_bfe_u32 v18, v16, 16, 8
	s_mov_b32 s8, 0x3020104
	v_perm_b32 v14, v14, v14, s8
	s_waitcnt vmcnt(0)
	v_cmp_neq_f32_e32 vcc, 0, v17
	v_cndmask_b32_e64 v17, 0, 1, vcc
	v_lshlrev_b16_e32 v17, 8, v17
	v_or_b32_sdwa v16, v16, v17 dst_sel:DWORD dst_unused:UNUSED_PAD src0_sel:BYTE_0 src1_sel:DWORD
	v_and_b32_e32 v16, 0xffff, v16
	v_lshl_or_b32 v16, v18, 16, v16
.LBB257_19:
	s_or_b64 exec, exec, s[2:3]
	v_or_b32_e32 v17, 0x600, v0
	v_cmp_gt_u32_e32 vcc, s7, v17
	s_and_saveexec_b64 s[2:3], vcc
	s_cbranch_execz .LBB257_21
; %bb.20:
	v_lshlrev_b32_e32 v17, 2, v17
	global_load_dword v17, v17, s[0:1]
	v_mov_b32_e32 v18, 8
	v_lshrrev_b32_sdwa v18, v18, v16 dst_sel:BYTE_1 dst_unused:UNUSED_PAD src0_sel:DWORD src1_sel:DWORD
	v_or_b32_sdwa v16, v16, v18 dst_sel:DWORD dst_unused:UNUSED_PAD src0_sel:BYTE_0 src1_sel:DWORD
	s_mov_b32 s0, 0x3020104
	v_and_b32_e32 v16, 0xffff, v16
	v_perm_b32 v14, v14, v14, s0
	s_waitcnt vmcnt(0)
	v_cmp_neq_f32_e32 vcc, 0, v17
	v_cndmask_b32_e64 v17, 0, 1, vcc
	v_lshl_or_b32 v16, v17, 16, v16
.LBB257_21:
	s_or_b64 exec, exec, s[2:3]
	ds_write_b8 v0, v15
	v_lshrrev_b32_e32 v15, 8, v14
	ds_write_b8 v0, v15 offset:256
	ds_write_b8_d16_hi v0, v14 offset:512
	v_lshrrev_b32_e32 v14, 24, v14
	ds_write_b8 v0, v14 offset:768
	ds_write_b8 v0, v16 offset:1024
	v_lshrrev_b32_e32 v14, 8, v16
	ds_write_b8 v0, v14 offset:1280
	ds_write_b8_d16_hi v0, v16 offset:1536
	s_waitcnt lgkmcnt(0)
	s_barrier
.LBB257_22:
	s_movk_i32 s0, 0xffcf
	v_mad_i32_i24 v43, v0, s0, v13
	s_waitcnt lgkmcnt(0)
	ds_read_u8 v13, v43
	ds_read_u8 v15, v43 offset:1
	ds_read_u8 v16, v43 offset:2
	;; [unrolled: 1-line block ×6, first 2 shown]
	s_waitcnt lgkmcnt(6)
	v_and_b32_e32 v41, 1, v13
	s_waitcnt lgkmcnt(5)
	v_and_b32_e32 v40, 1, v15
	;; [unrolled: 2-line block ×4, first 2 shown]
	v_add3_u32 v13, v40, v41, v39
	s_waitcnt lgkmcnt(2)
	v_and_b32_e32 v37, 1, v18
	v_add_co_u32_e32 v13, vcc, v13, v38
	v_addc_co_u32_e64 v15, s[0:1], 0, 0, vcc
	v_add_co_u32_e32 v13, vcc, v13, v37
	s_waitcnt lgkmcnt(1)
	v_and_b32_e32 v36, 1, v19
	v_addc_co_u32_e32 v15, vcc, 0, v15, vcc
	v_add_co_u32_e32 v13, vcc, v13, v36
	s_waitcnt lgkmcnt(0)
	v_and_b32_e32 v35, 1, v20
	v_addc_co_u32_e32 v15, vcc, 0, v15, vcc
	v_add_co_u32_e32 v23, vcc, v13, v35
	v_mbcnt_lo_u32_b32 v13, -1, 0
	v_mbcnt_hi_u32_b32 v42, -1, v13
	v_and_b32_e32 v44, 15, v42
	s_cmp_lg_u32 s6, 0
	v_mov_b32_e32 v14, 0
	v_addc_co_u32_e32 v24, vcc, 0, v15, vcc
	v_cmp_ne_u32_e64 s[0:1], 0, v44
	s_barrier
	s_cbranch_scc0 .LBB257_78
; %bb.23:
	v_mov_b32_e32 v15, v23
	v_mov_b32_dpp v13, v23 row_shr:1 row_mask:0xf bank_mask:0xf
	v_mov_b32_dpp v18, v14 row_shr:1 row_mask:0xf bank_mask:0xf
	v_mov_b32_e32 v17, v23
	v_mov_b32_e32 v16, v24
	s_and_saveexec_b64 s[2:3], s[0:1]
; %bb.24:
	v_add_co_u32_e32 v17, vcc, v23, v13
	v_addc_co_u32_e32 v14, vcc, 0, v24, vcc
	v_add_co_u32_e32 v13, vcc, 0, v17
	v_addc_co_u32_e32 v14, vcc, v18, v14, vcc
	v_mov_b32_e32 v16, v14
	v_mov_b32_e32 v15, v13
; %bb.25:
	s_or_b64 exec, exec, s[2:3]
	v_mov_b32_dpp v13, v17 row_shr:2 row_mask:0xf bank_mask:0xf
	v_mov_b32_dpp v18, v14 row_shr:2 row_mask:0xf bank_mask:0xf
	v_cmp_lt_u32_e32 vcc, 1, v44
	s_and_saveexec_b64 s[2:3], vcc
; %bb.26:
	v_add_co_u32_e32 v17, vcc, v15, v13
	v_addc_co_u32_e32 v14, vcc, 0, v16, vcc
	v_add_co_u32_e32 v13, vcc, 0, v17
	v_addc_co_u32_e32 v14, vcc, v18, v14, vcc
	v_mov_b32_e32 v16, v14
	v_mov_b32_e32 v15, v13
; %bb.27:
	s_or_b64 exec, exec, s[2:3]
	v_mov_b32_dpp v13, v17 row_shr:4 row_mask:0xf bank_mask:0xf
	v_mov_b32_dpp v18, v14 row_shr:4 row_mask:0xf bank_mask:0xf
	v_cmp_lt_u32_e32 vcc, 3, v44
	s_and_saveexec_b64 s[2:3], vcc
	;; [unrolled: 13-line block ×3, first 2 shown]
; %bb.30:
	v_add_co_u32_e32 v17, vcc, v15, v13
	v_addc_co_u32_e32 v14, vcc, 0, v16, vcc
	v_add_co_u32_e32 v13, vcc, 0, v17
	v_addc_co_u32_e32 v14, vcc, v18, v14, vcc
	v_mov_b32_e32 v16, v14
	v_mov_b32_e32 v15, v13
; %bb.31:
	s_or_b64 exec, exec, s[2:3]
	v_and_b32_e32 v19, 16, v42
	v_mov_b32_dpp v13, v17 row_bcast:15 row_mask:0xf bank_mask:0xf
	v_mov_b32_dpp v18, v14 row_bcast:15 row_mask:0xf bank_mask:0xf
	v_cmp_ne_u32_e32 vcc, 0, v19
	s_and_saveexec_b64 s[2:3], vcc
; %bb.32:
	v_add_co_u32_e32 v17, vcc, v15, v13
	v_addc_co_u32_e32 v14, vcc, 0, v16, vcc
	v_add_co_u32_e32 v13, vcc, 0, v17
	v_addc_co_u32_e32 v14, vcc, v18, v14, vcc
	v_mov_b32_e32 v16, v14
	v_mov_b32_e32 v15, v13
; %bb.33:
	s_or_b64 exec, exec, s[2:3]
	v_mov_b32_dpp v13, v17 row_bcast:31 row_mask:0xf bank_mask:0xf
	v_mov_b32_dpp v18, v14 row_bcast:31 row_mask:0xf bank_mask:0xf
	v_cmp_lt_u32_e32 vcc, 31, v42
	s_and_saveexec_b64 s[2:3], vcc
; %bb.34:
	v_add_co_u32_e32 v17, vcc, v15, v13
	v_addc_co_u32_e32 v14, vcc, 0, v16, vcc
	v_add_co_u32_e32 v13, vcc, 0, v17
	v_addc_co_u32_e32 v14, vcc, v18, v14, vcc
	v_mov_b32_e32 v16, v14
	v_mov_b32_e32 v15, v13
; %bb.35:
	s_or_b64 exec, exec, s[2:3]
	v_or_b32_e32 v18, 63, v0
	v_lshrrev_b32_e32 v13, 6, v0
	v_cmp_eq_u32_e32 vcc, v0, v18
	s_and_saveexec_b64 s[2:3], vcc
; %bb.36:
	v_lshlrev_b32_e32 v18, 3, v13
	ds_write_b64 v18, v[15:16]
; %bb.37:
	s_or_b64 exec, exec, s[2:3]
	v_cmp_gt_u32_e32 vcc, 4, v0
	s_waitcnt lgkmcnt(0)
	s_barrier
	s_and_saveexec_b64 s[2:3], vcc
	s_cbranch_execz .LBB257_41
; %bb.38:
	v_lshlrev_b32_e32 v18, 3, v0
	ds_read_b64 v[15:16], v18
	v_and_b32_e32 v19, 3, v42
	v_cmp_ne_u32_e32 vcc, 0, v19
	s_waitcnt lgkmcnt(0)
	v_mov_b32_dpp v26, v15 row_shr:1 row_mask:0xf bank_mask:0xf
	v_mov_b32_dpp v25, v16 row_shr:1 row_mask:0xf bank_mask:0xf
	v_mov_b32_e32 v20, v15
	s_and_saveexec_b64 s[8:9], vcc
; %bb.39:
	v_add_co_u32_e32 v20, vcc, v15, v26
	v_addc_co_u32_e32 v16, vcc, 0, v16, vcc
	v_add_co_u32_e32 v15, vcc, 0, v20
	v_addc_co_u32_e32 v16, vcc, v25, v16, vcc
; %bb.40:
	s_or_b64 exec, exec, s[8:9]
	v_mov_b32_dpp v20, v20 row_shr:2 row_mask:0xf bank_mask:0xf
	v_add_co_u32_e32 v20, vcc, v15, v20
	v_addc_co_u32_e32 v26, vcc, 0, v16, vcc
	v_mov_b32_dpp v25, v16 row_shr:2 row_mask:0xf bank_mask:0xf
	v_add_co_u32_e32 v20, vcc, 0, v20
	v_addc_co_u32_e32 v25, vcc, v26, v25, vcc
	v_cmp_lt_u32_e32 vcc, 1, v19
	v_cndmask_b32_e32 v16, v16, v25, vcc
	v_cndmask_b32_e32 v15, v15, v20, vcc
	ds_write_b64 v18, v[15:16]
.LBB257_41:
	s_or_b64 exec, exec, s[2:3]
	v_cmp_gt_u32_e32 vcc, 64, v0
	v_cmp_lt_u32_e64 s[2:3], 63, v0
	s_waitcnt lgkmcnt(0)
	s_barrier
                                        ; implicit-def: $vgpr25_vgpr26
	s_and_saveexec_b64 s[8:9], s[2:3]
	s_cbranch_execz .LBB257_43
; %bb.42:
	v_lshl_add_u32 v13, v13, 3, -8
	ds_read_b64 v[25:26], v13
	s_waitcnt lgkmcnt(0)
	v_add_co_u32_e64 v17, s[2:3], v17, v25
	v_addc_co_u32_e64 v14, s[2:3], v14, v26, s[2:3]
.LBB257_43:
	s_or_b64 exec, exec, s[8:9]
	v_subrev_co_u32_e64 v13, s[2:3], 1, v42
	v_and_b32_e32 v15, 64, v42
	v_cmp_lt_i32_e64 s[8:9], v13, v15
	v_cndmask_b32_e64 v13, v13, v42, s[8:9]
	v_lshlrev_b32_e32 v13, 2, v13
	ds_bpermute_b32 v33, v13, v17
	ds_bpermute_b32 v34, v13, v14
	s_and_saveexec_b64 s[8:9], vcc
	s_cbranch_execz .LBB257_83
; %bb.44:
	v_mov_b32_e32 v16, 0
	ds_read_b64 v[13:14], v16 offset:24
	s_and_saveexec_b64 s[20:21], s[2:3]
	s_cbranch_execz .LBB257_46
; %bb.45:
	s_add_i32 s22, s6, 64
	s_mov_b32 s23, 0
	s_lshl_b64 s[22:23], s[22:23], 4
	s_add_u32 s22, s18, s22
	s_addc_u32 s23, s19, s23
	v_mov_b32_e32 v17, s22
	v_mov_b32_e32 v15, 1
	;; [unrolled: 1-line block ×3, first 2 shown]
	s_waitcnt lgkmcnt(0)
	;;#ASMSTART
	global_store_dwordx4 v[17:18], v[13:16] off	
s_waitcnt vmcnt(0)
	;;#ASMEND
.LBB257_46:
	s_or_b64 exec, exec, s[20:21]
	v_xad_u32 v27, v42, -1, s6
	v_add_u32_e32 v15, 64, v27
	v_lshlrev_b64 v[17:18], 4, v[15:16]
	v_mov_b32_e32 v15, s19
	v_add_co_u32_e32 v28, vcc, s18, v17
	v_addc_co_u32_e32 v29, vcc, v15, v18, vcc
	;;#ASMSTART
	global_load_dwordx4 v[17:20], v[28:29] off glc	
s_waitcnt vmcnt(0)
	;;#ASMEND
	v_cmp_eq_u16_sdwa s[22:23], v19, v16 src0_sel:BYTE_0 src1_sel:DWORD
	s_and_saveexec_b64 s[20:21], s[22:23]
	s_cbranch_execz .LBB257_50
; %bb.47:
	s_mov_b64 s[22:23], 0
	v_mov_b32_e32 v15, 0
.LBB257_48:                             ; =>This Inner Loop Header: Depth=1
	;;#ASMSTART
	global_load_dwordx4 v[17:20], v[28:29] off glc	
s_waitcnt vmcnt(0)
	;;#ASMEND
	v_cmp_ne_u16_sdwa s[24:25], v19, v15 src0_sel:BYTE_0 src1_sel:DWORD
	s_or_b64 s[22:23], s[24:25], s[22:23]
	s_andn2_b64 exec, exec, s[22:23]
	s_cbranch_execnz .LBB257_48
; %bb.49:
	s_or_b64 exec, exec, s[22:23]
.LBB257_50:
	s_or_b64 exec, exec, s[20:21]
	v_and_b32_e32 v45, 63, v42
	v_mov_b32_e32 v15, 2
	v_lshlrev_b64 v[29:30], v42, -1
	v_cmp_ne_u32_e32 vcc, 63, v45
	v_cmp_eq_u16_sdwa s[20:21], v19, v15 src0_sel:BYTE_0 src1_sel:DWORD
	v_addc_co_u32_e32 v20, vcc, 0, v42, vcc
	v_and_b32_e32 v15, s21, v30
	v_lshlrev_b32_e32 v46, 2, v20
	v_or_b32_e32 v15, 0x80000000, v15
	ds_bpermute_b32 v28, v46, v17
	ds_bpermute_b32 v20, v46, v18
	v_and_b32_e32 v16, s20, v29
	v_ffbl_b32_e32 v15, v15
	v_add_u32_e32 v15, 32, v15
	v_ffbl_b32_e32 v16, v16
	v_min_u32_e32 v15, v16, v15
	v_cmp_lt_u32_e32 vcc, v45, v15
	v_mov_b32_e32 v16, v17
	s_and_saveexec_b64 s[20:21], vcc
	s_cbranch_execz .LBB257_52
; %bb.51:
	s_waitcnt lgkmcnt(1)
	v_add_co_u32_e32 v16, vcc, v17, v28
	v_addc_co_u32_e32 v18, vcc, 0, v18, vcc
	v_add_co_u32_e32 v17, vcc, 0, v16
	s_waitcnt lgkmcnt(0)
	v_addc_co_u32_e32 v18, vcc, v20, v18, vcc
.LBB257_52:
	s_or_b64 exec, exec, s[20:21]
	v_cmp_gt_u32_e32 vcc, 62, v45
	s_waitcnt lgkmcnt(0)
	v_cndmask_b32_e64 v20, 0, 2, vcc
	v_add_lshl_u32 v47, v20, v42, 2
	ds_bpermute_b32 v28, v47, v16
	ds_bpermute_b32 v20, v47, v18
	v_add_u32_e32 v48, 2, v45
	v_cmp_le_u32_e32 vcc, v48, v15
	s_and_saveexec_b64 s[20:21], vcc
	s_cbranch_execz .LBB257_54
; %bb.53:
	s_waitcnt lgkmcnt(1)
	v_add_co_u32_e32 v16, vcc, v17, v28
	v_addc_co_u32_e32 v18, vcc, 0, v18, vcc
	v_add_co_u32_e32 v17, vcc, 0, v16
	s_waitcnt lgkmcnt(0)
	v_addc_co_u32_e32 v18, vcc, v20, v18, vcc
.LBB257_54:
	s_or_b64 exec, exec, s[20:21]
	v_cmp_gt_u32_e32 vcc, 60, v45
	s_waitcnt lgkmcnt(0)
	v_cndmask_b32_e64 v20, 0, 4, vcc
	v_add_lshl_u32 v49, v20, v42, 2
	ds_bpermute_b32 v28, v49, v16
	ds_bpermute_b32 v20, v49, v18
	v_add_u32_e32 v50, 4, v45
	v_cmp_le_u32_e32 vcc, v50, v15
	;; [unrolled: 19-line block ×4, first 2 shown]
	s_and_saveexec_b64 s[20:21], vcc
	s_cbranch_execz .LBB257_60
; %bb.59:
	s_waitcnt lgkmcnt(1)
	v_add_co_u32_e32 v16, vcc, v17, v28
	v_addc_co_u32_e32 v18, vcc, 0, v18, vcc
	v_add_co_u32_e32 v17, vcc, 0, v16
	s_waitcnt lgkmcnt(0)
	v_addc_co_u32_e32 v18, vcc, v20, v18, vcc
.LBB257_60:
	s_or_b64 exec, exec, s[20:21]
	s_waitcnt lgkmcnt(0)
	v_mov_b32_e32 v20, 0x80
	v_lshl_or_b32 v55, v42, 2, v20
	ds_bpermute_b32 v16, v55, v16
	ds_bpermute_b32 v20, v55, v18
	v_add_u32_e32 v56, 32, v45
	v_mov_b32_e32 v28, 0
	v_mov_b32_e32 v57, 2
	s_waitcnt lgkmcnt(1)
	v_add_co_u32_e32 v16, vcc, v17, v16
	v_addc_co_u32_e32 v31, vcc, 0, v18, vcc
	v_add_co_u32_e32 v16, vcc, 0, v16
	s_waitcnt lgkmcnt(0)
	v_addc_co_u32_e32 v20, vcc, v31, v20, vcc
	v_cmp_gt_u32_e32 vcc, v56, v15
	v_cndmask_b32_e32 v18, v20, v18, vcc
	v_cndmask_b32_e32 v17, v16, v17, vcc
	s_branch .LBB257_63
.LBB257_61:                             ;   in Loop: Header=BB257_63 Depth=1
	s_or_b64 exec, exec, s[20:21]
	ds_bpermute_b32 v31, v55, v31
	s_waitcnt lgkmcnt(1)
	ds_bpermute_b32 v32, v55, v18
	v_subrev_u32_e32 v27, 64, v27
	s_mov_b64 s[20:21], 0
	s_waitcnt lgkmcnt(1)
	v_add_co_u32_e32 v31, vcc, v17, v31
	v_addc_co_u32_e32 v58, vcc, 0, v18, vcc
	v_add_co_u32_e32 v31, vcc, 0, v31
	s_waitcnt lgkmcnt(0)
	v_addc_co_u32_e32 v32, vcc, v58, v32, vcc
	v_cmp_gt_u32_e32 vcc, v56, v20
	v_cndmask_b32_e32 v17, v31, v17, vcc
	v_cndmask_b32_e32 v18, v32, v18, vcc
	v_add_co_u32_e32 v17, vcc, v17, v15
	v_addc_co_u32_e32 v18, vcc, v18, v16, vcc
.LBB257_62:                             ;   in Loop: Header=BB257_63 Depth=1
	s_and_b64 vcc, exec, s[20:21]
	s_cbranch_vccnz .LBB257_79
.LBB257_63:                             ; =>This Loop Header: Depth=1
                                        ;     Child Loop BB257_66 Depth 2
	v_mov_b32_e32 v15, v17
	v_cmp_ne_u16_sdwa s[20:21], v19, v57 src0_sel:BYTE_0 src1_sel:DWORD
	v_mov_b32_e32 v16, v18
	s_cmp_lg_u64 s[20:21], exec
	s_mov_b64 s[20:21], -1
                                        ; implicit-def: $vgpr17_vgpr18
                                        ; implicit-def: $vgpr19
	s_cbranch_scc1 .LBB257_62
; %bb.64:                               ;   in Loop: Header=BB257_63 Depth=1
	v_lshlrev_b64 v[17:18], 4, v[27:28]
	v_mov_b32_e32 v19, s19
	v_add_co_u32_e32 v31, vcc, s18, v17
	v_addc_co_u32_e32 v32, vcc, v19, v18, vcc
	;;#ASMSTART
	global_load_dwordx4 v[17:20], v[31:32] off glc	
s_waitcnt vmcnt(0)
	;;#ASMEND
	v_cmp_eq_u16_sdwa s[22:23], v19, v28 src0_sel:BYTE_0 src1_sel:DWORD
	s_and_saveexec_b64 s[20:21], s[22:23]
	s_cbranch_execz .LBB257_68
; %bb.65:                               ;   in Loop: Header=BB257_63 Depth=1
	s_mov_b64 s[22:23], 0
.LBB257_66:                             ;   Parent Loop BB257_63 Depth=1
                                        ; =>  This Inner Loop Header: Depth=2
	;;#ASMSTART
	global_load_dwordx4 v[17:20], v[31:32] off glc	
s_waitcnt vmcnt(0)
	;;#ASMEND
	v_cmp_ne_u16_sdwa s[24:25], v19, v28 src0_sel:BYTE_0 src1_sel:DWORD
	s_or_b64 s[22:23], s[24:25], s[22:23]
	s_andn2_b64 exec, exec, s[22:23]
	s_cbranch_execnz .LBB257_66
; %bb.67:                               ;   in Loop: Header=BB257_63 Depth=1
	s_or_b64 exec, exec, s[22:23]
.LBB257_68:                             ;   in Loop: Header=BB257_63 Depth=1
	s_or_b64 exec, exec, s[20:21]
	v_cmp_eq_u16_sdwa s[20:21], v19, v57 src0_sel:BYTE_0 src1_sel:DWORD
	v_and_b32_e32 v20, s21, v30
	v_or_b32_e32 v20, 0x80000000, v20
	ds_bpermute_b32 v58, v46, v17
	ds_bpermute_b32 v32, v46, v18
	v_and_b32_e32 v31, s20, v29
	v_ffbl_b32_e32 v20, v20
	v_add_u32_e32 v20, 32, v20
	v_ffbl_b32_e32 v31, v31
	v_min_u32_e32 v20, v31, v20
	v_cmp_lt_u32_e32 vcc, v45, v20
	v_mov_b32_e32 v31, v17
	s_and_saveexec_b64 s[20:21], vcc
	s_cbranch_execz .LBB257_70
; %bb.69:                               ;   in Loop: Header=BB257_63 Depth=1
	s_waitcnt lgkmcnt(1)
	v_add_co_u32_e32 v31, vcc, v17, v58
	v_addc_co_u32_e32 v18, vcc, 0, v18, vcc
	v_add_co_u32_e32 v17, vcc, 0, v31
	s_waitcnt lgkmcnt(0)
	v_addc_co_u32_e32 v18, vcc, v32, v18, vcc
.LBB257_70:                             ;   in Loop: Header=BB257_63 Depth=1
	s_or_b64 exec, exec, s[20:21]
	s_waitcnt lgkmcnt(1)
	ds_bpermute_b32 v58, v47, v31
	s_waitcnt lgkmcnt(1)
	ds_bpermute_b32 v32, v47, v18
	v_cmp_le_u32_e32 vcc, v48, v20
	s_and_saveexec_b64 s[20:21], vcc
	s_cbranch_execz .LBB257_72
; %bb.71:                               ;   in Loop: Header=BB257_63 Depth=1
	s_waitcnt lgkmcnt(1)
	v_add_co_u32_e32 v31, vcc, v17, v58
	v_addc_co_u32_e32 v18, vcc, 0, v18, vcc
	v_add_co_u32_e32 v17, vcc, 0, v31
	s_waitcnt lgkmcnt(0)
	v_addc_co_u32_e32 v18, vcc, v32, v18, vcc
.LBB257_72:                             ;   in Loop: Header=BB257_63 Depth=1
	s_or_b64 exec, exec, s[20:21]
	s_waitcnt lgkmcnt(1)
	ds_bpermute_b32 v58, v49, v31
	s_waitcnt lgkmcnt(1)
	ds_bpermute_b32 v32, v49, v18
	v_cmp_le_u32_e32 vcc, v50, v20
	s_and_saveexec_b64 s[20:21], vcc
	s_cbranch_execz .LBB257_74
; %bb.73:                               ;   in Loop: Header=BB257_63 Depth=1
	s_waitcnt lgkmcnt(1)
	v_add_co_u32_e32 v31, vcc, v17, v58
	v_addc_co_u32_e32 v18, vcc, 0, v18, vcc
	v_add_co_u32_e32 v17, vcc, 0, v31
	s_waitcnt lgkmcnt(0)
	v_addc_co_u32_e32 v18, vcc, v32, v18, vcc
.LBB257_74:                             ;   in Loop: Header=BB257_63 Depth=1
	s_or_b64 exec, exec, s[20:21]
	s_waitcnt lgkmcnt(1)
	ds_bpermute_b32 v58, v51, v31
	s_waitcnt lgkmcnt(1)
	ds_bpermute_b32 v32, v51, v18
	v_cmp_le_u32_e32 vcc, v52, v20
	s_and_saveexec_b64 s[20:21], vcc
	s_cbranch_execz .LBB257_76
; %bb.75:                               ;   in Loop: Header=BB257_63 Depth=1
	s_waitcnt lgkmcnt(1)
	v_add_co_u32_e32 v31, vcc, v17, v58
	v_addc_co_u32_e32 v18, vcc, 0, v18, vcc
	v_add_co_u32_e32 v17, vcc, 0, v31
	s_waitcnt lgkmcnt(0)
	v_addc_co_u32_e32 v18, vcc, v32, v18, vcc
.LBB257_76:                             ;   in Loop: Header=BB257_63 Depth=1
	s_or_b64 exec, exec, s[20:21]
	s_waitcnt lgkmcnt(1)
	ds_bpermute_b32 v58, v53, v31
	s_waitcnt lgkmcnt(1)
	ds_bpermute_b32 v32, v53, v18
	v_cmp_le_u32_e32 vcc, v54, v20
	s_and_saveexec_b64 s[20:21], vcc
	s_cbranch_execz .LBB257_61
; %bb.77:                               ;   in Loop: Header=BB257_63 Depth=1
	s_waitcnt lgkmcnt(1)
	v_add_co_u32_e32 v31, vcc, v17, v58
	v_addc_co_u32_e32 v18, vcc, 0, v18, vcc
	v_add_co_u32_e32 v17, vcc, 0, v31
	s_waitcnt lgkmcnt(0)
	v_addc_co_u32_e32 v18, vcc, v32, v18, vcc
	s_branch .LBB257_61
.LBB257_78:
                                        ; implicit-def: $vgpr19_vgpr20
                                        ; implicit-def: $vgpr17_vgpr18
                                        ; implicit-def: $vgpr25_vgpr26
                                        ; implicit-def: $vgpr27_vgpr28
                                        ; implicit-def: $vgpr29_vgpr30
                                        ; implicit-def: $vgpr31_vgpr32
                                        ; implicit-def: $vgpr33_vgpr34
                                        ; implicit-def: $vgpr15_vgpr16
	s_load_dwordx2 s[2:3], s[4:5], 0x30
	s_cbranch_execnz .LBB257_84
	s_branch .LBB257_105
.LBB257_79:
	s_and_saveexec_b64 s[20:21], s[2:3]
	s_cbranch_execz .LBB257_81
; %bb.80:
	s_add_i32 s6, s6, 64
	s_mov_b32 s7, 0
	s_lshl_b64 s[6:7], s[6:7], 4
	s_add_u32 s6, s18, s6
	s_addc_u32 s7, s19, s7
	v_add_co_u32_e32 v17, vcc, v15, v13
	v_mov_b32_e32 v28, s7
	v_addc_co_u32_e32 v18, vcc, v16, v14, vcc
	v_mov_b32_e32 v19, 2
	v_mov_b32_e32 v20, 0
	;; [unrolled: 1-line block ×3, first 2 shown]
	;;#ASMSTART
	global_store_dwordx4 v[27:28], v[17:20] off	
s_waitcnt vmcnt(0)
	;;#ASMEND
	ds_write_b128 v20, v[13:16] offset:14336
.LBB257_81:
	s_or_b64 exec, exec, s[20:21]
	v_cmp_eq_u32_e32 vcc, 0, v0
	s_and_b64 exec, exec, vcc
; %bb.82:
	v_mov_b32_e32 v13, 0
	ds_write_b64 v13, v[15:16] offset:24
.LBB257_83:
	s_or_b64 exec, exec, s[8:9]
	v_mov_b32_e32 v19, 0
	s_waitcnt lgkmcnt(0)
	s_barrier
	ds_read_b64 v[13:14], v19 offset:24
	v_cndmask_b32_e64 v15, v33, v25, s[2:3]
	v_cmp_ne_u32_e32 vcc, 0, v0
	v_cndmask_b32_e64 v16, v34, v26, s[2:3]
	v_cndmask_b32_e32 v15, 0, v15, vcc
	v_cndmask_b32_e32 v16, 0, v16, vcc
	s_waitcnt lgkmcnt(0)
	v_add_co_u32_e32 v33, vcc, v13, v15
	v_addc_co_u32_e32 v34, vcc, v14, v16, vcc
	v_add_co_u32_e32 v31, vcc, v33, v41
	v_addc_co_u32_e32 v32, vcc, 0, v34, vcc
	;; [unrolled: 2-line block ×5, first 2 shown]
	s_barrier
	ds_read_b128 v[13:16], v19 offset:14336
	v_add_co_u32_e32 v17, vcc, v25, v37
	v_addc_co_u32_e32 v18, vcc, 0, v26, vcc
	v_add_co_u32_e32 v19, vcc, v17, v36
	v_addc_co_u32_e32 v20, vcc, 0, v18, vcc
	s_load_dwordx2 s[2:3], s[4:5], 0x30
	s_branch .LBB257_105
.LBB257_84:
	s_waitcnt lgkmcnt(0)
	v_mov_b32_e32 v14, 0
	v_mov_b32_dpp v16, v23 row_shr:1 row_mask:0xf bank_mask:0xf
	v_mov_b32_e32 v15, v23
	v_mov_b32_dpp v13, v14 row_shr:1 row_mask:0xf bank_mask:0xf
	s_and_saveexec_b64 s[4:5], s[0:1]
; %bb.85:
	v_add_co_u32_e32 v15, vcc, v23, v16
	v_addc_co_u32_e32 v14, vcc, 0, v24, vcc
	v_add_co_u32_e32 v23, vcc, 0, v15
	v_addc_co_u32_e32 v24, vcc, v13, v14, vcc
	v_mov_b32_e32 v14, v24
; %bb.86:
	s_or_b64 exec, exec, s[4:5]
	v_mov_b32_dpp v13, v15 row_shr:2 row_mask:0xf bank_mask:0xf
	v_mov_b32_dpp v16, v14 row_shr:2 row_mask:0xf bank_mask:0xf
	v_cmp_lt_u32_e32 vcc, 1, v44
	s_and_saveexec_b64 s[0:1], vcc
; %bb.87:
	v_add_co_u32_e32 v15, vcc, v23, v13
	v_addc_co_u32_e32 v14, vcc, 0, v24, vcc
	v_add_co_u32_e32 v13, vcc, 0, v15
	v_addc_co_u32_e32 v14, vcc, v16, v14, vcc
	v_mov_b32_e32 v24, v14
	v_mov_b32_e32 v23, v13
; %bb.88:
	s_or_b64 exec, exec, s[0:1]
	v_mov_b32_dpp v13, v15 row_shr:4 row_mask:0xf bank_mask:0xf
	v_mov_b32_dpp v16, v14 row_shr:4 row_mask:0xf bank_mask:0xf
	v_cmp_lt_u32_e32 vcc, 3, v44
	s_and_saveexec_b64 s[0:1], vcc
; %bb.89:
	v_add_co_u32_e32 v15, vcc, v23, v13
	v_addc_co_u32_e32 v14, vcc, 0, v24, vcc
	v_add_co_u32_e32 v13, vcc, 0, v15
	v_addc_co_u32_e32 v14, vcc, v16, v14, vcc
	v_mov_b32_e32 v24, v14
	;; [unrolled: 13-line block ×3, first 2 shown]
	v_mov_b32_e32 v23, v13
; %bb.92:
	s_or_b64 exec, exec, s[0:1]
	v_and_b32_e32 v17, 16, v42
	v_mov_b32_dpp v16, v15 row_bcast:15 row_mask:0xf bank_mask:0xf
	v_mov_b32_dpp v13, v14 row_bcast:15 row_mask:0xf bank_mask:0xf
	v_cmp_ne_u32_e32 vcc, 0, v17
	s_and_saveexec_b64 s[0:1], vcc
; %bb.93:
	v_add_co_u32_e32 v15, vcc, v23, v16
	v_addc_co_u32_e32 v14, vcc, 0, v24, vcc
	v_add_co_u32_e32 v23, vcc, 0, v15
	v_addc_co_u32_e32 v24, vcc, v13, v14, vcc
	v_mov_b32_e32 v14, v24
; %bb.94:
	s_or_b64 exec, exec, s[0:1]
	v_mov_b32_dpp v13, v15 row_bcast:31 row_mask:0xf bank_mask:0xf
	v_add_co_u32_e32 v13, vcc, v23, v13
	v_addc_co_u32_e32 v15, vcc, 0, v24, vcc
	v_mov_b32_dpp v14, v14 row_bcast:31 row_mask:0xf bank_mask:0xf
	v_add_co_u32_e32 v13, vcc, 0, v13
	v_addc_co_u32_e32 v14, vcc, v15, v14, vcc
	v_cmp_lt_u32_e32 vcc, 31, v42
	v_or_b32_e32 v15, 63, v0
	v_cndmask_b32_e32 v14, v24, v14, vcc
	v_cndmask_b32_e32 v13, v23, v13, vcc
	v_lshrrev_b32_e32 v19, 6, v0
	v_cmp_eq_u32_e32 vcc, v0, v15
	s_and_saveexec_b64 s[0:1], vcc
; %bb.95:
	v_lshlrev_b32_e32 v15, 3, v19
	ds_write_b64 v15, v[13:14]
; %bb.96:
	s_or_b64 exec, exec, s[0:1]
	v_cmp_gt_u32_e32 vcc, 4, v0
	s_waitcnt lgkmcnt(0)
	s_barrier
	s_and_saveexec_b64 s[0:1], vcc
	s_cbranch_execz .LBB257_100
; %bb.97:
	v_add_u32_e32 v17, v43, v0
	ds_read_b64 v[15:16], v17
	v_and_b32_e32 v18, 3, v42
	v_cmp_ne_u32_e32 vcc, 0, v18
	s_waitcnt lgkmcnt(0)
	v_mov_b32_dpp v24, v15 row_shr:1 row_mask:0xf bank_mask:0xf
	v_mov_b32_dpp v23, v16 row_shr:1 row_mask:0xf bank_mask:0xf
	v_mov_b32_e32 v20, v15
	s_and_saveexec_b64 s[4:5], vcc
; %bb.98:
	v_add_co_u32_e32 v20, vcc, v15, v24
	v_addc_co_u32_e32 v16, vcc, 0, v16, vcc
	v_add_co_u32_e32 v15, vcc, 0, v20
	v_addc_co_u32_e32 v16, vcc, v23, v16, vcc
; %bb.99:
	s_or_b64 exec, exec, s[4:5]
	v_mov_b32_dpp v20, v20 row_shr:2 row_mask:0xf bank_mask:0xf
	v_add_co_u32_e32 v20, vcc, v15, v20
	v_addc_co_u32_e32 v24, vcc, 0, v16, vcc
	v_mov_b32_dpp v23, v16 row_shr:2 row_mask:0xf bank_mask:0xf
	v_add_co_u32_e32 v20, vcc, 0, v20
	v_addc_co_u32_e32 v23, vcc, v24, v23, vcc
	v_cmp_lt_u32_e32 vcc, 1, v18
	v_cndmask_b32_e32 v16, v16, v23, vcc
	v_cndmask_b32_e32 v15, v15, v20, vcc
	ds_write_b64 v17, v[15:16]
.LBB257_100:
	s_or_b64 exec, exec, s[0:1]
	v_mov_b32_e32 v17, 0
	v_mov_b32_e32 v18, 0
	v_cmp_lt_u32_e32 vcc, 63, v0
	s_waitcnt lgkmcnt(0)
	s_barrier
	s_and_saveexec_b64 s[0:1], vcc
; %bb.101:
	v_lshl_add_u32 v15, v19, 3, -8
	ds_read_b64 v[17:18], v15
; %bb.102:
	s_or_b64 exec, exec, s[0:1]
	s_waitcnt lgkmcnt(0)
	v_add_co_u32_e32 v13, vcc, v17, v13
	v_addc_co_u32_e32 v14, vcc, v18, v14, vcc
	v_subrev_co_u32_e32 v15, vcc, 1, v42
	v_and_b32_e32 v16, 64, v42
	v_cmp_lt_i32_e64 s[0:1], v15, v16
	v_cndmask_b32_e64 v15, v15, v42, s[0:1]
	v_lshlrev_b32_e32 v15, 2, v15
	v_mov_b32_e32 v16, 0
	ds_bpermute_b32 v19, v15, v13
	ds_bpermute_b32 v20, v15, v14
	ds_read_b64 v[13:14], v16 offset:24
	v_cmp_eq_u32_e64 s[0:1], 0, v0
	s_and_saveexec_b64 s[4:5], s[0:1]
	s_cbranch_execz .LBB257_104
; %bb.103:
	s_add_u32 s6, s18, 0x400
	s_addc_u32 s7, s19, 0
	v_mov_b32_e32 v24, s7
	v_mov_b32_e32 v15, 2
	;; [unrolled: 1-line block ×3, first 2 shown]
	s_waitcnt lgkmcnt(0)
	;;#ASMSTART
	global_store_dwordx4 v[23:24], v[13:16] off	
s_waitcnt vmcnt(0)
	;;#ASMEND
.LBB257_104:
	s_or_b64 exec, exec, s[4:5]
	s_waitcnt lgkmcnt(2)
	v_cndmask_b32_e32 v15, v19, v17, vcc
	s_waitcnt lgkmcnt(1)
	v_cndmask_b32_e32 v16, v20, v18, vcc
	v_cndmask_b32_e64 v33, v15, 0, s[0:1]
	v_cndmask_b32_e64 v34, v16, 0, s[0:1]
	v_add_co_u32_e32 v31, vcc, v33, v41
	v_addc_co_u32_e32 v32, vcc, 0, v34, vcc
	v_add_co_u32_e32 v29, vcc, v31, v40
	v_addc_co_u32_e32 v30, vcc, 0, v32, vcc
	;; [unrolled: 2-line block ×5, first 2 shown]
	v_add_co_u32_e32 v19, vcc, v17, v36
	v_mov_b32_e32 v15, 0
	v_addc_co_u32_e32 v20, vcc, 0, v18, vcc
	s_waitcnt lgkmcnt(0)
	s_barrier
	v_mov_b32_e32 v16, 0
.LBB257_105:
	s_mov_b64 s[0:1], 0x101
	s_waitcnt lgkmcnt(0)
	v_cmp_gt_u64_e32 vcc, s[0:1], v[13:14]
	s_mov_b64 s[4:5], -1
	v_cmp_eq_u32_e64 s[0:1], 1, v41
	s_cbranch_vccnz .LBB257_109
; %bb.106:
	s_and_b64 vcc, exec, s[4:5]
	s_cbranch_vccnz .LBB257_124
.LBB257_107:
	v_cmp_eq_u32_e32 vcc, 0, v0
	s_and_b64 s[0:1], vcc, s[14:15]
	s_and_saveexec_b64 s[2:3], s[0:1]
	s_cbranch_execnz .LBB257_135
.LBB257_108:
	s_endpgm
.LBB257_109:
	v_add_co_u32_e32 v23, vcc, v15, v13
	v_addc_co_u32_e32 v24, vcc, v16, v14, vcc
	v_cmp_lt_u64_e32 vcc, v[33:34], v[23:24]
	s_or_b64 s[4:5], s[16:17], vcc
	s_and_b64 s[4:5], s[4:5], s[0:1]
	s_and_saveexec_b64 s[0:1], s[4:5]
	s_cbranch_execz .LBB257_111
; %bb.110:
	s_lshl_b64 s[4:5], s[10:11], 3
	s_add_u32 s4, s2, s4
	v_lshlrev_b64 v[42:43], 3, v[33:34]
	s_addc_u32 s5, s3, s5
	v_mov_b32_e32 v34, s5
	v_add_co_u32_e32 v42, vcc, s4, v42
	v_addc_co_u32_e32 v43, vcc, v34, v43, vcc
	global_store_dwordx2 v[42:43], v[9:10], off
.LBB257_111:
	s_or_b64 exec, exec, s[0:1]
	v_cmp_lt_u64_e32 vcc, v[31:32], v[23:24]
	s_or_b64 s[0:1], s[16:17], vcc
	v_cmp_eq_u32_e32 vcc, 1, v40
	s_and_b64 s[4:5], s[0:1], vcc
	s_and_saveexec_b64 s[0:1], s[4:5]
	s_cbranch_execz .LBB257_113
; %bb.112:
	s_lshl_b64 s[4:5], s[10:11], 3
	s_add_u32 s4, s2, s4
	v_lshlrev_b64 v[42:43], 3, v[31:32]
	s_addc_u32 s5, s3, s5
	v_mov_b32_e32 v32, s5
	v_add_co_u32_e32 v42, vcc, s4, v42
	v_addc_co_u32_e32 v43, vcc, v32, v43, vcc
	global_store_dwordx2 v[42:43], v[11:12], off
.LBB257_113:
	s_or_b64 exec, exec, s[0:1]
	v_cmp_lt_u64_e32 vcc, v[29:30], v[23:24]
	s_or_b64 s[0:1], s[16:17], vcc
	v_cmp_eq_u32_e32 vcc, 1, v39
	s_and_b64 s[4:5], s[0:1], vcc
	s_and_saveexec_b64 s[0:1], s[4:5]
	s_cbranch_execz .LBB257_115
; %bb.114:
	s_lshl_b64 s[4:5], s[10:11], 3
	s_add_u32 s4, s2, s4
	v_lshlrev_b64 v[42:43], 3, v[29:30]
	s_addc_u32 s5, s3, s5
	v_mov_b32_e32 v30, s5
	v_add_co_u32_e32 v42, vcc, s4, v42
	v_addc_co_u32_e32 v43, vcc, v30, v43, vcc
	global_store_dwordx2 v[42:43], v[5:6], off
.LBB257_115:
	s_or_b64 exec, exec, s[0:1]
	v_cmp_lt_u64_e32 vcc, v[27:28], v[23:24]
	s_or_b64 s[0:1], s[16:17], vcc
	v_cmp_eq_u32_e32 vcc, 1, v38
	s_and_b64 s[4:5], s[0:1], vcc
	s_and_saveexec_b64 s[0:1], s[4:5]
	s_cbranch_execz .LBB257_117
; %bb.116:
	s_lshl_b64 s[4:5], s[10:11], 3
	s_add_u32 s4, s2, s4
	v_lshlrev_b64 v[42:43], 3, v[27:28]
	s_addc_u32 s5, s3, s5
	v_mov_b32_e32 v28, s5
	v_add_co_u32_e32 v42, vcc, s4, v42
	v_addc_co_u32_e32 v43, vcc, v28, v43, vcc
	global_store_dwordx2 v[42:43], v[7:8], off
.LBB257_117:
	s_or_b64 exec, exec, s[0:1]
	v_cmp_lt_u64_e32 vcc, v[25:26], v[23:24]
	s_or_b64 s[0:1], s[16:17], vcc
	v_cmp_eq_u32_e32 vcc, 1, v37
	s_and_b64 s[4:5], s[0:1], vcc
	s_and_saveexec_b64 s[0:1], s[4:5]
	s_cbranch_execz .LBB257_119
; %bb.118:
	s_lshl_b64 s[4:5], s[10:11], 3
	s_add_u32 s4, s2, s4
	v_lshlrev_b64 v[42:43], 3, v[25:26]
	s_addc_u32 s5, s3, s5
	v_mov_b32_e32 v26, s5
	v_add_co_u32_e32 v42, vcc, s4, v42
	v_addc_co_u32_e32 v43, vcc, v26, v43, vcc
	global_store_dwordx2 v[42:43], v[1:2], off
.LBB257_119:
	s_or_b64 exec, exec, s[0:1]
	v_cmp_lt_u64_e32 vcc, v[17:18], v[23:24]
	s_or_b64 s[0:1], s[16:17], vcc
	v_cmp_eq_u32_e32 vcc, 1, v36
	s_and_b64 s[4:5], s[0:1], vcc
	s_and_saveexec_b64 s[0:1], s[4:5]
	s_cbranch_execz .LBB257_121
; %bb.120:
	s_lshl_b64 s[4:5], s[10:11], 3
	s_add_u32 s4, s2, s4
	v_lshlrev_b64 v[42:43], 3, v[17:18]
	s_addc_u32 s5, s3, s5
	v_mov_b32_e32 v18, s5
	v_add_co_u32_e32 v42, vcc, s4, v42
	v_addc_co_u32_e32 v43, vcc, v18, v43, vcc
	global_store_dwordx2 v[42:43], v[3:4], off
.LBB257_121:
	s_or_b64 exec, exec, s[0:1]
	v_cmp_lt_u64_e32 vcc, v[19:20], v[23:24]
	s_or_b64 s[0:1], s[16:17], vcc
	v_cmp_eq_u32_e32 vcc, 1, v35
	s_and_b64 s[4:5], s[0:1], vcc
	s_and_saveexec_b64 s[0:1], s[4:5]
	s_cbranch_execz .LBB257_123
; %bb.122:
	s_lshl_b64 s[4:5], s[10:11], 3
	s_add_u32 s4, s2, s4
	v_lshlrev_b64 v[23:24], 3, v[19:20]
	s_addc_u32 s5, s3, s5
	v_mov_b32_e32 v18, s5
	v_add_co_u32_e32 v23, vcc, s4, v23
	v_addc_co_u32_e32 v24, vcc, v18, v24, vcc
	global_store_dwordx2 v[23:24], v[21:22], off
.LBB257_123:
	s_or_b64 exec, exec, s[0:1]
	s_branch .LBB257_107
.LBB257_124:
	v_cmp_eq_u32_e32 vcc, 1, v41
	s_and_saveexec_b64 s[0:1], vcc
	s_cbranch_execnz .LBB257_136
; %bb.125:
	s_or_b64 exec, exec, s[0:1]
	v_cmp_eq_u32_e32 vcc, 1, v40
	s_and_saveexec_b64 s[0:1], vcc
	s_cbranch_execnz .LBB257_137
.LBB257_126:
	s_or_b64 exec, exec, s[0:1]
	v_cmp_eq_u32_e32 vcc, 1, v39
	s_and_saveexec_b64 s[0:1], vcc
	s_cbranch_execnz .LBB257_138
.LBB257_127:
	s_or_b64 exec, exec, s[0:1]
	v_cmp_eq_u32_e32 vcc, 1, v38
	s_and_saveexec_b64 s[0:1], vcc
	s_cbranch_execnz .LBB257_139
.LBB257_128:
	s_or_b64 exec, exec, s[0:1]
	v_cmp_eq_u32_e32 vcc, 1, v37
	s_and_saveexec_b64 s[0:1], vcc
	s_cbranch_execnz .LBB257_140
.LBB257_129:
	s_or_b64 exec, exec, s[0:1]
	v_cmp_eq_u32_e32 vcc, 1, v36
	s_and_saveexec_b64 s[0:1], vcc
	s_cbranch_execnz .LBB257_141
.LBB257_130:
	s_or_b64 exec, exec, s[0:1]
	v_cmp_eq_u32_e32 vcc, 1, v35
	s_and_saveexec_b64 s[0:1], vcc
.LBB257_131:
	v_sub_u32_e32 v1, v19, v15
	v_lshlrev_b32_e32 v1, 3, v1
	ds_write_b64 v1, v[21:22]
.LBB257_132:
	s_or_b64 exec, exec, s[0:1]
	v_lshlrev_b64 v[4:5], 3, v[15:16]
	v_mov_b32_e32 v2, s3
	v_add_co_u32_e32 v4, vcc, s2, v4
	v_mov_b32_e32 v3, 0
	v_addc_co_u32_e32 v2, vcc, v2, v5, vcc
	s_lshl_b64 s[0:1], s[10:11], 3
	v_mov_b32_e32 v1, v3
	v_mov_b32_e32 v5, s1
	v_add_co_u32_e32 v6, vcc, s0, v4
	v_addc_co_u32_e32 v7, vcc, v2, v5, vcc
	v_mov_b32_e32 v5, v1
	v_or_b32_e32 v2, 0x100, v0
	s_mov_b64 s[2:3], 0
	v_mov_b32_e32 v4, v0
	s_waitcnt vmcnt(0) lgkmcnt(0)
	s_barrier
.LBB257_133:                            ; =>This Inner Loop Header: Depth=1
	v_lshlrev_b32_e32 v1, 3, v4
	ds_read_b64 v[10:11], v1
	v_lshlrev_b64 v[8:9], 3, v[4:5]
	v_cmp_le_u64_e32 vcc, v[13:14], v[2:3]
	v_mov_b32_e32 v5, v3
	v_add_co_u32_e64 v8, s[0:1], v6, v8
	v_mov_b32_e32 v4, v2
	v_add_u32_e32 v2, 0x100, v2
	v_addc_co_u32_e64 v9, s[0:1], v7, v9, s[0:1]
	s_or_b64 s[2:3], vcc, s[2:3]
	s_waitcnt lgkmcnt(0)
	global_store_dwordx2 v[8:9], v[10:11], off
	s_andn2_b64 exec, exec, s[2:3]
	s_cbranch_execnz .LBB257_133
; %bb.134:
	s_or_b64 exec, exec, s[2:3]
	v_cmp_eq_u32_e32 vcc, 0, v0
	s_and_b64 s[0:1], vcc, s[14:15]
	s_and_saveexec_b64 s[2:3], s[0:1]
	s_cbranch_execz .LBB257_108
.LBB257_135:
	v_add_co_u32_e32 v0, vcc, v15, v13
	v_addc_co_u32_e32 v1, vcc, v16, v14, vcc
	v_mov_b32_e32 v3, s11
	v_add_co_u32_e32 v0, vcc, s10, v0
	v_mov_b32_e32 v2, 0
	v_addc_co_u32_e32 v1, vcc, v1, v3, vcc
	global_store_dwordx2 v2, v[0:1], s[12:13]
	s_endpgm
.LBB257_136:
	v_sub_u32_e32 v18, v33, v15
	v_lshlrev_b32_e32 v18, 3, v18
	ds_write_b64 v18, v[9:10]
	s_or_b64 exec, exec, s[0:1]
	v_cmp_eq_u32_e32 vcc, 1, v40
	s_and_saveexec_b64 s[0:1], vcc
	s_cbranch_execz .LBB257_126
.LBB257_137:
	v_sub_u32_e32 v9, v31, v15
	v_lshlrev_b32_e32 v9, 3, v9
	ds_write_b64 v9, v[11:12]
	s_or_b64 exec, exec, s[0:1]
	v_cmp_eq_u32_e32 vcc, 1, v39
	s_and_saveexec_b64 s[0:1], vcc
	s_cbranch_execz .LBB257_127
.LBB257_138:
	v_sub_u32_e32 v9, v29, v15
	v_lshlrev_b32_e32 v9, 3, v9
	ds_write_b64 v9, v[5:6]
	s_or_b64 exec, exec, s[0:1]
	v_cmp_eq_u32_e32 vcc, 1, v38
	s_and_saveexec_b64 s[0:1], vcc
	s_cbranch_execz .LBB257_128
.LBB257_139:
	v_sub_u32_e32 v5, v27, v15
	v_lshlrev_b32_e32 v5, 3, v5
	ds_write_b64 v5, v[7:8]
	s_or_b64 exec, exec, s[0:1]
	v_cmp_eq_u32_e32 vcc, 1, v37
	s_and_saveexec_b64 s[0:1], vcc
	s_cbranch_execz .LBB257_129
.LBB257_140:
	v_sub_u32_e32 v5, v25, v15
	v_lshlrev_b32_e32 v5, 3, v5
	ds_write_b64 v5, v[1:2]
	s_or_b64 exec, exec, s[0:1]
	v_cmp_eq_u32_e32 vcc, 1, v36
	s_and_saveexec_b64 s[0:1], vcc
	s_cbranch_execz .LBB257_130
.LBB257_141:
	v_sub_u32_e32 v1, v17, v15
	v_lshlrev_b32_e32 v1, 3, v1
	ds_write_b64 v1, v[3:4]
	s_or_b64 exec, exec, s[0:1]
	v_cmp_eq_u32_e32 vcc, 1, v35
	s_and_saveexec_b64 s[0:1], vcc
	s_cbranch_execnz .LBB257_131
	s_branch .LBB257_132
	.section	.rodata,"a",@progbits
	.p2align	6, 0x0
	.amdhsa_kernel _ZN7rocprim17ROCPRIM_400000_NS6detail17trampoline_kernelINS0_14default_configENS1_25partition_config_selectorILNS1_17partition_subalgoE5ElNS0_10empty_typeEbEEZZNS1_14partition_implILS5_5ELb0ES3_mN6hipcub16HIPCUB_304000_NS21CountingInputIteratorIllEEPS6_NSA_22TransformInputIteratorIb7NonZeroIfEPflEENS0_5tupleIJPlS6_EEENSJ_IJSD_SD_EEES6_SK_JS6_EEE10hipError_tPvRmT3_T4_T5_T6_T7_T9_mT8_P12ihipStream_tbDpT10_ENKUlT_T0_E_clISt17integral_constantIbLb0EES16_EEDaS11_S12_EUlS11_E_NS1_11comp_targetILNS1_3genE2ELNS1_11target_archE906ELNS1_3gpuE6ELNS1_3repE0EEENS1_30default_config_static_selectorELNS0_4arch9wavefront6targetE1EEEvT1_
		.amdhsa_group_segment_fixed_size 14352
		.amdhsa_private_segment_fixed_size 0
		.amdhsa_kernarg_size 120
		.amdhsa_user_sgpr_count 6
		.amdhsa_user_sgpr_private_segment_buffer 1
		.amdhsa_user_sgpr_dispatch_ptr 0
		.amdhsa_user_sgpr_queue_ptr 0
		.amdhsa_user_sgpr_kernarg_segment_ptr 1
		.amdhsa_user_sgpr_dispatch_id 0
		.amdhsa_user_sgpr_flat_scratch_init 0
		.amdhsa_user_sgpr_private_segment_size 0
		.amdhsa_uses_dynamic_stack 0
		.amdhsa_system_sgpr_private_segment_wavefront_offset 0
		.amdhsa_system_sgpr_workgroup_id_x 1
		.amdhsa_system_sgpr_workgroup_id_y 0
		.amdhsa_system_sgpr_workgroup_id_z 0
		.amdhsa_system_sgpr_workgroup_info 0
		.amdhsa_system_vgpr_workitem_id 0
		.amdhsa_next_free_vgpr 59
		.amdhsa_next_free_sgpr 98
		.amdhsa_reserve_vcc 1
		.amdhsa_reserve_flat_scratch 0
		.amdhsa_float_round_mode_32 0
		.amdhsa_float_round_mode_16_64 0
		.amdhsa_float_denorm_mode_32 3
		.amdhsa_float_denorm_mode_16_64 3
		.amdhsa_dx10_clamp 1
		.amdhsa_ieee_mode 1
		.amdhsa_fp16_overflow 0
		.amdhsa_exception_fp_ieee_invalid_op 0
		.amdhsa_exception_fp_denorm_src 0
		.amdhsa_exception_fp_ieee_div_zero 0
		.amdhsa_exception_fp_ieee_overflow 0
		.amdhsa_exception_fp_ieee_underflow 0
		.amdhsa_exception_fp_ieee_inexact 0
		.amdhsa_exception_int_div_zero 0
	.end_amdhsa_kernel
	.section	.text._ZN7rocprim17ROCPRIM_400000_NS6detail17trampoline_kernelINS0_14default_configENS1_25partition_config_selectorILNS1_17partition_subalgoE5ElNS0_10empty_typeEbEEZZNS1_14partition_implILS5_5ELb0ES3_mN6hipcub16HIPCUB_304000_NS21CountingInputIteratorIllEEPS6_NSA_22TransformInputIteratorIb7NonZeroIfEPflEENS0_5tupleIJPlS6_EEENSJ_IJSD_SD_EEES6_SK_JS6_EEE10hipError_tPvRmT3_T4_T5_T6_T7_T9_mT8_P12ihipStream_tbDpT10_ENKUlT_T0_E_clISt17integral_constantIbLb0EES16_EEDaS11_S12_EUlS11_E_NS1_11comp_targetILNS1_3genE2ELNS1_11target_archE906ELNS1_3gpuE6ELNS1_3repE0EEENS1_30default_config_static_selectorELNS0_4arch9wavefront6targetE1EEEvT1_,"axG",@progbits,_ZN7rocprim17ROCPRIM_400000_NS6detail17trampoline_kernelINS0_14default_configENS1_25partition_config_selectorILNS1_17partition_subalgoE5ElNS0_10empty_typeEbEEZZNS1_14partition_implILS5_5ELb0ES3_mN6hipcub16HIPCUB_304000_NS21CountingInputIteratorIllEEPS6_NSA_22TransformInputIteratorIb7NonZeroIfEPflEENS0_5tupleIJPlS6_EEENSJ_IJSD_SD_EEES6_SK_JS6_EEE10hipError_tPvRmT3_T4_T5_T6_T7_T9_mT8_P12ihipStream_tbDpT10_ENKUlT_T0_E_clISt17integral_constantIbLb0EES16_EEDaS11_S12_EUlS11_E_NS1_11comp_targetILNS1_3genE2ELNS1_11target_archE906ELNS1_3gpuE6ELNS1_3repE0EEENS1_30default_config_static_selectorELNS0_4arch9wavefront6targetE1EEEvT1_,comdat
.Lfunc_end257:
	.size	_ZN7rocprim17ROCPRIM_400000_NS6detail17trampoline_kernelINS0_14default_configENS1_25partition_config_selectorILNS1_17partition_subalgoE5ElNS0_10empty_typeEbEEZZNS1_14partition_implILS5_5ELb0ES3_mN6hipcub16HIPCUB_304000_NS21CountingInputIteratorIllEEPS6_NSA_22TransformInputIteratorIb7NonZeroIfEPflEENS0_5tupleIJPlS6_EEENSJ_IJSD_SD_EEES6_SK_JS6_EEE10hipError_tPvRmT3_T4_T5_T6_T7_T9_mT8_P12ihipStream_tbDpT10_ENKUlT_T0_E_clISt17integral_constantIbLb0EES16_EEDaS11_S12_EUlS11_E_NS1_11comp_targetILNS1_3genE2ELNS1_11target_archE906ELNS1_3gpuE6ELNS1_3repE0EEENS1_30default_config_static_selectorELNS0_4arch9wavefront6targetE1EEEvT1_, .Lfunc_end257-_ZN7rocprim17ROCPRIM_400000_NS6detail17trampoline_kernelINS0_14default_configENS1_25partition_config_selectorILNS1_17partition_subalgoE5ElNS0_10empty_typeEbEEZZNS1_14partition_implILS5_5ELb0ES3_mN6hipcub16HIPCUB_304000_NS21CountingInputIteratorIllEEPS6_NSA_22TransformInputIteratorIb7NonZeroIfEPflEENS0_5tupleIJPlS6_EEENSJ_IJSD_SD_EEES6_SK_JS6_EEE10hipError_tPvRmT3_T4_T5_T6_T7_T9_mT8_P12ihipStream_tbDpT10_ENKUlT_T0_E_clISt17integral_constantIbLb0EES16_EEDaS11_S12_EUlS11_E_NS1_11comp_targetILNS1_3genE2ELNS1_11target_archE906ELNS1_3gpuE6ELNS1_3repE0EEENS1_30default_config_static_selectorELNS0_4arch9wavefront6targetE1EEEvT1_
                                        ; -- End function
	.set _ZN7rocprim17ROCPRIM_400000_NS6detail17trampoline_kernelINS0_14default_configENS1_25partition_config_selectorILNS1_17partition_subalgoE5ElNS0_10empty_typeEbEEZZNS1_14partition_implILS5_5ELb0ES3_mN6hipcub16HIPCUB_304000_NS21CountingInputIteratorIllEEPS6_NSA_22TransformInputIteratorIb7NonZeroIfEPflEENS0_5tupleIJPlS6_EEENSJ_IJSD_SD_EEES6_SK_JS6_EEE10hipError_tPvRmT3_T4_T5_T6_T7_T9_mT8_P12ihipStream_tbDpT10_ENKUlT_T0_E_clISt17integral_constantIbLb0EES16_EEDaS11_S12_EUlS11_E_NS1_11comp_targetILNS1_3genE2ELNS1_11target_archE906ELNS1_3gpuE6ELNS1_3repE0EEENS1_30default_config_static_selectorELNS0_4arch9wavefront6targetE1EEEvT1_.num_vgpr, 59
	.set _ZN7rocprim17ROCPRIM_400000_NS6detail17trampoline_kernelINS0_14default_configENS1_25partition_config_selectorILNS1_17partition_subalgoE5ElNS0_10empty_typeEbEEZZNS1_14partition_implILS5_5ELb0ES3_mN6hipcub16HIPCUB_304000_NS21CountingInputIteratorIllEEPS6_NSA_22TransformInputIteratorIb7NonZeroIfEPflEENS0_5tupleIJPlS6_EEENSJ_IJSD_SD_EEES6_SK_JS6_EEE10hipError_tPvRmT3_T4_T5_T6_T7_T9_mT8_P12ihipStream_tbDpT10_ENKUlT_T0_E_clISt17integral_constantIbLb0EES16_EEDaS11_S12_EUlS11_E_NS1_11comp_targetILNS1_3genE2ELNS1_11target_archE906ELNS1_3gpuE6ELNS1_3repE0EEENS1_30default_config_static_selectorELNS0_4arch9wavefront6targetE1EEEvT1_.num_agpr, 0
	.set _ZN7rocprim17ROCPRIM_400000_NS6detail17trampoline_kernelINS0_14default_configENS1_25partition_config_selectorILNS1_17partition_subalgoE5ElNS0_10empty_typeEbEEZZNS1_14partition_implILS5_5ELb0ES3_mN6hipcub16HIPCUB_304000_NS21CountingInputIteratorIllEEPS6_NSA_22TransformInputIteratorIb7NonZeroIfEPflEENS0_5tupleIJPlS6_EEENSJ_IJSD_SD_EEES6_SK_JS6_EEE10hipError_tPvRmT3_T4_T5_T6_T7_T9_mT8_P12ihipStream_tbDpT10_ENKUlT_T0_E_clISt17integral_constantIbLb0EES16_EEDaS11_S12_EUlS11_E_NS1_11comp_targetILNS1_3genE2ELNS1_11target_archE906ELNS1_3gpuE6ELNS1_3repE0EEENS1_30default_config_static_selectorELNS0_4arch9wavefront6targetE1EEEvT1_.numbered_sgpr, 26
	.set _ZN7rocprim17ROCPRIM_400000_NS6detail17trampoline_kernelINS0_14default_configENS1_25partition_config_selectorILNS1_17partition_subalgoE5ElNS0_10empty_typeEbEEZZNS1_14partition_implILS5_5ELb0ES3_mN6hipcub16HIPCUB_304000_NS21CountingInputIteratorIllEEPS6_NSA_22TransformInputIteratorIb7NonZeroIfEPflEENS0_5tupleIJPlS6_EEENSJ_IJSD_SD_EEES6_SK_JS6_EEE10hipError_tPvRmT3_T4_T5_T6_T7_T9_mT8_P12ihipStream_tbDpT10_ENKUlT_T0_E_clISt17integral_constantIbLb0EES16_EEDaS11_S12_EUlS11_E_NS1_11comp_targetILNS1_3genE2ELNS1_11target_archE906ELNS1_3gpuE6ELNS1_3repE0EEENS1_30default_config_static_selectorELNS0_4arch9wavefront6targetE1EEEvT1_.num_named_barrier, 0
	.set _ZN7rocprim17ROCPRIM_400000_NS6detail17trampoline_kernelINS0_14default_configENS1_25partition_config_selectorILNS1_17partition_subalgoE5ElNS0_10empty_typeEbEEZZNS1_14partition_implILS5_5ELb0ES3_mN6hipcub16HIPCUB_304000_NS21CountingInputIteratorIllEEPS6_NSA_22TransformInputIteratorIb7NonZeroIfEPflEENS0_5tupleIJPlS6_EEENSJ_IJSD_SD_EEES6_SK_JS6_EEE10hipError_tPvRmT3_T4_T5_T6_T7_T9_mT8_P12ihipStream_tbDpT10_ENKUlT_T0_E_clISt17integral_constantIbLb0EES16_EEDaS11_S12_EUlS11_E_NS1_11comp_targetILNS1_3genE2ELNS1_11target_archE906ELNS1_3gpuE6ELNS1_3repE0EEENS1_30default_config_static_selectorELNS0_4arch9wavefront6targetE1EEEvT1_.private_seg_size, 0
	.set _ZN7rocprim17ROCPRIM_400000_NS6detail17trampoline_kernelINS0_14default_configENS1_25partition_config_selectorILNS1_17partition_subalgoE5ElNS0_10empty_typeEbEEZZNS1_14partition_implILS5_5ELb0ES3_mN6hipcub16HIPCUB_304000_NS21CountingInputIteratorIllEEPS6_NSA_22TransformInputIteratorIb7NonZeroIfEPflEENS0_5tupleIJPlS6_EEENSJ_IJSD_SD_EEES6_SK_JS6_EEE10hipError_tPvRmT3_T4_T5_T6_T7_T9_mT8_P12ihipStream_tbDpT10_ENKUlT_T0_E_clISt17integral_constantIbLb0EES16_EEDaS11_S12_EUlS11_E_NS1_11comp_targetILNS1_3genE2ELNS1_11target_archE906ELNS1_3gpuE6ELNS1_3repE0EEENS1_30default_config_static_selectorELNS0_4arch9wavefront6targetE1EEEvT1_.uses_vcc, 1
	.set _ZN7rocprim17ROCPRIM_400000_NS6detail17trampoline_kernelINS0_14default_configENS1_25partition_config_selectorILNS1_17partition_subalgoE5ElNS0_10empty_typeEbEEZZNS1_14partition_implILS5_5ELb0ES3_mN6hipcub16HIPCUB_304000_NS21CountingInputIteratorIllEEPS6_NSA_22TransformInputIteratorIb7NonZeroIfEPflEENS0_5tupleIJPlS6_EEENSJ_IJSD_SD_EEES6_SK_JS6_EEE10hipError_tPvRmT3_T4_T5_T6_T7_T9_mT8_P12ihipStream_tbDpT10_ENKUlT_T0_E_clISt17integral_constantIbLb0EES16_EEDaS11_S12_EUlS11_E_NS1_11comp_targetILNS1_3genE2ELNS1_11target_archE906ELNS1_3gpuE6ELNS1_3repE0EEENS1_30default_config_static_selectorELNS0_4arch9wavefront6targetE1EEEvT1_.uses_flat_scratch, 0
	.set _ZN7rocprim17ROCPRIM_400000_NS6detail17trampoline_kernelINS0_14default_configENS1_25partition_config_selectorILNS1_17partition_subalgoE5ElNS0_10empty_typeEbEEZZNS1_14partition_implILS5_5ELb0ES3_mN6hipcub16HIPCUB_304000_NS21CountingInputIteratorIllEEPS6_NSA_22TransformInputIteratorIb7NonZeroIfEPflEENS0_5tupleIJPlS6_EEENSJ_IJSD_SD_EEES6_SK_JS6_EEE10hipError_tPvRmT3_T4_T5_T6_T7_T9_mT8_P12ihipStream_tbDpT10_ENKUlT_T0_E_clISt17integral_constantIbLb0EES16_EEDaS11_S12_EUlS11_E_NS1_11comp_targetILNS1_3genE2ELNS1_11target_archE906ELNS1_3gpuE6ELNS1_3repE0EEENS1_30default_config_static_selectorELNS0_4arch9wavefront6targetE1EEEvT1_.has_dyn_sized_stack, 0
	.set _ZN7rocprim17ROCPRIM_400000_NS6detail17trampoline_kernelINS0_14default_configENS1_25partition_config_selectorILNS1_17partition_subalgoE5ElNS0_10empty_typeEbEEZZNS1_14partition_implILS5_5ELb0ES3_mN6hipcub16HIPCUB_304000_NS21CountingInputIteratorIllEEPS6_NSA_22TransformInputIteratorIb7NonZeroIfEPflEENS0_5tupleIJPlS6_EEENSJ_IJSD_SD_EEES6_SK_JS6_EEE10hipError_tPvRmT3_T4_T5_T6_T7_T9_mT8_P12ihipStream_tbDpT10_ENKUlT_T0_E_clISt17integral_constantIbLb0EES16_EEDaS11_S12_EUlS11_E_NS1_11comp_targetILNS1_3genE2ELNS1_11target_archE906ELNS1_3gpuE6ELNS1_3repE0EEENS1_30default_config_static_selectorELNS0_4arch9wavefront6targetE1EEEvT1_.has_recursion, 0
	.set _ZN7rocprim17ROCPRIM_400000_NS6detail17trampoline_kernelINS0_14default_configENS1_25partition_config_selectorILNS1_17partition_subalgoE5ElNS0_10empty_typeEbEEZZNS1_14partition_implILS5_5ELb0ES3_mN6hipcub16HIPCUB_304000_NS21CountingInputIteratorIllEEPS6_NSA_22TransformInputIteratorIb7NonZeroIfEPflEENS0_5tupleIJPlS6_EEENSJ_IJSD_SD_EEES6_SK_JS6_EEE10hipError_tPvRmT3_T4_T5_T6_T7_T9_mT8_P12ihipStream_tbDpT10_ENKUlT_T0_E_clISt17integral_constantIbLb0EES16_EEDaS11_S12_EUlS11_E_NS1_11comp_targetILNS1_3genE2ELNS1_11target_archE906ELNS1_3gpuE6ELNS1_3repE0EEENS1_30default_config_static_selectorELNS0_4arch9wavefront6targetE1EEEvT1_.has_indirect_call, 0
	.section	.AMDGPU.csdata,"",@progbits
; Kernel info:
; codeLenInByte = 5932
; TotalNumSgprs: 30
; NumVgprs: 59
; ScratchSize: 0
; MemoryBound: 0
; FloatMode: 240
; IeeeMode: 1
; LDSByteSize: 14352 bytes/workgroup (compile time only)
; SGPRBlocks: 12
; VGPRBlocks: 14
; NumSGPRsForWavesPerEU: 102
; NumVGPRsForWavesPerEU: 59
; Occupancy: 4
; WaveLimiterHint : 1
; COMPUTE_PGM_RSRC2:SCRATCH_EN: 0
; COMPUTE_PGM_RSRC2:USER_SGPR: 6
; COMPUTE_PGM_RSRC2:TRAP_HANDLER: 0
; COMPUTE_PGM_RSRC2:TGID_X_EN: 1
; COMPUTE_PGM_RSRC2:TGID_Y_EN: 0
; COMPUTE_PGM_RSRC2:TGID_Z_EN: 0
; COMPUTE_PGM_RSRC2:TIDIG_COMP_CNT: 0
	.section	.text._ZN7rocprim17ROCPRIM_400000_NS6detail17trampoline_kernelINS0_14default_configENS1_25partition_config_selectorILNS1_17partition_subalgoE5ElNS0_10empty_typeEbEEZZNS1_14partition_implILS5_5ELb0ES3_mN6hipcub16HIPCUB_304000_NS21CountingInputIteratorIllEEPS6_NSA_22TransformInputIteratorIb7NonZeroIfEPflEENS0_5tupleIJPlS6_EEENSJ_IJSD_SD_EEES6_SK_JS6_EEE10hipError_tPvRmT3_T4_T5_T6_T7_T9_mT8_P12ihipStream_tbDpT10_ENKUlT_T0_E_clISt17integral_constantIbLb0EES16_EEDaS11_S12_EUlS11_E_NS1_11comp_targetILNS1_3genE10ELNS1_11target_archE1200ELNS1_3gpuE4ELNS1_3repE0EEENS1_30default_config_static_selectorELNS0_4arch9wavefront6targetE1EEEvT1_,"axG",@progbits,_ZN7rocprim17ROCPRIM_400000_NS6detail17trampoline_kernelINS0_14default_configENS1_25partition_config_selectorILNS1_17partition_subalgoE5ElNS0_10empty_typeEbEEZZNS1_14partition_implILS5_5ELb0ES3_mN6hipcub16HIPCUB_304000_NS21CountingInputIteratorIllEEPS6_NSA_22TransformInputIteratorIb7NonZeroIfEPflEENS0_5tupleIJPlS6_EEENSJ_IJSD_SD_EEES6_SK_JS6_EEE10hipError_tPvRmT3_T4_T5_T6_T7_T9_mT8_P12ihipStream_tbDpT10_ENKUlT_T0_E_clISt17integral_constantIbLb0EES16_EEDaS11_S12_EUlS11_E_NS1_11comp_targetILNS1_3genE10ELNS1_11target_archE1200ELNS1_3gpuE4ELNS1_3repE0EEENS1_30default_config_static_selectorELNS0_4arch9wavefront6targetE1EEEvT1_,comdat
	.protected	_ZN7rocprim17ROCPRIM_400000_NS6detail17trampoline_kernelINS0_14default_configENS1_25partition_config_selectorILNS1_17partition_subalgoE5ElNS0_10empty_typeEbEEZZNS1_14partition_implILS5_5ELb0ES3_mN6hipcub16HIPCUB_304000_NS21CountingInputIteratorIllEEPS6_NSA_22TransformInputIteratorIb7NonZeroIfEPflEENS0_5tupleIJPlS6_EEENSJ_IJSD_SD_EEES6_SK_JS6_EEE10hipError_tPvRmT3_T4_T5_T6_T7_T9_mT8_P12ihipStream_tbDpT10_ENKUlT_T0_E_clISt17integral_constantIbLb0EES16_EEDaS11_S12_EUlS11_E_NS1_11comp_targetILNS1_3genE10ELNS1_11target_archE1200ELNS1_3gpuE4ELNS1_3repE0EEENS1_30default_config_static_selectorELNS0_4arch9wavefront6targetE1EEEvT1_ ; -- Begin function _ZN7rocprim17ROCPRIM_400000_NS6detail17trampoline_kernelINS0_14default_configENS1_25partition_config_selectorILNS1_17partition_subalgoE5ElNS0_10empty_typeEbEEZZNS1_14partition_implILS5_5ELb0ES3_mN6hipcub16HIPCUB_304000_NS21CountingInputIteratorIllEEPS6_NSA_22TransformInputIteratorIb7NonZeroIfEPflEENS0_5tupleIJPlS6_EEENSJ_IJSD_SD_EEES6_SK_JS6_EEE10hipError_tPvRmT3_T4_T5_T6_T7_T9_mT8_P12ihipStream_tbDpT10_ENKUlT_T0_E_clISt17integral_constantIbLb0EES16_EEDaS11_S12_EUlS11_E_NS1_11comp_targetILNS1_3genE10ELNS1_11target_archE1200ELNS1_3gpuE4ELNS1_3repE0EEENS1_30default_config_static_selectorELNS0_4arch9wavefront6targetE1EEEvT1_
	.globl	_ZN7rocprim17ROCPRIM_400000_NS6detail17trampoline_kernelINS0_14default_configENS1_25partition_config_selectorILNS1_17partition_subalgoE5ElNS0_10empty_typeEbEEZZNS1_14partition_implILS5_5ELb0ES3_mN6hipcub16HIPCUB_304000_NS21CountingInputIteratorIllEEPS6_NSA_22TransformInputIteratorIb7NonZeroIfEPflEENS0_5tupleIJPlS6_EEENSJ_IJSD_SD_EEES6_SK_JS6_EEE10hipError_tPvRmT3_T4_T5_T6_T7_T9_mT8_P12ihipStream_tbDpT10_ENKUlT_T0_E_clISt17integral_constantIbLb0EES16_EEDaS11_S12_EUlS11_E_NS1_11comp_targetILNS1_3genE10ELNS1_11target_archE1200ELNS1_3gpuE4ELNS1_3repE0EEENS1_30default_config_static_selectorELNS0_4arch9wavefront6targetE1EEEvT1_
	.p2align	8
	.type	_ZN7rocprim17ROCPRIM_400000_NS6detail17trampoline_kernelINS0_14default_configENS1_25partition_config_selectorILNS1_17partition_subalgoE5ElNS0_10empty_typeEbEEZZNS1_14partition_implILS5_5ELb0ES3_mN6hipcub16HIPCUB_304000_NS21CountingInputIteratorIllEEPS6_NSA_22TransformInputIteratorIb7NonZeroIfEPflEENS0_5tupleIJPlS6_EEENSJ_IJSD_SD_EEES6_SK_JS6_EEE10hipError_tPvRmT3_T4_T5_T6_T7_T9_mT8_P12ihipStream_tbDpT10_ENKUlT_T0_E_clISt17integral_constantIbLb0EES16_EEDaS11_S12_EUlS11_E_NS1_11comp_targetILNS1_3genE10ELNS1_11target_archE1200ELNS1_3gpuE4ELNS1_3repE0EEENS1_30default_config_static_selectorELNS0_4arch9wavefront6targetE1EEEvT1_,@function
_ZN7rocprim17ROCPRIM_400000_NS6detail17trampoline_kernelINS0_14default_configENS1_25partition_config_selectorILNS1_17partition_subalgoE5ElNS0_10empty_typeEbEEZZNS1_14partition_implILS5_5ELb0ES3_mN6hipcub16HIPCUB_304000_NS21CountingInputIteratorIllEEPS6_NSA_22TransformInputIteratorIb7NonZeroIfEPflEENS0_5tupleIJPlS6_EEENSJ_IJSD_SD_EEES6_SK_JS6_EEE10hipError_tPvRmT3_T4_T5_T6_T7_T9_mT8_P12ihipStream_tbDpT10_ENKUlT_T0_E_clISt17integral_constantIbLb0EES16_EEDaS11_S12_EUlS11_E_NS1_11comp_targetILNS1_3genE10ELNS1_11target_archE1200ELNS1_3gpuE4ELNS1_3repE0EEENS1_30default_config_static_selectorELNS0_4arch9wavefront6targetE1EEEvT1_: ; @_ZN7rocprim17ROCPRIM_400000_NS6detail17trampoline_kernelINS0_14default_configENS1_25partition_config_selectorILNS1_17partition_subalgoE5ElNS0_10empty_typeEbEEZZNS1_14partition_implILS5_5ELb0ES3_mN6hipcub16HIPCUB_304000_NS21CountingInputIteratorIllEEPS6_NSA_22TransformInputIteratorIb7NonZeroIfEPflEENS0_5tupleIJPlS6_EEENSJ_IJSD_SD_EEES6_SK_JS6_EEE10hipError_tPvRmT3_T4_T5_T6_T7_T9_mT8_P12ihipStream_tbDpT10_ENKUlT_T0_E_clISt17integral_constantIbLb0EES16_EEDaS11_S12_EUlS11_E_NS1_11comp_targetILNS1_3genE10ELNS1_11target_archE1200ELNS1_3gpuE4ELNS1_3repE0EEENS1_30default_config_static_selectorELNS0_4arch9wavefront6targetE1EEEvT1_
; %bb.0:
	.section	.rodata,"a",@progbits
	.p2align	6, 0x0
	.amdhsa_kernel _ZN7rocprim17ROCPRIM_400000_NS6detail17trampoline_kernelINS0_14default_configENS1_25partition_config_selectorILNS1_17partition_subalgoE5ElNS0_10empty_typeEbEEZZNS1_14partition_implILS5_5ELb0ES3_mN6hipcub16HIPCUB_304000_NS21CountingInputIteratorIllEEPS6_NSA_22TransformInputIteratorIb7NonZeroIfEPflEENS0_5tupleIJPlS6_EEENSJ_IJSD_SD_EEES6_SK_JS6_EEE10hipError_tPvRmT3_T4_T5_T6_T7_T9_mT8_P12ihipStream_tbDpT10_ENKUlT_T0_E_clISt17integral_constantIbLb0EES16_EEDaS11_S12_EUlS11_E_NS1_11comp_targetILNS1_3genE10ELNS1_11target_archE1200ELNS1_3gpuE4ELNS1_3repE0EEENS1_30default_config_static_selectorELNS0_4arch9wavefront6targetE1EEEvT1_
		.amdhsa_group_segment_fixed_size 0
		.amdhsa_private_segment_fixed_size 0
		.amdhsa_kernarg_size 120
		.amdhsa_user_sgpr_count 6
		.amdhsa_user_sgpr_private_segment_buffer 1
		.amdhsa_user_sgpr_dispatch_ptr 0
		.amdhsa_user_sgpr_queue_ptr 0
		.amdhsa_user_sgpr_kernarg_segment_ptr 1
		.amdhsa_user_sgpr_dispatch_id 0
		.amdhsa_user_sgpr_flat_scratch_init 0
		.amdhsa_user_sgpr_private_segment_size 0
		.amdhsa_uses_dynamic_stack 0
		.amdhsa_system_sgpr_private_segment_wavefront_offset 0
		.amdhsa_system_sgpr_workgroup_id_x 1
		.amdhsa_system_sgpr_workgroup_id_y 0
		.amdhsa_system_sgpr_workgroup_id_z 0
		.amdhsa_system_sgpr_workgroup_info 0
		.amdhsa_system_vgpr_workitem_id 0
		.amdhsa_next_free_vgpr 1
		.amdhsa_next_free_sgpr 0
		.amdhsa_reserve_vcc 0
		.amdhsa_reserve_flat_scratch 0
		.amdhsa_float_round_mode_32 0
		.amdhsa_float_round_mode_16_64 0
		.amdhsa_float_denorm_mode_32 3
		.amdhsa_float_denorm_mode_16_64 3
		.amdhsa_dx10_clamp 1
		.amdhsa_ieee_mode 1
		.amdhsa_fp16_overflow 0
		.amdhsa_exception_fp_ieee_invalid_op 0
		.amdhsa_exception_fp_denorm_src 0
		.amdhsa_exception_fp_ieee_div_zero 0
		.amdhsa_exception_fp_ieee_overflow 0
		.amdhsa_exception_fp_ieee_underflow 0
		.amdhsa_exception_fp_ieee_inexact 0
		.amdhsa_exception_int_div_zero 0
	.end_amdhsa_kernel
	.section	.text._ZN7rocprim17ROCPRIM_400000_NS6detail17trampoline_kernelINS0_14default_configENS1_25partition_config_selectorILNS1_17partition_subalgoE5ElNS0_10empty_typeEbEEZZNS1_14partition_implILS5_5ELb0ES3_mN6hipcub16HIPCUB_304000_NS21CountingInputIteratorIllEEPS6_NSA_22TransformInputIteratorIb7NonZeroIfEPflEENS0_5tupleIJPlS6_EEENSJ_IJSD_SD_EEES6_SK_JS6_EEE10hipError_tPvRmT3_T4_T5_T6_T7_T9_mT8_P12ihipStream_tbDpT10_ENKUlT_T0_E_clISt17integral_constantIbLb0EES16_EEDaS11_S12_EUlS11_E_NS1_11comp_targetILNS1_3genE10ELNS1_11target_archE1200ELNS1_3gpuE4ELNS1_3repE0EEENS1_30default_config_static_selectorELNS0_4arch9wavefront6targetE1EEEvT1_,"axG",@progbits,_ZN7rocprim17ROCPRIM_400000_NS6detail17trampoline_kernelINS0_14default_configENS1_25partition_config_selectorILNS1_17partition_subalgoE5ElNS0_10empty_typeEbEEZZNS1_14partition_implILS5_5ELb0ES3_mN6hipcub16HIPCUB_304000_NS21CountingInputIteratorIllEEPS6_NSA_22TransformInputIteratorIb7NonZeroIfEPflEENS0_5tupleIJPlS6_EEENSJ_IJSD_SD_EEES6_SK_JS6_EEE10hipError_tPvRmT3_T4_T5_T6_T7_T9_mT8_P12ihipStream_tbDpT10_ENKUlT_T0_E_clISt17integral_constantIbLb0EES16_EEDaS11_S12_EUlS11_E_NS1_11comp_targetILNS1_3genE10ELNS1_11target_archE1200ELNS1_3gpuE4ELNS1_3repE0EEENS1_30default_config_static_selectorELNS0_4arch9wavefront6targetE1EEEvT1_,comdat
.Lfunc_end258:
	.size	_ZN7rocprim17ROCPRIM_400000_NS6detail17trampoline_kernelINS0_14default_configENS1_25partition_config_selectorILNS1_17partition_subalgoE5ElNS0_10empty_typeEbEEZZNS1_14partition_implILS5_5ELb0ES3_mN6hipcub16HIPCUB_304000_NS21CountingInputIteratorIllEEPS6_NSA_22TransformInputIteratorIb7NonZeroIfEPflEENS0_5tupleIJPlS6_EEENSJ_IJSD_SD_EEES6_SK_JS6_EEE10hipError_tPvRmT3_T4_T5_T6_T7_T9_mT8_P12ihipStream_tbDpT10_ENKUlT_T0_E_clISt17integral_constantIbLb0EES16_EEDaS11_S12_EUlS11_E_NS1_11comp_targetILNS1_3genE10ELNS1_11target_archE1200ELNS1_3gpuE4ELNS1_3repE0EEENS1_30default_config_static_selectorELNS0_4arch9wavefront6targetE1EEEvT1_, .Lfunc_end258-_ZN7rocprim17ROCPRIM_400000_NS6detail17trampoline_kernelINS0_14default_configENS1_25partition_config_selectorILNS1_17partition_subalgoE5ElNS0_10empty_typeEbEEZZNS1_14partition_implILS5_5ELb0ES3_mN6hipcub16HIPCUB_304000_NS21CountingInputIteratorIllEEPS6_NSA_22TransformInputIteratorIb7NonZeroIfEPflEENS0_5tupleIJPlS6_EEENSJ_IJSD_SD_EEES6_SK_JS6_EEE10hipError_tPvRmT3_T4_T5_T6_T7_T9_mT8_P12ihipStream_tbDpT10_ENKUlT_T0_E_clISt17integral_constantIbLb0EES16_EEDaS11_S12_EUlS11_E_NS1_11comp_targetILNS1_3genE10ELNS1_11target_archE1200ELNS1_3gpuE4ELNS1_3repE0EEENS1_30default_config_static_selectorELNS0_4arch9wavefront6targetE1EEEvT1_
                                        ; -- End function
	.set _ZN7rocprim17ROCPRIM_400000_NS6detail17trampoline_kernelINS0_14default_configENS1_25partition_config_selectorILNS1_17partition_subalgoE5ElNS0_10empty_typeEbEEZZNS1_14partition_implILS5_5ELb0ES3_mN6hipcub16HIPCUB_304000_NS21CountingInputIteratorIllEEPS6_NSA_22TransformInputIteratorIb7NonZeroIfEPflEENS0_5tupleIJPlS6_EEENSJ_IJSD_SD_EEES6_SK_JS6_EEE10hipError_tPvRmT3_T4_T5_T6_T7_T9_mT8_P12ihipStream_tbDpT10_ENKUlT_T0_E_clISt17integral_constantIbLb0EES16_EEDaS11_S12_EUlS11_E_NS1_11comp_targetILNS1_3genE10ELNS1_11target_archE1200ELNS1_3gpuE4ELNS1_3repE0EEENS1_30default_config_static_selectorELNS0_4arch9wavefront6targetE1EEEvT1_.num_vgpr, 0
	.set _ZN7rocprim17ROCPRIM_400000_NS6detail17trampoline_kernelINS0_14default_configENS1_25partition_config_selectorILNS1_17partition_subalgoE5ElNS0_10empty_typeEbEEZZNS1_14partition_implILS5_5ELb0ES3_mN6hipcub16HIPCUB_304000_NS21CountingInputIteratorIllEEPS6_NSA_22TransformInputIteratorIb7NonZeroIfEPflEENS0_5tupleIJPlS6_EEENSJ_IJSD_SD_EEES6_SK_JS6_EEE10hipError_tPvRmT3_T4_T5_T6_T7_T9_mT8_P12ihipStream_tbDpT10_ENKUlT_T0_E_clISt17integral_constantIbLb0EES16_EEDaS11_S12_EUlS11_E_NS1_11comp_targetILNS1_3genE10ELNS1_11target_archE1200ELNS1_3gpuE4ELNS1_3repE0EEENS1_30default_config_static_selectorELNS0_4arch9wavefront6targetE1EEEvT1_.num_agpr, 0
	.set _ZN7rocprim17ROCPRIM_400000_NS6detail17trampoline_kernelINS0_14default_configENS1_25partition_config_selectorILNS1_17partition_subalgoE5ElNS0_10empty_typeEbEEZZNS1_14partition_implILS5_5ELb0ES3_mN6hipcub16HIPCUB_304000_NS21CountingInputIteratorIllEEPS6_NSA_22TransformInputIteratorIb7NonZeroIfEPflEENS0_5tupleIJPlS6_EEENSJ_IJSD_SD_EEES6_SK_JS6_EEE10hipError_tPvRmT3_T4_T5_T6_T7_T9_mT8_P12ihipStream_tbDpT10_ENKUlT_T0_E_clISt17integral_constantIbLb0EES16_EEDaS11_S12_EUlS11_E_NS1_11comp_targetILNS1_3genE10ELNS1_11target_archE1200ELNS1_3gpuE4ELNS1_3repE0EEENS1_30default_config_static_selectorELNS0_4arch9wavefront6targetE1EEEvT1_.numbered_sgpr, 0
	.set _ZN7rocprim17ROCPRIM_400000_NS6detail17trampoline_kernelINS0_14default_configENS1_25partition_config_selectorILNS1_17partition_subalgoE5ElNS0_10empty_typeEbEEZZNS1_14partition_implILS5_5ELb0ES3_mN6hipcub16HIPCUB_304000_NS21CountingInputIteratorIllEEPS6_NSA_22TransformInputIteratorIb7NonZeroIfEPflEENS0_5tupleIJPlS6_EEENSJ_IJSD_SD_EEES6_SK_JS6_EEE10hipError_tPvRmT3_T4_T5_T6_T7_T9_mT8_P12ihipStream_tbDpT10_ENKUlT_T0_E_clISt17integral_constantIbLb0EES16_EEDaS11_S12_EUlS11_E_NS1_11comp_targetILNS1_3genE10ELNS1_11target_archE1200ELNS1_3gpuE4ELNS1_3repE0EEENS1_30default_config_static_selectorELNS0_4arch9wavefront6targetE1EEEvT1_.num_named_barrier, 0
	.set _ZN7rocprim17ROCPRIM_400000_NS6detail17trampoline_kernelINS0_14default_configENS1_25partition_config_selectorILNS1_17partition_subalgoE5ElNS0_10empty_typeEbEEZZNS1_14partition_implILS5_5ELb0ES3_mN6hipcub16HIPCUB_304000_NS21CountingInputIteratorIllEEPS6_NSA_22TransformInputIteratorIb7NonZeroIfEPflEENS0_5tupleIJPlS6_EEENSJ_IJSD_SD_EEES6_SK_JS6_EEE10hipError_tPvRmT3_T4_T5_T6_T7_T9_mT8_P12ihipStream_tbDpT10_ENKUlT_T0_E_clISt17integral_constantIbLb0EES16_EEDaS11_S12_EUlS11_E_NS1_11comp_targetILNS1_3genE10ELNS1_11target_archE1200ELNS1_3gpuE4ELNS1_3repE0EEENS1_30default_config_static_selectorELNS0_4arch9wavefront6targetE1EEEvT1_.private_seg_size, 0
	.set _ZN7rocprim17ROCPRIM_400000_NS6detail17trampoline_kernelINS0_14default_configENS1_25partition_config_selectorILNS1_17partition_subalgoE5ElNS0_10empty_typeEbEEZZNS1_14partition_implILS5_5ELb0ES3_mN6hipcub16HIPCUB_304000_NS21CountingInputIteratorIllEEPS6_NSA_22TransformInputIteratorIb7NonZeroIfEPflEENS0_5tupleIJPlS6_EEENSJ_IJSD_SD_EEES6_SK_JS6_EEE10hipError_tPvRmT3_T4_T5_T6_T7_T9_mT8_P12ihipStream_tbDpT10_ENKUlT_T0_E_clISt17integral_constantIbLb0EES16_EEDaS11_S12_EUlS11_E_NS1_11comp_targetILNS1_3genE10ELNS1_11target_archE1200ELNS1_3gpuE4ELNS1_3repE0EEENS1_30default_config_static_selectorELNS0_4arch9wavefront6targetE1EEEvT1_.uses_vcc, 0
	.set _ZN7rocprim17ROCPRIM_400000_NS6detail17trampoline_kernelINS0_14default_configENS1_25partition_config_selectorILNS1_17partition_subalgoE5ElNS0_10empty_typeEbEEZZNS1_14partition_implILS5_5ELb0ES3_mN6hipcub16HIPCUB_304000_NS21CountingInputIteratorIllEEPS6_NSA_22TransformInputIteratorIb7NonZeroIfEPflEENS0_5tupleIJPlS6_EEENSJ_IJSD_SD_EEES6_SK_JS6_EEE10hipError_tPvRmT3_T4_T5_T6_T7_T9_mT8_P12ihipStream_tbDpT10_ENKUlT_T0_E_clISt17integral_constantIbLb0EES16_EEDaS11_S12_EUlS11_E_NS1_11comp_targetILNS1_3genE10ELNS1_11target_archE1200ELNS1_3gpuE4ELNS1_3repE0EEENS1_30default_config_static_selectorELNS0_4arch9wavefront6targetE1EEEvT1_.uses_flat_scratch, 0
	.set _ZN7rocprim17ROCPRIM_400000_NS6detail17trampoline_kernelINS0_14default_configENS1_25partition_config_selectorILNS1_17partition_subalgoE5ElNS0_10empty_typeEbEEZZNS1_14partition_implILS5_5ELb0ES3_mN6hipcub16HIPCUB_304000_NS21CountingInputIteratorIllEEPS6_NSA_22TransformInputIteratorIb7NonZeroIfEPflEENS0_5tupleIJPlS6_EEENSJ_IJSD_SD_EEES6_SK_JS6_EEE10hipError_tPvRmT3_T4_T5_T6_T7_T9_mT8_P12ihipStream_tbDpT10_ENKUlT_T0_E_clISt17integral_constantIbLb0EES16_EEDaS11_S12_EUlS11_E_NS1_11comp_targetILNS1_3genE10ELNS1_11target_archE1200ELNS1_3gpuE4ELNS1_3repE0EEENS1_30default_config_static_selectorELNS0_4arch9wavefront6targetE1EEEvT1_.has_dyn_sized_stack, 0
	.set _ZN7rocprim17ROCPRIM_400000_NS6detail17trampoline_kernelINS0_14default_configENS1_25partition_config_selectorILNS1_17partition_subalgoE5ElNS0_10empty_typeEbEEZZNS1_14partition_implILS5_5ELb0ES3_mN6hipcub16HIPCUB_304000_NS21CountingInputIteratorIllEEPS6_NSA_22TransformInputIteratorIb7NonZeroIfEPflEENS0_5tupleIJPlS6_EEENSJ_IJSD_SD_EEES6_SK_JS6_EEE10hipError_tPvRmT3_T4_T5_T6_T7_T9_mT8_P12ihipStream_tbDpT10_ENKUlT_T0_E_clISt17integral_constantIbLb0EES16_EEDaS11_S12_EUlS11_E_NS1_11comp_targetILNS1_3genE10ELNS1_11target_archE1200ELNS1_3gpuE4ELNS1_3repE0EEENS1_30default_config_static_selectorELNS0_4arch9wavefront6targetE1EEEvT1_.has_recursion, 0
	.set _ZN7rocprim17ROCPRIM_400000_NS6detail17trampoline_kernelINS0_14default_configENS1_25partition_config_selectorILNS1_17partition_subalgoE5ElNS0_10empty_typeEbEEZZNS1_14partition_implILS5_5ELb0ES3_mN6hipcub16HIPCUB_304000_NS21CountingInputIteratorIllEEPS6_NSA_22TransformInputIteratorIb7NonZeroIfEPflEENS0_5tupleIJPlS6_EEENSJ_IJSD_SD_EEES6_SK_JS6_EEE10hipError_tPvRmT3_T4_T5_T6_T7_T9_mT8_P12ihipStream_tbDpT10_ENKUlT_T0_E_clISt17integral_constantIbLb0EES16_EEDaS11_S12_EUlS11_E_NS1_11comp_targetILNS1_3genE10ELNS1_11target_archE1200ELNS1_3gpuE4ELNS1_3repE0EEENS1_30default_config_static_selectorELNS0_4arch9wavefront6targetE1EEEvT1_.has_indirect_call, 0
	.section	.AMDGPU.csdata,"",@progbits
; Kernel info:
; codeLenInByte = 0
; TotalNumSgprs: 4
; NumVgprs: 0
; ScratchSize: 0
; MemoryBound: 0
; FloatMode: 240
; IeeeMode: 1
; LDSByteSize: 0 bytes/workgroup (compile time only)
; SGPRBlocks: 0
; VGPRBlocks: 0
; NumSGPRsForWavesPerEU: 4
; NumVGPRsForWavesPerEU: 1
; Occupancy: 10
; WaveLimiterHint : 0
; COMPUTE_PGM_RSRC2:SCRATCH_EN: 0
; COMPUTE_PGM_RSRC2:USER_SGPR: 6
; COMPUTE_PGM_RSRC2:TRAP_HANDLER: 0
; COMPUTE_PGM_RSRC2:TGID_X_EN: 1
; COMPUTE_PGM_RSRC2:TGID_Y_EN: 0
; COMPUTE_PGM_RSRC2:TGID_Z_EN: 0
; COMPUTE_PGM_RSRC2:TIDIG_COMP_CNT: 0
	.section	.text._ZN7rocprim17ROCPRIM_400000_NS6detail17trampoline_kernelINS0_14default_configENS1_25partition_config_selectorILNS1_17partition_subalgoE5ElNS0_10empty_typeEbEEZZNS1_14partition_implILS5_5ELb0ES3_mN6hipcub16HIPCUB_304000_NS21CountingInputIteratorIllEEPS6_NSA_22TransformInputIteratorIb7NonZeroIfEPflEENS0_5tupleIJPlS6_EEENSJ_IJSD_SD_EEES6_SK_JS6_EEE10hipError_tPvRmT3_T4_T5_T6_T7_T9_mT8_P12ihipStream_tbDpT10_ENKUlT_T0_E_clISt17integral_constantIbLb0EES16_EEDaS11_S12_EUlS11_E_NS1_11comp_targetILNS1_3genE9ELNS1_11target_archE1100ELNS1_3gpuE3ELNS1_3repE0EEENS1_30default_config_static_selectorELNS0_4arch9wavefront6targetE1EEEvT1_,"axG",@progbits,_ZN7rocprim17ROCPRIM_400000_NS6detail17trampoline_kernelINS0_14default_configENS1_25partition_config_selectorILNS1_17partition_subalgoE5ElNS0_10empty_typeEbEEZZNS1_14partition_implILS5_5ELb0ES3_mN6hipcub16HIPCUB_304000_NS21CountingInputIteratorIllEEPS6_NSA_22TransformInputIteratorIb7NonZeroIfEPflEENS0_5tupleIJPlS6_EEENSJ_IJSD_SD_EEES6_SK_JS6_EEE10hipError_tPvRmT3_T4_T5_T6_T7_T9_mT8_P12ihipStream_tbDpT10_ENKUlT_T0_E_clISt17integral_constantIbLb0EES16_EEDaS11_S12_EUlS11_E_NS1_11comp_targetILNS1_3genE9ELNS1_11target_archE1100ELNS1_3gpuE3ELNS1_3repE0EEENS1_30default_config_static_selectorELNS0_4arch9wavefront6targetE1EEEvT1_,comdat
	.protected	_ZN7rocprim17ROCPRIM_400000_NS6detail17trampoline_kernelINS0_14default_configENS1_25partition_config_selectorILNS1_17partition_subalgoE5ElNS0_10empty_typeEbEEZZNS1_14partition_implILS5_5ELb0ES3_mN6hipcub16HIPCUB_304000_NS21CountingInputIteratorIllEEPS6_NSA_22TransformInputIteratorIb7NonZeroIfEPflEENS0_5tupleIJPlS6_EEENSJ_IJSD_SD_EEES6_SK_JS6_EEE10hipError_tPvRmT3_T4_T5_T6_T7_T9_mT8_P12ihipStream_tbDpT10_ENKUlT_T0_E_clISt17integral_constantIbLb0EES16_EEDaS11_S12_EUlS11_E_NS1_11comp_targetILNS1_3genE9ELNS1_11target_archE1100ELNS1_3gpuE3ELNS1_3repE0EEENS1_30default_config_static_selectorELNS0_4arch9wavefront6targetE1EEEvT1_ ; -- Begin function _ZN7rocprim17ROCPRIM_400000_NS6detail17trampoline_kernelINS0_14default_configENS1_25partition_config_selectorILNS1_17partition_subalgoE5ElNS0_10empty_typeEbEEZZNS1_14partition_implILS5_5ELb0ES3_mN6hipcub16HIPCUB_304000_NS21CountingInputIteratorIllEEPS6_NSA_22TransformInputIteratorIb7NonZeroIfEPflEENS0_5tupleIJPlS6_EEENSJ_IJSD_SD_EEES6_SK_JS6_EEE10hipError_tPvRmT3_T4_T5_T6_T7_T9_mT8_P12ihipStream_tbDpT10_ENKUlT_T0_E_clISt17integral_constantIbLb0EES16_EEDaS11_S12_EUlS11_E_NS1_11comp_targetILNS1_3genE9ELNS1_11target_archE1100ELNS1_3gpuE3ELNS1_3repE0EEENS1_30default_config_static_selectorELNS0_4arch9wavefront6targetE1EEEvT1_
	.globl	_ZN7rocprim17ROCPRIM_400000_NS6detail17trampoline_kernelINS0_14default_configENS1_25partition_config_selectorILNS1_17partition_subalgoE5ElNS0_10empty_typeEbEEZZNS1_14partition_implILS5_5ELb0ES3_mN6hipcub16HIPCUB_304000_NS21CountingInputIteratorIllEEPS6_NSA_22TransformInputIteratorIb7NonZeroIfEPflEENS0_5tupleIJPlS6_EEENSJ_IJSD_SD_EEES6_SK_JS6_EEE10hipError_tPvRmT3_T4_T5_T6_T7_T9_mT8_P12ihipStream_tbDpT10_ENKUlT_T0_E_clISt17integral_constantIbLb0EES16_EEDaS11_S12_EUlS11_E_NS1_11comp_targetILNS1_3genE9ELNS1_11target_archE1100ELNS1_3gpuE3ELNS1_3repE0EEENS1_30default_config_static_selectorELNS0_4arch9wavefront6targetE1EEEvT1_
	.p2align	8
	.type	_ZN7rocprim17ROCPRIM_400000_NS6detail17trampoline_kernelINS0_14default_configENS1_25partition_config_selectorILNS1_17partition_subalgoE5ElNS0_10empty_typeEbEEZZNS1_14partition_implILS5_5ELb0ES3_mN6hipcub16HIPCUB_304000_NS21CountingInputIteratorIllEEPS6_NSA_22TransformInputIteratorIb7NonZeroIfEPflEENS0_5tupleIJPlS6_EEENSJ_IJSD_SD_EEES6_SK_JS6_EEE10hipError_tPvRmT3_T4_T5_T6_T7_T9_mT8_P12ihipStream_tbDpT10_ENKUlT_T0_E_clISt17integral_constantIbLb0EES16_EEDaS11_S12_EUlS11_E_NS1_11comp_targetILNS1_3genE9ELNS1_11target_archE1100ELNS1_3gpuE3ELNS1_3repE0EEENS1_30default_config_static_selectorELNS0_4arch9wavefront6targetE1EEEvT1_,@function
_ZN7rocprim17ROCPRIM_400000_NS6detail17trampoline_kernelINS0_14default_configENS1_25partition_config_selectorILNS1_17partition_subalgoE5ElNS0_10empty_typeEbEEZZNS1_14partition_implILS5_5ELb0ES3_mN6hipcub16HIPCUB_304000_NS21CountingInputIteratorIllEEPS6_NSA_22TransformInputIteratorIb7NonZeroIfEPflEENS0_5tupleIJPlS6_EEENSJ_IJSD_SD_EEES6_SK_JS6_EEE10hipError_tPvRmT3_T4_T5_T6_T7_T9_mT8_P12ihipStream_tbDpT10_ENKUlT_T0_E_clISt17integral_constantIbLb0EES16_EEDaS11_S12_EUlS11_E_NS1_11comp_targetILNS1_3genE9ELNS1_11target_archE1100ELNS1_3gpuE3ELNS1_3repE0EEENS1_30default_config_static_selectorELNS0_4arch9wavefront6targetE1EEEvT1_: ; @_ZN7rocprim17ROCPRIM_400000_NS6detail17trampoline_kernelINS0_14default_configENS1_25partition_config_selectorILNS1_17partition_subalgoE5ElNS0_10empty_typeEbEEZZNS1_14partition_implILS5_5ELb0ES3_mN6hipcub16HIPCUB_304000_NS21CountingInputIteratorIllEEPS6_NSA_22TransformInputIteratorIb7NonZeroIfEPflEENS0_5tupleIJPlS6_EEENSJ_IJSD_SD_EEES6_SK_JS6_EEE10hipError_tPvRmT3_T4_T5_T6_T7_T9_mT8_P12ihipStream_tbDpT10_ENKUlT_T0_E_clISt17integral_constantIbLb0EES16_EEDaS11_S12_EUlS11_E_NS1_11comp_targetILNS1_3genE9ELNS1_11target_archE1100ELNS1_3gpuE3ELNS1_3repE0EEENS1_30default_config_static_selectorELNS0_4arch9wavefront6targetE1EEEvT1_
; %bb.0:
	.section	.rodata,"a",@progbits
	.p2align	6, 0x0
	.amdhsa_kernel _ZN7rocprim17ROCPRIM_400000_NS6detail17trampoline_kernelINS0_14default_configENS1_25partition_config_selectorILNS1_17partition_subalgoE5ElNS0_10empty_typeEbEEZZNS1_14partition_implILS5_5ELb0ES3_mN6hipcub16HIPCUB_304000_NS21CountingInputIteratorIllEEPS6_NSA_22TransformInputIteratorIb7NonZeroIfEPflEENS0_5tupleIJPlS6_EEENSJ_IJSD_SD_EEES6_SK_JS6_EEE10hipError_tPvRmT3_T4_T5_T6_T7_T9_mT8_P12ihipStream_tbDpT10_ENKUlT_T0_E_clISt17integral_constantIbLb0EES16_EEDaS11_S12_EUlS11_E_NS1_11comp_targetILNS1_3genE9ELNS1_11target_archE1100ELNS1_3gpuE3ELNS1_3repE0EEENS1_30default_config_static_selectorELNS0_4arch9wavefront6targetE1EEEvT1_
		.amdhsa_group_segment_fixed_size 0
		.amdhsa_private_segment_fixed_size 0
		.amdhsa_kernarg_size 120
		.amdhsa_user_sgpr_count 6
		.amdhsa_user_sgpr_private_segment_buffer 1
		.amdhsa_user_sgpr_dispatch_ptr 0
		.amdhsa_user_sgpr_queue_ptr 0
		.amdhsa_user_sgpr_kernarg_segment_ptr 1
		.amdhsa_user_sgpr_dispatch_id 0
		.amdhsa_user_sgpr_flat_scratch_init 0
		.amdhsa_user_sgpr_private_segment_size 0
		.amdhsa_uses_dynamic_stack 0
		.amdhsa_system_sgpr_private_segment_wavefront_offset 0
		.amdhsa_system_sgpr_workgroup_id_x 1
		.amdhsa_system_sgpr_workgroup_id_y 0
		.amdhsa_system_sgpr_workgroup_id_z 0
		.amdhsa_system_sgpr_workgroup_info 0
		.amdhsa_system_vgpr_workitem_id 0
		.amdhsa_next_free_vgpr 1
		.amdhsa_next_free_sgpr 0
		.amdhsa_reserve_vcc 0
		.amdhsa_reserve_flat_scratch 0
		.amdhsa_float_round_mode_32 0
		.amdhsa_float_round_mode_16_64 0
		.amdhsa_float_denorm_mode_32 3
		.amdhsa_float_denorm_mode_16_64 3
		.amdhsa_dx10_clamp 1
		.amdhsa_ieee_mode 1
		.amdhsa_fp16_overflow 0
		.amdhsa_exception_fp_ieee_invalid_op 0
		.amdhsa_exception_fp_denorm_src 0
		.amdhsa_exception_fp_ieee_div_zero 0
		.amdhsa_exception_fp_ieee_overflow 0
		.amdhsa_exception_fp_ieee_underflow 0
		.amdhsa_exception_fp_ieee_inexact 0
		.amdhsa_exception_int_div_zero 0
	.end_amdhsa_kernel
	.section	.text._ZN7rocprim17ROCPRIM_400000_NS6detail17trampoline_kernelINS0_14default_configENS1_25partition_config_selectorILNS1_17partition_subalgoE5ElNS0_10empty_typeEbEEZZNS1_14partition_implILS5_5ELb0ES3_mN6hipcub16HIPCUB_304000_NS21CountingInputIteratorIllEEPS6_NSA_22TransformInputIteratorIb7NonZeroIfEPflEENS0_5tupleIJPlS6_EEENSJ_IJSD_SD_EEES6_SK_JS6_EEE10hipError_tPvRmT3_T4_T5_T6_T7_T9_mT8_P12ihipStream_tbDpT10_ENKUlT_T0_E_clISt17integral_constantIbLb0EES16_EEDaS11_S12_EUlS11_E_NS1_11comp_targetILNS1_3genE9ELNS1_11target_archE1100ELNS1_3gpuE3ELNS1_3repE0EEENS1_30default_config_static_selectorELNS0_4arch9wavefront6targetE1EEEvT1_,"axG",@progbits,_ZN7rocprim17ROCPRIM_400000_NS6detail17trampoline_kernelINS0_14default_configENS1_25partition_config_selectorILNS1_17partition_subalgoE5ElNS0_10empty_typeEbEEZZNS1_14partition_implILS5_5ELb0ES3_mN6hipcub16HIPCUB_304000_NS21CountingInputIteratorIllEEPS6_NSA_22TransformInputIteratorIb7NonZeroIfEPflEENS0_5tupleIJPlS6_EEENSJ_IJSD_SD_EEES6_SK_JS6_EEE10hipError_tPvRmT3_T4_T5_T6_T7_T9_mT8_P12ihipStream_tbDpT10_ENKUlT_T0_E_clISt17integral_constantIbLb0EES16_EEDaS11_S12_EUlS11_E_NS1_11comp_targetILNS1_3genE9ELNS1_11target_archE1100ELNS1_3gpuE3ELNS1_3repE0EEENS1_30default_config_static_selectorELNS0_4arch9wavefront6targetE1EEEvT1_,comdat
.Lfunc_end259:
	.size	_ZN7rocprim17ROCPRIM_400000_NS6detail17trampoline_kernelINS0_14default_configENS1_25partition_config_selectorILNS1_17partition_subalgoE5ElNS0_10empty_typeEbEEZZNS1_14partition_implILS5_5ELb0ES3_mN6hipcub16HIPCUB_304000_NS21CountingInputIteratorIllEEPS6_NSA_22TransformInputIteratorIb7NonZeroIfEPflEENS0_5tupleIJPlS6_EEENSJ_IJSD_SD_EEES6_SK_JS6_EEE10hipError_tPvRmT3_T4_T5_T6_T7_T9_mT8_P12ihipStream_tbDpT10_ENKUlT_T0_E_clISt17integral_constantIbLb0EES16_EEDaS11_S12_EUlS11_E_NS1_11comp_targetILNS1_3genE9ELNS1_11target_archE1100ELNS1_3gpuE3ELNS1_3repE0EEENS1_30default_config_static_selectorELNS0_4arch9wavefront6targetE1EEEvT1_, .Lfunc_end259-_ZN7rocprim17ROCPRIM_400000_NS6detail17trampoline_kernelINS0_14default_configENS1_25partition_config_selectorILNS1_17partition_subalgoE5ElNS0_10empty_typeEbEEZZNS1_14partition_implILS5_5ELb0ES3_mN6hipcub16HIPCUB_304000_NS21CountingInputIteratorIllEEPS6_NSA_22TransformInputIteratorIb7NonZeroIfEPflEENS0_5tupleIJPlS6_EEENSJ_IJSD_SD_EEES6_SK_JS6_EEE10hipError_tPvRmT3_T4_T5_T6_T7_T9_mT8_P12ihipStream_tbDpT10_ENKUlT_T0_E_clISt17integral_constantIbLb0EES16_EEDaS11_S12_EUlS11_E_NS1_11comp_targetILNS1_3genE9ELNS1_11target_archE1100ELNS1_3gpuE3ELNS1_3repE0EEENS1_30default_config_static_selectorELNS0_4arch9wavefront6targetE1EEEvT1_
                                        ; -- End function
	.set _ZN7rocprim17ROCPRIM_400000_NS6detail17trampoline_kernelINS0_14default_configENS1_25partition_config_selectorILNS1_17partition_subalgoE5ElNS0_10empty_typeEbEEZZNS1_14partition_implILS5_5ELb0ES3_mN6hipcub16HIPCUB_304000_NS21CountingInputIteratorIllEEPS6_NSA_22TransformInputIteratorIb7NonZeroIfEPflEENS0_5tupleIJPlS6_EEENSJ_IJSD_SD_EEES6_SK_JS6_EEE10hipError_tPvRmT3_T4_T5_T6_T7_T9_mT8_P12ihipStream_tbDpT10_ENKUlT_T0_E_clISt17integral_constantIbLb0EES16_EEDaS11_S12_EUlS11_E_NS1_11comp_targetILNS1_3genE9ELNS1_11target_archE1100ELNS1_3gpuE3ELNS1_3repE0EEENS1_30default_config_static_selectorELNS0_4arch9wavefront6targetE1EEEvT1_.num_vgpr, 0
	.set _ZN7rocprim17ROCPRIM_400000_NS6detail17trampoline_kernelINS0_14default_configENS1_25partition_config_selectorILNS1_17partition_subalgoE5ElNS0_10empty_typeEbEEZZNS1_14partition_implILS5_5ELb0ES3_mN6hipcub16HIPCUB_304000_NS21CountingInputIteratorIllEEPS6_NSA_22TransformInputIteratorIb7NonZeroIfEPflEENS0_5tupleIJPlS6_EEENSJ_IJSD_SD_EEES6_SK_JS6_EEE10hipError_tPvRmT3_T4_T5_T6_T7_T9_mT8_P12ihipStream_tbDpT10_ENKUlT_T0_E_clISt17integral_constantIbLb0EES16_EEDaS11_S12_EUlS11_E_NS1_11comp_targetILNS1_3genE9ELNS1_11target_archE1100ELNS1_3gpuE3ELNS1_3repE0EEENS1_30default_config_static_selectorELNS0_4arch9wavefront6targetE1EEEvT1_.num_agpr, 0
	.set _ZN7rocprim17ROCPRIM_400000_NS6detail17trampoline_kernelINS0_14default_configENS1_25partition_config_selectorILNS1_17partition_subalgoE5ElNS0_10empty_typeEbEEZZNS1_14partition_implILS5_5ELb0ES3_mN6hipcub16HIPCUB_304000_NS21CountingInputIteratorIllEEPS6_NSA_22TransformInputIteratorIb7NonZeroIfEPflEENS0_5tupleIJPlS6_EEENSJ_IJSD_SD_EEES6_SK_JS6_EEE10hipError_tPvRmT3_T4_T5_T6_T7_T9_mT8_P12ihipStream_tbDpT10_ENKUlT_T0_E_clISt17integral_constantIbLb0EES16_EEDaS11_S12_EUlS11_E_NS1_11comp_targetILNS1_3genE9ELNS1_11target_archE1100ELNS1_3gpuE3ELNS1_3repE0EEENS1_30default_config_static_selectorELNS0_4arch9wavefront6targetE1EEEvT1_.numbered_sgpr, 0
	.set _ZN7rocprim17ROCPRIM_400000_NS6detail17trampoline_kernelINS0_14default_configENS1_25partition_config_selectorILNS1_17partition_subalgoE5ElNS0_10empty_typeEbEEZZNS1_14partition_implILS5_5ELb0ES3_mN6hipcub16HIPCUB_304000_NS21CountingInputIteratorIllEEPS6_NSA_22TransformInputIteratorIb7NonZeroIfEPflEENS0_5tupleIJPlS6_EEENSJ_IJSD_SD_EEES6_SK_JS6_EEE10hipError_tPvRmT3_T4_T5_T6_T7_T9_mT8_P12ihipStream_tbDpT10_ENKUlT_T0_E_clISt17integral_constantIbLb0EES16_EEDaS11_S12_EUlS11_E_NS1_11comp_targetILNS1_3genE9ELNS1_11target_archE1100ELNS1_3gpuE3ELNS1_3repE0EEENS1_30default_config_static_selectorELNS0_4arch9wavefront6targetE1EEEvT1_.num_named_barrier, 0
	.set _ZN7rocprim17ROCPRIM_400000_NS6detail17trampoline_kernelINS0_14default_configENS1_25partition_config_selectorILNS1_17partition_subalgoE5ElNS0_10empty_typeEbEEZZNS1_14partition_implILS5_5ELb0ES3_mN6hipcub16HIPCUB_304000_NS21CountingInputIteratorIllEEPS6_NSA_22TransformInputIteratorIb7NonZeroIfEPflEENS0_5tupleIJPlS6_EEENSJ_IJSD_SD_EEES6_SK_JS6_EEE10hipError_tPvRmT3_T4_T5_T6_T7_T9_mT8_P12ihipStream_tbDpT10_ENKUlT_T0_E_clISt17integral_constantIbLb0EES16_EEDaS11_S12_EUlS11_E_NS1_11comp_targetILNS1_3genE9ELNS1_11target_archE1100ELNS1_3gpuE3ELNS1_3repE0EEENS1_30default_config_static_selectorELNS0_4arch9wavefront6targetE1EEEvT1_.private_seg_size, 0
	.set _ZN7rocprim17ROCPRIM_400000_NS6detail17trampoline_kernelINS0_14default_configENS1_25partition_config_selectorILNS1_17partition_subalgoE5ElNS0_10empty_typeEbEEZZNS1_14partition_implILS5_5ELb0ES3_mN6hipcub16HIPCUB_304000_NS21CountingInputIteratorIllEEPS6_NSA_22TransformInputIteratorIb7NonZeroIfEPflEENS0_5tupleIJPlS6_EEENSJ_IJSD_SD_EEES6_SK_JS6_EEE10hipError_tPvRmT3_T4_T5_T6_T7_T9_mT8_P12ihipStream_tbDpT10_ENKUlT_T0_E_clISt17integral_constantIbLb0EES16_EEDaS11_S12_EUlS11_E_NS1_11comp_targetILNS1_3genE9ELNS1_11target_archE1100ELNS1_3gpuE3ELNS1_3repE0EEENS1_30default_config_static_selectorELNS0_4arch9wavefront6targetE1EEEvT1_.uses_vcc, 0
	.set _ZN7rocprim17ROCPRIM_400000_NS6detail17trampoline_kernelINS0_14default_configENS1_25partition_config_selectorILNS1_17partition_subalgoE5ElNS0_10empty_typeEbEEZZNS1_14partition_implILS5_5ELb0ES3_mN6hipcub16HIPCUB_304000_NS21CountingInputIteratorIllEEPS6_NSA_22TransformInputIteratorIb7NonZeroIfEPflEENS0_5tupleIJPlS6_EEENSJ_IJSD_SD_EEES6_SK_JS6_EEE10hipError_tPvRmT3_T4_T5_T6_T7_T9_mT8_P12ihipStream_tbDpT10_ENKUlT_T0_E_clISt17integral_constantIbLb0EES16_EEDaS11_S12_EUlS11_E_NS1_11comp_targetILNS1_3genE9ELNS1_11target_archE1100ELNS1_3gpuE3ELNS1_3repE0EEENS1_30default_config_static_selectorELNS0_4arch9wavefront6targetE1EEEvT1_.uses_flat_scratch, 0
	.set _ZN7rocprim17ROCPRIM_400000_NS6detail17trampoline_kernelINS0_14default_configENS1_25partition_config_selectorILNS1_17partition_subalgoE5ElNS0_10empty_typeEbEEZZNS1_14partition_implILS5_5ELb0ES3_mN6hipcub16HIPCUB_304000_NS21CountingInputIteratorIllEEPS6_NSA_22TransformInputIteratorIb7NonZeroIfEPflEENS0_5tupleIJPlS6_EEENSJ_IJSD_SD_EEES6_SK_JS6_EEE10hipError_tPvRmT3_T4_T5_T6_T7_T9_mT8_P12ihipStream_tbDpT10_ENKUlT_T0_E_clISt17integral_constantIbLb0EES16_EEDaS11_S12_EUlS11_E_NS1_11comp_targetILNS1_3genE9ELNS1_11target_archE1100ELNS1_3gpuE3ELNS1_3repE0EEENS1_30default_config_static_selectorELNS0_4arch9wavefront6targetE1EEEvT1_.has_dyn_sized_stack, 0
	.set _ZN7rocprim17ROCPRIM_400000_NS6detail17trampoline_kernelINS0_14default_configENS1_25partition_config_selectorILNS1_17partition_subalgoE5ElNS0_10empty_typeEbEEZZNS1_14partition_implILS5_5ELb0ES3_mN6hipcub16HIPCUB_304000_NS21CountingInputIteratorIllEEPS6_NSA_22TransformInputIteratorIb7NonZeroIfEPflEENS0_5tupleIJPlS6_EEENSJ_IJSD_SD_EEES6_SK_JS6_EEE10hipError_tPvRmT3_T4_T5_T6_T7_T9_mT8_P12ihipStream_tbDpT10_ENKUlT_T0_E_clISt17integral_constantIbLb0EES16_EEDaS11_S12_EUlS11_E_NS1_11comp_targetILNS1_3genE9ELNS1_11target_archE1100ELNS1_3gpuE3ELNS1_3repE0EEENS1_30default_config_static_selectorELNS0_4arch9wavefront6targetE1EEEvT1_.has_recursion, 0
	.set _ZN7rocprim17ROCPRIM_400000_NS6detail17trampoline_kernelINS0_14default_configENS1_25partition_config_selectorILNS1_17partition_subalgoE5ElNS0_10empty_typeEbEEZZNS1_14partition_implILS5_5ELb0ES3_mN6hipcub16HIPCUB_304000_NS21CountingInputIteratorIllEEPS6_NSA_22TransformInputIteratorIb7NonZeroIfEPflEENS0_5tupleIJPlS6_EEENSJ_IJSD_SD_EEES6_SK_JS6_EEE10hipError_tPvRmT3_T4_T5_T6_T7_T9_mT8_P12ihipStream_tbDpT10_ENKUlT_T0_E_clISt17integral_constantIbLb0EES16_EEDaS11_S12_EUlS11_E_NS1_11comp_targetILNS1_3genE9ELNS1_11target_archE1100ELNS1_3gpuE3ELNS1_3repE0EEENS1_30default_config_static_selectorELNS0_4arch9wavefront6targetE1EEEvT1_.has_indirect_call, 0
	.section	.AMDGPU.csdata,"",@progbits
; Kernel info:
; codeLenInByte = 0
; TotalNumSgprs: 4
; NumVgprs: 0
; ScratchSize: 0
; MemoryBound: 0
; FloatMode: 240
; IeeeMode: 1
; LDSByteSize: 0 bytes/workgroup (compile time only)
; SGPRBlocks: 0
; VGPRBlocks: 0
; NumSGPRsForWavesPerEU: 4
; NumVGPRsForWavesPerEU: 1
; Occupancy: 10
; WaveLimiterHint : 0
; COMPUTE_PGM_RSRC2:SCRATCH_EN: 0
; COMPUTE_PGM_RSRC2:USER_SGPR: 6
; COMPUTE_PGM_RSRC2:TRAP_HANDLER: 0
; COMPUTE_PGM_RSRC2:TGID_X_EN: 1
; COMPUTE_PGM_RSRC2:TGID_Y_EN: 0
; COMPUTE_PGM_RSRC2:TGID_Z_EN: 0
; COMPUTE_PGM_RSRC2:TIDIG_COMP_CNT: 0
	.section	.text._ZN7rocprim17ROCPRIM_400000_NS6detail17trampoline_kernelINS0_14default_configENS1_25partition_config_selectorILNS1_17partition_subalgoE5ElNS0_10empty_typeEbEEZZNS1_14partition_implILS5_5ELb0ES3_mN6hipcub16HIPCUB_304000_NS21CountingInputIteratorIllEEPS6_NSA_22TransformInputIteratorIb7NonZeroIfEPflEENS0_5tupleIJPlS6_EEENSJ_IJSD_SD_EEES6_SK_JS6_EEE10hipError_tPvRmT3_T4_T5_T6_T7_T9_mT8_P12ihipStream_tbDpT10_ENKUlT_T0_E_clISt17integral_constantIbLb0EES16_EEDaS11_S12_EUlS11_E_NS1_11comp_targetILNS1_3genE8ELNS1_11target_archE1030ELNS1_3gpuE2ELNS1_3repE0EEENS1_30default_config_static_selectorELNS0_4arch9wavefront6targetE1EEEvT1_,"axG",@progbits,_ZN7rocprim17ROCPRIM_400000_NS6detail17trampoline_kernelINS0_14default_configENS1_25partition_config_selectorILNS1_17partition_subalgoE5ElNS0_10empty_typeEbEEZZNS1_14partition_implILS5_5ELb0ES3_mN6hipcub16HIPCUB_304000_NS21CountingInputIteratorIllEEPS6_NSA_22TransformInputIteratorIb7NonZeroIfEPflEENS0_5tupleIJPlS6_EEENSJ_IJSD_SD_EEES6_SK_JS6_EEE10hipError_tPvRmT3_T4_T5_T6_T7_T9_mT8_P12ihipStream_tbDpT10_ENKUlT_T0_E_clISt17integral_constantIbLb0EES16_EEDaS11_S12_EUlS11_E_NS1_11comp_targetILNS1_3genE8ELNS1_11target_archE1030ELNS1_3gpuE2ELNS1_3repE0EEENS1_30default_config_static_selectorELNS0_4arch9wavefront6targetE1EEEvT1_,comdat
	.protected	_ZN7rocprim17ROCPRIM_400000_NS6detail17trampoline_kernelINS0_14default_configENS1_25partition_config_selectorILNS1_17partition_subalgoE5ElNS0_10empty_typeEbEEZZNS1_14partition_implILS5_5ELb0ES3_mN6hipcub16HIPCUB_304000_NS21CountingInputIteratorIllEEPS6_NSA_22TransformInputIteratorIb7NonZeroIfEPflEENS0_5tupleIJPlS6_EEENSJ_IJSD_SD_EEES6_SK_JS6_EEE10hipError_tPvRmT3_T4_T5_T6_T7_T9_mT8_P12ihipStream_tbDpT10_ENKUlT_T0_E_clISt17integral_constantIbLb0EES16_EEDaS11_S12_EUlS11_E_NS1_11comp_targetILNS1_3genE8ELNS1_11target_archE1030ELNS1_3gpuE2ELNS1_3repE0EEENS1_30default_config_static_selectorELNS0_4arch9wavefront6targetE1EEEvT1_ ; -- Begin function _ZN7rocprim17ROCPRIM_400000_NS6detail17trampoline_kernelINS0_14default_configENS1_25partition_config_selectorILNS1_17partition_subalgoE5ElNS0_10empty_typeEbEEZZNS1_14partition_implILS5_5ELb0ES3_mN6hipcub16HIPCUB_304000_NS21CountingInputIteratorIllEEPS6_NSA_22TransformInputIteratorIb7NonZeroIfEPflEENS0_5tupleIJPlS6_EEENSJ_IJSD_SD_EEES6_SK_JS6_EEE10hipError_tPvRmT3_T4_T5_T6_T7_T9_mT8_P12ihipStream_tbDpT10_ENKUlT_T0_E_clISt17integral_constantIbLb0EES16_EEDaS11_S12_EUlS11_E_NS1_11comp_targetILNS1_3genE8ELNS1_11target_archE1030ELNS1_3gpuE2ELNS1_3repE0EEENS1_30default_config_static_selectorELNS0_4arch9wavefront6targetE1EEEvT1_
	.globl	_ZN7rocprim17ROCPRIM_400000_NS6detail17trampoline_kernelINS0_14default_configENS1_25partition_config_selectorILNS1_17partition_subalgoE5ElNS0_10empty_typeEbEEZZNS1_14partition_implILS5_5ELb0ES3_mN6hipcub16HIPCUB_304000_NS21CountingInputIteratorIllEEPS6_NSA_22TransformInputIteratorIb7NonZeroIfEPflEENS0_5tupleIJPlS6_EEENSJ_IJSD_SD_EEES6_SK_JS6_EEE10hipError_tPvRmT3_T4_T5_T6_T7_T9_mT8_P12ihipStream_tbDpT10_ENKUlT_T0_E_clISt17integral_constantIbLb0EES16_EEDaS11_S12_EUlS11_E_NS1_11comp_targetILNS1_3genE8ELNS1_11target_archE1030ELNS1_3gpuE2ELNS1_3repE0EEENS1_30default_config_static_selectorELNS0_4arch9wavefront6targetE1EEEvT1_
	.p2align	8
	.type	_ZN7rocprim17ROCPRIM_400000_NS6detail17trampoline_kernelINS0_14default_configENS1_25partition_config_selectorILNS1_17partition_subalgoE5ElNS0_10empty_typeEbEEZZNS1_14partition_implILS5_5ELb0ES3_mN6hipcub16HIPCUB_304000_NS21CountingInputIteratorIllEEPS6_NSA_22TransformInputIteratorIb7NonZeroIfEPflEENS0_5tupleIJPlS6_EEENSJ_IJSD_SD_EEES6_SK_JS6_EEE10hipError_tPvRmT3_T4_T5_T6_T7_T9_mT8_P12ihipStream_tbDpT10_ENKUlT_T0_E_clISt17integral_constantIbLb0EES16_EEDaS11_S12_EUlS11_E_NS1_11comp_targetILNS1_3genE8ELNS1_11target_archE1030ELNS1_3gpuE2ELNS1_3repE0EEENS1_30default_config_static_selectorELNS0_4arch9wavefront6targetE1EEEvT1_,@function
_ZN7rocprim17ROCPRIM_400000_NS6detail17trampoline_kernelINS0_14default_configENS1_25partition_config_selectorILNS1_17partition_subalgoE5ElNS0_10empty_typeEbEEZZNS1_14partition_implILS5_5ELb0ES3_mN6hipcub16HIPCUB_304000_NS21CountingInputIteratorIllEEPS6_NSA_22TransformInputIteratorIb7NonZeroIfEPflEENS0_5tupleIJPlS6_EEENSJ_IJSD_SD_EEES6_SK_JS6_EEE10hipError_tPvRmT3_T4_T5_T6_T7_T9_mT8_P12ihipStream_tbDpT10_ENKUlT_T0_E_clISt17integral_constantIbLb0EES16_EEDaS11_S12_EUlS11_E_NS1_11comp_targetILNS1_3genE8ELNS1_11target_archE1030ELNS1_3gpuE2ELNS1_3repE0EEENS1_30default_config_static_selectorELNS0_4arch9wavefront6targetE1EEEvT1_: ; @_ZN7rocprim17ROCPRIM_400000_NS6detail17trampoline_kernelINS0_14default_configENS1_25partition_config_selectorILNS1_17partition_subalgoE5ElNS0_10empty_typeEbEEZZNS1_14partition_implILS5_5ELb0ES3_mN6hipcub16HIPCUB_304000_NS21CountingInputIteratorIllEEPS6_NSA_22TransformInputIteratorIb7NonZeroIfEPflEENS0_5tupleIJPlS6_EEENSJ_IJSD_SD_EEES6_SK_JS6_EEE10hipError_tPvRmT3_T4_T5_T6_T7_T9_mT8_P12ihipStream_tbDpT10_ENKUlT_T0_E_clISt17integral_constantIbLb0EES16_EEDaS11_S12_EUlS11_E_NS1_11comp_targetILNS1_3genE8ELNS1_11target_archE1030ELNS1_3gpuE2ELNS1_3repE0EEENS1_30default_config_static_selectorELNS0_4arch9wavefront6targetE1EEEvT1_
; %bb.0:
	.section	.rodata,"a",@progbits
	.p2align	6, 0x0
	.amdhsa_kernel _ZN7rocprim17ROCPRIM_400000_NS6detail17trampoline_kernelINS0_14default_configENS1_25partition_config_selectorILNS1_17partition_subalgoE5ElNS0_10empty_typeEbEEZZNS1_14partition_implILS5_5ELb0ES3_mN6hipcub16HIPCUB_304000_NS21CountingInputIteratorIllEEPS6_NSA_22TransformInputIteratorIb7NonZeroIfEPflEENS0_5tupleIJPlS6_EEENSJ_IJSD_SD_EEES6_SK_JS6_EEE10hipError_tPvRmT3_T4_T5_T6_T7_T9_mT8_P12ihipStream_tbDpT10_ENKUlT_T0_E_clISt17integral_constantIbLb0EES16_EEDaS11_S12_EUlS11_E_NS1_11comp_targetILNS1_3genE8ELNS1_11target_archE1030ELNS1_3gpuE2ELNS1_3repE0EEENS1_30default_config_static_selectorELNS0_4arch9wavefront6targetE1EEEvT1_
		.amdhsa_group_segment_fixed_size 0
		.amdhsa_private_segment_fixed_size 0
		.amdhsa_kernarg_size 120
		.amdhsa_user_sgpr_count 6
		.amdhsa_user_sgpr_private_segment_buffer 1
		.amdhsa_user_sgpr_dispatch_ptr 0
		.amdhsa_user_sgpr_queue_ptr 0
		.amdhsa_user_sgpr_kernarg_segment_ptr 1
		.amdhsa_user_sgpr_dispatch_id 0
		.amdhsa_user_sgpr_flat_scratch_init 0
		.amdhsa_user_sgpr_private_segment_size 0
		.amdhsa_uses_dynamic_stack 0
		.amdhsa_system_sgpr_private_segment_wavefront_offset 0
		.amdhsa_system_sgpr_workgroup_id_x 1
		.amdhsa_system_sgpr_workgroup_id_y 0
		.amdhsa_system_sgpr_workgroup_id_z 0
		.amdhsa_system_sgpr_workgroup_info 0
		.amdhsa_system_vgpr_workitem_id 0
		.amdhsa_next_free_vgpr 1
		.amdhsa_next_free_sgpr 0
		.amdhsa_reserve_vcc 0
		.amdhsa_reserve_flat_scratch 0
		.amdhsa_float_round_mode_32 0
		.amdhsa_float_round_mode_16_64 0
		.amdhsa_float_denorm_mode_32 3
		.amdhsa_float_denorm_mode_16_64 3
		.amdhsa_dx10_clamp 1
		.amdhsa_ieee_mode 1
		.amdhsa_fp16_overflow 0
		.amdhsa_exception_fp_ieee_invalid_op 0
		.amdhsa_exception_fp_denorm_src 0
		.amdhsa_exception_fp_ieee_div_zero 0
		.amdhsa_exception_fp_ieee_overflow 0
		.amdhsa_exception_fp_ieee_underflow 0
		.amdhsa_exception_fp_ieee_inexact 0
		.amdhsa_exception_int_div_zero 0
	.end_amdhsa_kernel
	.section	.text._ZN7rocprim17ROCPRIM_400000_NS6detail17trampoline_kernelINS0_14default_configENS1_25partition_config_selectorILNS1_17partition_subalgoE5ElNS0_10empty_typeEbEEZZNS1_14partition_implILS5_5ELb0ES3_mN6hipcub16HIPCUB_304000_NS21CountingInputIteratorIllEEPS6_NSA_22TransformInputIteratorIb7NonZeroIfEPflEENS0_5tupleIJPlS6_EEENSJ_IJSD_SD_EEES6_SK_JS6_EEE10hipError_tPvRmT3_T4_T5_T6_T7_T9_mT8_P12ihipStream_tbDpT10_ENKUlT_T0_E_clISt17integral_constantIbLb0EES16_EEDaS11_S12_EUlS11_E_NS1_11comp_targetILNS1_3genE8ELNS1_11target_archE1030ELNS1_3gpuE2ELNS1_3repE0EEENS1_30default_config_static_selectorELNS0_4arch9wavefront6targetE1EEEvT1_,"axG",@progbits,_ZN7rocprim17ROCPRIM_400000_NS6detail17trampoline_kernelINS0_14default_configENS1_25partition_config_selectorILNS1_17partition_subalgoE5ElNS0_10empty_typeEbEEZZNS1_14partition_implILS5_5ELb0ES3_mN6hipcub16HIPCUB_304000_NS21CountingInputIteratorIllEEPS6_NSA_22TransformInputIteratorIb7NonZeroIfEPflEENS0_5tupleIJPlS6_EEENSJ_IJSD_SD_EEES6_SK_JS6_EEE10hipError_tPvRmT3_T4_T5_T6_T7_T9_mT8_P12ihipStream_tbDpT10_ENKUlT_T0_E_clISt17integral_constantIbLb0EES16_EEDaS11_S12_EUlS11_E_NS1_11comp_targetILNS1_3genE8ELNS1_11target_archE1030ELNS1_3gpuE2ELNS1_3repE0EEENS1_30default_config_static_selectorELNS0_4arch9wavefront6targetE1EEEvT1_,comdat
.Lfunc_end260:
	.size	_ZN7rocprim17ROCPRIM_400000_NS6detail17trampoline_kernelINS0_14default_configENS1_25partition_config_selectorILNS1_17partition_subalgoE5ElNS0_10empty_typeEbEEZZNS1_14partition_implILS5_5ELb0ES3_mN6hipcub16HIPCUB_304000_NS21CountingInputIteratorIllEEPS6_NSA_22TransformInputIteratorIb7NonZeroIfEPflEENS0_5tupleIJPlS6_EEENSJ_IJSD_SD_EEES6_SK_JS6_EEE10hipError_tPvRmT3_T4_T5_T6_T7_T9_mT8_P12ihipStream_tbDpT10_ENKUlT_T0_E_clISt17integral_constantIbLb0EES16_EEDaS11_S12_EUlS11_E_NS1_11comp_targetILNS1_3genE8ELNS1_11target_archE1030ELNS1_3gpuE2ELNS1_3repE0EEENS1_30default_config_static_selectorELNS0_4arch9wavefront6targetE1EEEvT1_, .Lfunc_end260-_ZN7rocprim17ROCPRIM_400000_NS6detail17trampoline_kernelINS0_14default_configENS1_25partition_config_selectorILNS1_17partition_subalgoE5ElNS0_10empty_typeEbEEZZNS1_14partition_implILS5_5ELb0ES3_mN6hipcub16HIPCUB_304000_NS21CountingInputIteratorIllEEPS6_NSA_22TransformInputIteratorIb7NonZeroIfEPflEENS0_5tupleIJPlS6_EEENSJ_IJSD_SD_EEES6_SK_JS6_EEE10hipError_tPvRmT3_T4_T5_T6_T7_T9_mT8_P12ihipStream_tbDpT10_ENKUlT_T0_E_clISt17integral_constantIbLb0EES16_EEDaS11_S12_EUlS11_E_NS1_11comp_targetILNS1_3genE8ELNS1_11target_archE1030ELNS1_3gpuE2ELNS1_3repE0EEENS1_30default_config_static_selectorELNS0_4arch9wavefront6targetE1EEEvT1_
                                        ; -- End function
	.set _ZN7rocprim17ROCPRIM_400000_NS6detail17trampoline_kernelINS0_14default_configENS1_25partition_config_selectorILNS1_17partition_subalgoE5ElNS0_10empty_typeEbEEZZNS1_14partition_implILS5_5ELb0ES3_mN6hipcub16HIPCUB_304000_NS21CountingInputIteratorIllEEPS6_NSA_22TransformInputIteratorIb7NonZeroIfEPflEENS0_5tupleIJPlS6_EEENSJ_IJSD_SD_EEES6_SK_JS6_EEE10hipError_tPvRmT3_T4_T5_T6_T7_T9_mT8_P12ihipStream_tbDpT10_ENKUlT_T0_E_clISt17integral_constantIbLb0EES16_EEDaS11_S12_EUlS11_E_NS1_11comp_targetILNS1_3genE8ELNS1_11target_archE1030ELNS1_3gpuE2ELNS1_3repE0EEENS1_30default_config_static_selectorELNS0_4arch9wavefront6targetE1EEEvT1_.num_vgpr, 0
	.set _ZN7rocprim17ROCPRIM_400000_NS6detail17trampoline_kernelINS0_14default_configENS1_25partition_config_selectorILNS1_17partition_subalgoE5ElNS0_10empty_typeEbEEZZNS1_14partition_implILS5_5ELb0ES3_mN6hipcub16HIPCUB_304000_NS21CountingInputIteratorIllEEPS6_NSA_22TransformInputIteratorIb7NonZeroIfEPflEENS0_5tupleIJPlS6_EEENSJ_IJSD_SD_EEES6_SK_JS6_EEE10hipError_tPvRmT3_T4_T5_T6_T7_T9_mT8_P12ihipStream_tbDpT10_ENKUlT_T0_E_clISt17integral_constantIbLb0EES16_EEDaS11_S12_EUlS11_E_NS1_11comp_targetILNS1_3genE8ELNS1_11target_archE1030ELNS1_3gpuE2ELNS1_3repE0EEENS1_30default_config_static_selectorELNS0_4arch9wavefront6targetE1EEEvT1_.num_agpr, 0
	.set _ZN7rocprim17ROCPRIM_400000_NS6detail17trampoline_kernelINS0_14default_configENS1_25partition_config_selectorILNS1_17partition_subalgoE5ElNS0_10empty_typeEbEEZZNS1_14partition_implILS5_5ELb0ES3_mN6hipcub16HIPCUB_304000_NS21CountingInputIteratorIllEEPS6_NSA_22TransformInputIteratorIb7NonZeroIfEPflEENS0_5tupleIJPlS6_EEENSJ_IJSD_SD_EEES6_SK_JS6_EEE10hipError_tPvRmT3_T4_T5_T6_T7_T9_mT8_P12ihipStream_tbDpT10_ENKUlT_T0_E_clISt17integral_constantIbLb0EES16_EEDaS11_S12_EUlS11_E_NS1_11comp_targetILNS1_3genE8ELNS1_11target_archE1030ELNS1_3gpuE2ELNS1_3repE0EEENS1_30default_config_static_selectorELNS0_4arch9wavefront6targetE1EEEvT1_.numbered_sgpr, 0
	.set _ZN7rocprim17ROCPRIM_400000_NS6detail17trampoline_kernelINS0_14default_configENS1_25partition_config_selectorILNS1_17partition_subalgoE5ElNS0_10empty_typeEbEEZZNS1_14partition_implILS5_5ELb0ES3_mN6hipcub16HIPCUB_304000_NS21CountingInputIteratorIllEEPS6_NSA_22TransformInputIteratorIb7NonZeroIfEPflEENS0_5tupleIJPlS6_EEENSJ_IJSD_SD_EEES6_SK_JS6_EEE10hipError_tPvRmT3_T4_T5_T6_T7_T9_mT8_P12ihipStream_tbDpT10_ENKUlT_T0_E_clISt17integral_constantIbLb0EES16_EEDaS11_S12_EUlS11_E_NS1_11comp_targetILNS1_3genE8ELNS1_11target_archE1030ELNS1_3gpuE2ELNS1_3repE0EEENS1_30default_config_static_selectorELNS0_4arch9wavefront6targetE1EEEvT1_.num_named_barrier, 0
	.set _ZN7rocprim17ROCPRIM_400000_NS6detail17trampoline_kernelINS0_14default_configENS1_25partition_config_selectorILNS1_17partition_subalgoE5ElNS0_10empty_typeEbEEZZNS1_14partition_implILS5_5ELb0ES3_mN6hipcub16HIPCUB_304000_NS21CountingInputIteratorIllEEPS6_NSA_22TransformInputIteratorIb7NonZeroIfEPflEENS0_5tupleIJPlS6_EEENSJ_IJSD_SD_EEES6_SK_JS6_EEE10hipError_tPvRmT3_T4_T5_T6_T7_T9_mT8_P12ihipStream_tbDpT10_ENKUlT_T0_E_clISt17integral_constantIbLb0EES16_EEDaS11_S12_EUlS11_E_NS1_11comp_targetILNS1_3genE8ELNS1_11target_archE1030ELNS1_3gpuE2ELNS1_3repE0EEENS1_30default_config_static_selectorELNS0_4arch9wavefront6targetE1EEEvT1_.private_seg_size, 0
	.set _ZN7rocprim17ROCPRIM_400000_NS6detail17trampoline_kernelINS0_14default_configENS1_25partition_config_selectorILNS1_17partition_subalgoE5ElNS0_10empty_typeEbEEZZNS1_14partition_implILS5_5ELb0ES3_mN6hipcub16HIPCUB_304000_NS21CountingInputIteratorIllEEPS6_NSA_22TransformInputIteratorIb7NonZeroIfEPflEENS0_5tupleIJPlS6_EEENSJ_IJSD_SD_EEES6_SK_JS6_EEE10hipError_tPvRmT3_T4_T5_T6_T7_T9_mT8_P12ihipStream_tbDpT10_ENKUlT_T0_E_clISt17integral_constantIbLb0EES16_EEDaS11_S12_EUlS11_E_NS1_11comp_targetILNS1_3genE8ELNS1_11target_archE1030ELNS1_3gpuE2ELNS1_3repE0EEENS1_30default_config_static_selectorELNS0_4arch9wavefront6targetE1EEEvT1_.uses_vcc, 0
	.set _ZN7rocprim17ROCPRIM_400000_NS6detail17trampoline_kernelINS0_14default_configENS1_25partition_config_selectorILNS1_17partition_subalgoE5ElNS0_10empty_typeEbEEZZNS1_14partition_implILS5_5ELb0ES3_mN6hipcub16HIPCUB_304000_NS21CountingInputIteratorIllEEPS6_NSA_22TransformInputIteratorIb7NonZeroIfEPflEENS0_5tupleIJPlS6_EEENSJ_IJSD_SD_EEES6_SK_JS6_EEE10hipError_tPvRmT3_T4_T5_T6_T7_T9_mT8_P12ihipStream_tbDpT10_ENKUlT_T0_E_clISt17integral_constantIbLb0EES16_EEDaS11_S12_EUlS11_E_NS1_11comp_targetILNS1_3genE8ELNS1_11target_archE1030ELNS1_3gpuE2ELNS1_3repE0EEENS1_30default_config_static_selectorELNS0_4arch9wavefront6targetE1EEEvT1_.uses_flat_scratch, 0
	.set _ZN7rocprim17ROCPRIM_400000_NS6detail17trampoline_kernelINS0_14default_configENS1_25partition_config_selectorILNS1_17partition_subalgoE5ElNS0_10empty_typeEbEEZZNS1_14partition_implILS5_5ELb0ES3_mN6hipcub16HIPCUB_304000_NS21CountingInputIteratorIllEEPS6_NSA_22TransformInputIteratorIb7NonZeroIfEPflEENS0_5tupleIJPlS6_EEENSJ_IJSD_SD_EEES6_SK_JS6_EEE10hipError_tPvRmT3_T4_T5_T6_T7_T9_mT8_P12ihipStream_tbDpT10_ENKUlT_T0_E_clISt17integral_constantIbLb0EES16_EEDaS11_S12_EUlS11_E_NS1_11comp_targetILNS1_3genE8ELNS1_11target_archE1030ELNS1_3gpuE2ELNS1_3repE0EEENS1_30default_config_static_selectorELNS0_4arch9wavefront6targetE1EEEvT1_.has_dyn_sized_stack, 0
	.set _ZN7rocprim17ROCPRIM_400000_NS6detail17trampoline_kernelINS0_14default_configENS1_25partition_config_selectorILNS1_17partition_subalgoE5ElNS0_10empty_typeEbEEZZNS1_14partition_implILS5_5ELb0ES3_mN6hipcub16HIPCUB_304000_NS21CountingInputIteratorIllEEPS6_NSA_22TransformInputIteratorIb7NonZeroIfEPflEENS0_5tupleIJPlS6_EEENSJ_IJSD_SD_EEES6_SK_JS6_EEE10hipError_tPvRmT3_T4_T5_T6_T7_T9_mT8_P12ihipStream_tbDpT10_ENKUlT_T0_E_clISt17integral_constantIbLb0EES16_EEDaS11_S12_EUlS11_E_NS1_11comp_targetILNS1_3genE8ELNS1_11target_archE1030ELNS1_3gpuE2ELNS1_3repE0EEENS1_30default_config_static_selectorELNS0_4arch9wavefront6targetE1EEEvT1_.has_recursion, 0
	.set _ZN7rocprim17ROCPRIM_400000_NS6detail17trampoline_kernelINS0_14default_configENS1_25partition_config_selectorILNS1_17partition_subalgoE5ElNS0_10empty_typeEbEEZZNS1_14partition_implILS5_5ELb0ES3_mN6hipcub16HIPCUB_304000_NS21CountingInputIteratorIllEEPS6_NSA_22TransformInputIteratorIb7NonZeroIfEPflEENS0_5tupleIJPlS6_EEENSJ_IJSD_SD_EEES6_SK_JS6_EEE10hipError_tPvRmT3_T4_T5_T6_T7_T9_mT8_P12ihipStream_tbDpT10_ENKUlT_T0_E_clISt17integral_constantIbLb0EES16_EEDaS11_S12_EUlS11_E_NS1_11comp_targetILNS1_3genE8ELNS1_11target_archE1030ELNS1_3gpuE2ELNS1_3repE0EEENS1_30default_config_static_selectorELNS0_4arch9wavefront6targetE1EEEvT1_.has_indirect_call, 0
	.section	.AMDGPU.csdata,"",@progbits
; Kernel info:
; codeLenInByte = 0
; TotalNumSgprs: 4
; NumVgprs: 0
; ScratchSize: 0
; MemoryBound: 0
; FloatMode: 240
; IeeeMode: 1
; LDSByteSize: 0 bytes/workgroup (compile time only)
; SGPRBlocks: 0
; VGPRBlocks: 0
; NumSGPRsForWavesPerEU: 4
; NumVGPRsForWavesPerEU: 1
; Occupancy: 10
; WaveLimiterHint : 0
; COMPUTE_PGM_RSRC2:SCRATCH_EN: 0
; COMPUTE_PGM_RSRC2:USER_SGPR: 6
; COMPUTE_PGM_RSRC2:TRAP_HANDLER: 0
; COMPUTE_PGM_RSRC2:TGID_X_EN: 1
; COMPUTE_PGM_RSRC2:TGID_Y_EN: 0
; COMPUTE_PGM_RSRC2:TGID_Z_EN: 0
; COMPUTE_PGM_RSRC2:TIDIG_COMP_CNT: 0
	.section	.text._ZN7rocprim17ROCPRIM_400000_NS6detail17trampoline_kernelINS0_14default_configENS1_25partition_config_selectorILNS1_17partition_subalgoE5ElNS0_10empty_typeEbEEZZNS1_14partition_implILS5_5ELb0ES3_mN6hipcub16HIPCUB_304000_NS21CountingInputIteratorIllEEPS6_NSA_22TransformInputIteratorIb7NonZeroIfEPflEENS0_5tupleIJPlS6_EEENSJ_IJSD_SD_EEES6_SK_JS6_EEE10hipError_tPvRmT3_T4_T5_T6_T7_T9_mT8_P12ihipStream_tbDpT10_ENKUlT_T0_E_clISt17integral_constantIbLb1EES16_EEDaS11_S12_EUlS11_E_NS1_11comp_targetILNS1_3genE0ELNS1_11target_archE4294967295ELNS1_3gpuE0ELNS1_3repE0EEENS1_30default_config_static_selectorELNS0_4arch9wavefront6targetE1EEEvT1_,"axG",@progbits,_ZN7rocprim17ROCPRIM_400000_NS6detail17trampoline_kernelINS0_14default_configENS1_25partition_config_selectorILNS1_17partition_subalgoE5ElNS0_10empty_typeEbEEZZNS1_14partition_implILS5_5ELb0ES3_mN6hipcub16HIPCUB_304000_NS21CountingInputIteratorIllEEPS6_NSA_22TransformInputIteratorIb7NonZeroIfEPflEENS0_5tupleIJPlS6_EEENSJ_IJSD_SD_EEES6_SK_JS6_EEE10hipError_tPvRmT3_T4_T5_T6_T7_T9_mT8_P12ihipStream_tbDpT10_ENKUlT_T0_E_clISt17integral_constantIbLb1EES16_EEDaS11_S12_EUlS11_E_NS1_11comp_targetILNS1_3genE0ELNS1_11target_archE4294967295ELNS1_3gpuE0ELNS1_3repE0EEENS1_30default_config_static_selectorELNS0_4arch9wavefront6targetE1EEEvT1_,comdat
	.protected	_ZN7rocprim17ROCPRIM_400000_NS6detail17trampoline_kernelINS0_14default_configENS1_25partition_config_selectorILNS1_17partition_subalgoE5ElNS0_10empty_typeEbEEZZNS1_14partition_implILS5_5ELb0ES3_mN6hipcub16HIPCUB_304000_NS21CountingInputIteratorIllEEPS6_NSA_22TransformInputIteratorIb7NonZeroIfEPflEENS0_5tupleIJPlS6_EEENSJ_IJSD_SD_EEES6_SK_JS6_EEE10hipError_tPvRmT3_T4_T5_T6_T7_T9_mT8_P12ihipStream_tbDpT10_ENKUlT_T0_E_clISt17integral_constantIbLb1EES16_EEDaS11_S12_EUlS11_E_NS1_11comp_targetILNS1_3genE0ELNS1_11target_archE4294967295ELNS1_3gpuE0ELNS1_3repE0EEENS1_30default_config_static_selectorELNS0_4arch9wavefront6targetE1EEEvT1_ ; -- Begin function _ZN7rocprim17ROCPRIM_400000_NS6detail17trampoline_kernelINS0_14default_configENS1_25partition_config_selectorILNS1_17partition_subalgoE5ElNS0_10empty_typeEbEEZZNS1_14partition_implILS5_5ELb0ES3_mN6hipcub16HIPCUB_304000_NS21CountingInputIteratorIllEEPS6_NSA_22TransformInputIteratorIb7NonZeroIfEPflEENS0_5tupleIJPlS6_EEENSJ_IJSD_SD_EEES6_SK_JS6_EEE10hipError_tPvRmT3_T4_T5_T6_T7_T9_mT8_P12ihipStream_tbDpT10_ENKUlT_T0_E_clISt17integral_constantIbLb1EES16_EEDaS11_S12_EUlS11_E_NS1_11comp_targetILNS1_3genE0ELNS1_11target_archE4294967295ELNS1_3gpuE0ELNS1_3repE0EEENS1_30default_config_static_selectorELNS0_4arch9wavefront6targetE1EEEvT1_
	.globl	_ZN7rocprim17ROCPRIM_400000_NS6detail17trampoline_kernelINS0_14default_configENS1_25partition_config_selectorILNS1_17partition_subalgoE5ElNS0_10empty_typeEbEEZZNS1_14partition_implILS5_5ELb0ES3_mN6hipcub16HIPCUB_304000_NS21CountingInputIteratorIllEEPS6_NSA_22TransformInputIteratorIb7NonZeroIfEPflEENS0_5tupleIJPlS6_EEENSJ_IJSD_SD_EEES6_SK_JS6_EEE10hipError_tPvRmT3_T4_T5_T6_T7_T9_mT8_P12ihipStream_tbDpT10_ENKUlT_T0_E_clISt17integral_constantIbLb1EES16_EEDaS11_S12_EUlS11_E_NS1_11comp_targetILNS1_3genE0ELNS1_11target_archE4294967295ELNS1_3gpuE0ELNS1_3repE0EEENS1_30default_config_static_selectorELNS0_4arch9wavefront6targetE1EEEvT1_
	.p2align	8
	.type	_ZN7rocprim17ROCPRIM_400000_NS6detail17trampoline_kernelINS0_14default_configENS1_25partition_config_selectorILNS1_17partition_subalgoE5ElNS0_10empty_typeEbEEZZNS1_14partition_implILS5_5ELb0ES3_mN6hipcub16HIPCUB_304000_NS21CountingInputIteratorIllEEPS6_NSA_22TransformInputIteratorIb7NonZeroIfEPflEENS0_5tupleIJPlS6_EEENSJ_IJSD_SD_EEES6_SK_JS6_EEE10hipError_tPvRmT3_T4_T5_T6_T7_T9_mT8_P12ihipStream_tbDpT10_ENKUlT_T0_E_clISt17integral_constantIbLb1EES16_EEDaS11_S12_EUlS11_E_NS1_11comp_targetILNS1_3genE0ELNS1_11target_archE4294967295ELNS1_3gpuE0ELNS1_3repE0EEENS1_30default_config_static_selectorELNS0_4arch9wavefront6targetE1EEEvT1_,@function
_ZN7rocprim17ROCPRIM_400000_NS6detail17trampoline_kernelINS0_14default_configENS1_25partition_config_selectorILNS1_17partition_subalgoE5ElNS0_10empty_typeEbEEZZNS1_14partition_implILS5_5ELb0ES3_mN6hipcub16HIPCUB_304000_NS21CountingInputIteratorIllEEPS6_NSA_22TransformInputIteratorIb7NonZeroIfEPflEENS0_5tupleIJPlS6_EEENSJ_IJSD_SD_EEES6_SK_JS6_EEE10hipError_tPvRmT3_T4_T5_T6_T7_T9_mT8_P12ihipStream_tbDpT10_ENKUlT_T0_E_clISt17integral_constantIbLb1EES16_EEDaS11_S12_EUlS11_E_NS1_11comp_targetILNS1_3genE0ELNS1_11target_archE4294967295ELNS1_3gpuE0ELNS1_3repE0EEENS1_30default_config_static_selectorELNS0_4arch9wavefront6targetE1EEEvT1_: ; @_ZN7rocprim17ROCPRIM_400000_NS6detail17trampoline_kernelINS0_14default_configENS1_25partition_config_selectorILNS1_17partition_subalgoE5ElNS0_10empty_typeEbEEZZNS1_14partition_implILS5_5ELb0ES3_mN6hipcub16HIPCUB_304000_NS21CountingInputIteratorIllEEPS6_NSA_22TransformInputIteratorIb7NonZeroIfEPflEENS0_5tupleIJPlS6_EEENSJ_IJSD_SD_EEES6_SK_JS6_EEE10hipError_tPvRmT3_T4_T5_T6_T7_T9_mT8_P12ihipStream_tbDpT10_ENKUlT_T0_E_clISt17integral_constantIbLb1EES16_EEDaS11_S12_EUlS11_E_NS1_11comp_targetILNS1_3genE0ELNS1_11target_archE4294967295ELNS1_3gpuE0ELNS1_3repE0EEENS1_30default_config_static_selectorELNS0_4arch9wavefront6targetE1EEEvT1_
; %bb.0:
	.section	.rodata,"a",@progbits
	.p2align	6, 0x0
	.amdhsa_kernel _ZN7rocprim17ROCPRIM_400000_NS6detail17trampoline_kernelINS0_14default_configENS1_25partition_config_selectorILNS1_17partition_subalgoE5ElNS0_10empty_typeEbEEZZNS1_14partition_implILS5_5ELb0ES3_mN6hipcub16HIPCUB_304000_NS21CountingInputIteratorIllEEPS6_NSA_22TransformInputIteratorIb7NonZeroIfEPflEENS0_5tupleIJPlS6_EEENSJ_IJSD_SD_EEES6_SK_JS6_EEE10hipError_tPvRmT3_T4_T5_T6_T7_T9_mT8_P12ihipStream_tbDpT10_ENKUlT_T0_E_clISt17integral_constantIbLb1EES16_EEDaS11_S12_EUlS11_E_NS1_11comp_targetILNS1_3genE0ELNS1_11target_archE4294967295ELNS1_3gpuE0ELNS1_3repE0EEENS1_30default_config_static_selectorELNS0_4arch9wavefront6targetE1EEEvT1_
		.amdhsa_group_segment_fixed_size 0
		.amdhsa_private_segment_fixed_size 0
		.amdhsa_kernarg_size 136
		.amdhsa_user_sgpr_count 6
		.amdhsa_user_sgpr_private_segment_buffer 1
		.amdhsa_user_sgpr_dispatch_ptr 0
		.amdhsa_user_sgpr_queue_ptr 0
		.amdhsa_user_sgpr_kernarg_segment_ptr 1
		.amdhsa_user_sgpr_dispatch_id 0
		.amdhsa_user_sgpr_flat_scratch_init 0
		.amdhsa_user_sgpr_private_segment_size 0
		.amdhsa_uses_dynamic_stack 0
		.amdhsa_system_sgpr_private_segment_wavefront_offset 0
		.amdhsa_system_sgpr_workgroup_id_x 1
		.amdhsa_system_sgpr_workgroup_id_y 0
		.amdhsa_system_sgpr_workgroup_id_z 0
		.amdhsa_system_sgpr_workgroup_info 0
		.amdhsa_system_vgpr_workitem_id 0
		.amdhsa_next_free_vgpr 1
		.amdhsa_next_free_sgpr 0
		.amdhsa_reserve_vcc 0
		.amdhsa_reserve_flat_scratch 0
		.amdhsa_float_round_mode_32 0
		.amdhsa_float_round_mode_16_64 0
		.amdhsa_float_denorm_mode_32 3
		.amdhsa_float_denorm_mode_16_64 3
		.amdhsa_dx10_clamp 1
		.amdhsa_ieee_mode 1
		.amdhsa_fp16_overflow 0
		.amdhsa_exception_fp_ieee_invalid_op 0
		.amdhsa_exception_fp_denorm_src 0
		.amdhsa_exception_fp_ieee_div_zero 0
		.amdhsa_exception_fp_ieee_overflow 0
		.amdhsa_exception_fp_ieee_underflow 0
		.amdhsa_exception_fp_ieee_inexact 0
		.amdhsa_exception_int_div_zero 0
	.end_amdhsa_kernel
	.section	.text._ZN7rocprim17ROCPRIM_400000_NS6detail17trampoline_kernelINS0_14default_configENS1_25partition_config_selectorILNS1_17partition_subalgoE5ElNS0_10empty_typeEbEEZZNS1_14partition_implILS5_5ELb0ES3_mN6hipcub16HIPCUB_304000_NS21CountingInputIteratorIllEEPS6_NSA_22TransformInputIteratorIb7NonZeroIfEPflEENS0_5tupleIJPlS6_EEENSJ_IJSD_SD_EEES6_SK_JS6_EEE10hipError_tPvRmT3_T4_T5_T6_T7_T9_mT8_P12ihipStream_tbDpT10_ENKUlT_T0_E_clISt17integral_constantIbLb1EES16_EEDaS11_S12_EUlS11_E_NS1_11comp_targetILNS1_3genE0ELNS1_11target_archE4294967295ELNS1_3gpuE0ELNS1_3repE0EEENS1_30default_config_static_selectorELNS0_4arch9wavefront6targetE1EEEvT1_,"axG",@progbits,_ZN7rocprim17ROCPRIM_400000_NS6detail17trampoline_kernelINS0_14default_configENS1_25partition_config_selectorILNS1_17partition_subalgoE5ElNS0_10empty_typeEbEEZZNS1_14partition_implILS5_5ELb0ES3_mN6hipcub16HIPCUB_304000_NS21CountingInputIteratorIllEEPS6_NSA_22TransformInputIteratorIb7NonZeroIfEPflEENS0_5tupleIJPlS6_EEENSJ_IJSD_SD_EEES6_SK_JS6_EEE10hipError_tPvRmT3_T4_T5_T6_T7_T9_mT8_P12ihipStream_tbDpT10_ENKUlT_T0_E_clISt17integral_constantIbLb1EES16_EEDaS11_S12_EUlS11_E_NS1_11comp_targetILNS1_3genE0ELNS1_11target_archE4294967295ELNS1_3gpuE0ELNS1_3repE0EEENS1_30default_config_static_selectorELNS0_4arch9wavefront6targetE1EEEvT1_,comdat
.Lfunc_end261:
	.size	_ZN7rocprim17ROCPRIM_400000_NS6detail17trampoline_kernelINS0_14default_configENS1_25partition_config_selectorILNS1_17partition_subalgoE5ElNS0_10empty_typeEbEEZZNS1_14partition_implILS5_5ELb0ES3_mN6hipcub16HIPCUB_304000_NS21CountingInputIteratorIllEEPS6_NSA_22TransformInputIteratorIb7NonZeroIfEPflEENS0_5tupleIJPlS6_EEENSJ_IJSD_SD_EEES6_SK_JS6_EEE10hipError_tPvRmT3_T4_T5_T6_T7_T9_mT8_P12ihipStream_tbDpT10_ENKUlT_T0_E_clISt17integral_constantIbLb1EES16_EEDaS11_S12_EUlS11_E_NS1_11comp_targetILNS1_3genE0ELNS1_11target_archE4294967295ELNS1_3gpuE0ELNS1_3repE0EEENS1_30default_config_static_selectorELNS0_4arch9wavefront6targetE1EEEvT1_, .Lfunc_end261-_ZN7rocprim17ROCPRIM_400000_NS6detail17trampoline_kernelINS0_14default_configENS1_25partition_config_selectorILNS1_17partition_subalgoE5ElNS0_10empty_typeEbEEZZNS1_14partition_implILS5_5ELb0ES3_mN6hipcub16HIPCUB_304000_NS21CountingInputIteratorIllEEPS6_NSA_22TransformInputIteratorIb7NonZeroIfEPflEENS0_5tupleIJPlS6_EEENSJ_IJSD_SD_EEES6_SK_JS6_EEE10hipError_tPvRmT3_T4_T5_T6_T7_T9_mT8_P12ihipStream_tbDpT10_ENKUlT_T0_E_clISt17integral_constantIbLb1EES16_EEDaS11_S12_EUlS11_E_NS1_11comp_targetILNS1_3genE0ELNS1_11target_archE4294967295ELNS1_3gpuE0ELNS1_3repE0EEENS1_30default_config_static_selectorELNS0_4arch9wavefront6targetE1EEEvT1_
                                        ; -- End function
	.set _ZN7rocprim17ROCPRIM_400000_NS6detail17trampoline_kernelINS0_14default_configENS1_25partition_config_selectorILNS1_17partition_subalgoE5ElNS0_10empty_typeEbEEZZNS1_14partition_implILS5_5ELb0ES3_mN6hipcub16HIPCUB_304000_NS21CountingInputIteratorIllEEPS6_NSA_22TransformInputIteratorIb7NonZeroIfEPflEENS0_5tupleIJPlS6_EEENSJ_IJSD_SD_EEES6_SK_JS6_EEE10hipError_tPvRmT3_T4_T5_T6_T7_T9_mT8_P12ihipStream_tbDpT10_ENKUlT_T0_E_clISt17integral_constantIbLb1EES16_EEDaS11_S12_EUlS11_E_NS1_11comp_targetILNS1_3genE0ELNS1_11target_archE4294967295ELNS1_3gpuE0ELNS1_3repE0EEENS1_30default_config_static_selectorELNS0_4arch9wavefront6targetE1EEEvT1_.num_vgpr, 0
	.set _ZN7rocprim17ROCPRIM_400000_NS6detail17trampoline_kernelINS0_14default_configENS1_25partition_config_selectorILNS1_17partition_subalgoE5ElNS0_10empty_typeEbEEZZNS1_14partition_implILS5_5ELb0ES3_mN6hipcub16HIPCUB_304000_NS21CountingInputIteratorIllEEPS6_NSA_22TransformInputIteratorIb7NonZeroIfEPflEENS0_5tupleIJPlS6_EEENSJ_IJSD_SD_EEES6_SK_JS6_EEE10hipError_tPvRmT3_T4_T5_T6_T7_T9_mT8_P12ihipStream_tbDpT10_ENKUlT_T0_E_clISt17integral_constantIbLb1EES16_EEDaS11_S12_EUlS11_E_NS1_11comp_targetILNS1_3genE0ELNS1_11target_archE4294967295ELNS1_3gpuE0ELNS1_3repE0EEENS1_30default_config_static_selectorELNS0_4arch9wavefront6targetE1EEEvT1_.num_agpr, 0
	.set _ZN7rocprim17ROCPRIM_400000_NS6detail17trampoline_kernelINS0_14default_configENS1_25partition_config_selectorILNS1_17partition_subalgoE5ElNS0_10empty_typeEbEEZZNS1_14partition_implILS5_5ELb0ES3_mN6hipcub16HIPCUB_304000_NS21CountingInputIteratorIllEEPS6_NSA_22TransformInputIteratorIb7NonZeroIfEPflEENS0_5tupleIJPlS6_EEENSJ_IJSD_SD_EEES6_SK_JS6_EEE10hipError_tPvRmT3_T4_T5_T6_T7_T9_mT8_P12ihipStream_tbDpT10_ENKUlT_T0_E_clISt17integral_constantIbLb1EES16_EEDaS11_S12_EUlS11_E_NS1_11comp_targetILNS1_3genE0ELNS1_11target_archE4294967295ELNS1_3gpuE0ELNS1_3repE0EEENS1_30default_config_static_selectorELNS0_4arch9wavefront6targetE1EEEvT1_.numbered_sgpr, 0
	.set _ZN7rocprim17ROCPRIM_400000_NS6detail17trampoline_kernelINS0_14default_configENS1_25partition_config_selectorILNS1_17partition_subalgoE5ElNS0_10empty_typeEbEEZZNS1_14partition_implILS5_5ELb0ES3_mN6hipcub16HIPCUB_304000_NS21CountingInputIteratorIllEEPS6_NSA_22TransformInputIteratorIb7NonZeroIfEPflEENS0_5tupleIJPlS6_EEENSJ_IJSD_SD_EEES6_SK_JS6_EEE10hipError_tPvRmT3_T4_T5_T6_T7_T9_mT8_P12ihipStream_tbDpT10_ENKUlT_T0_E_clISt17integral_constantIbLb1EES16_EEDaS11_S12_EUlS11_E_NS1_11comp_targetILNS1_3genE0ELNS1_11target_archE4294967295ELNS1_3gpuE0ELNS1_3repE0EEENS1_30default_config_static_selectorELNS0_4arch9wavefront6targetE1EEEvT1_.num_named_barrier, 0
	.set _ZN7rocprim17ROCPRIM_400000_NS6detail17trampoline_kernelINS0_14default_configENS1_25partition_config_selectorILNS1_17partition_subalgoE5ElNS0_10empty_typeEbEEZZNS1_14partition_implILS5_5ELb0ES3_mN6hipcub16HIPCUB_304000_NS21CountingInputIteratorIllEEPS6_NSA_22TransformInputIteratorIb7NonZeroIfEPflEENS0_5tupleIJPlS6_EEENSJ_IJSD_SD_EEES6_SK_JS6_EEE10hipError_tPvRmT3_T4_T5_T6_T7_T9_mT8_P12ihipStream_tbDpT10_ENKUlT_T0_E_clISt17integral_constantIbLb1EES16_EEDaS11_S12_EUlS11_E_NS1_11comp_targetILNS1_3genE0ELNS1_11target_archE4294967295ELNS1_3gpuE0ELNS1_3repE0EEENS1_30default_config_static_selectorELNS0_4arch9wavefront6targetE1EEEvT1_.private_seg_size, 0
	.set _ZN7rocprim17ROCPRIM_400000_NS6detail17trampoline_kernelINS0_14default_configENS1_25partition_config_selectorILNS1_17partition_subalgoE5ElNS0_10empty_typeEbEEZZNS1_14partition_implILS5_5ELb0ES3_mN6hipcub16HIPCUB_304000_NS21CountingInputIteratorIllEEPS6_NSA_22TransformInputIteratorIb7NonZeroIfEPflEENS0_5tupleIJPlS6_EEENSJ_IJSD_SD_EEES6_SK_JS6_EEE10hipError_tPvRmT3_T4_T5_T6_T7_T9_mT8_P12ihipStream_tbDpT10_ENKUlT_T0_E_clISt17integral_constantIbLb1EES16_EEDaS11_S12_EUlS11_E_NS1_11comp_targetILNS1_3genE0ELNS1_11target_archE4294967295ELNS1_3gpuE0ELNS1_3repE0EEENS1_30default_config_static_selectorELNS0_4arch9wavefront6targetE1EEEvT1_.uses_vcc, 0
	.set _ZN7rocprim17ROCPRIM_400000_NS6detail17trampoline_kernelINS0_14default_configENS1_25partition_config_selectorILNS1_17partition_subalgoE5ElNS0_10empty_typeEbEEZZNS1_14partition_implILS5_5ELb0ES3_mN6hipcub16HIPCUB_304000_NS21CountingInputIteratorIllEEPS6_NSA_22TransformInputIteratorIb7NonZeroIfEPflEENS0_5tupleIJPlS6_EEENSJ_IJSD_SD_EEES6_SK_JS6_EEE10hipError_tPvRmT3_T4_T5_T6_T7_T9_mT8_P12ihipStream_tbDpT10_ENKUlT_T0_E_clISt17integral_constantIbLb1EES16_EEDaS11_S12_EUlS11_E_NS1_11comp_targetILNS1_3genE0ELNS1_11target_archE4294967295ELNS1_3gpuE0ELNS1_3repE0EEENS1_30default_config_static_selectorELNS0_4arch9wavefront6targetE1EEEvT1_.uses_flat_scratch, 0
	.set _ZN7rocprim17ROCPRIM_400000_NS6detail17trampoline_kernelINS0_14default_configENS1_25partition_config_selectorILNS1_17partition_subalgoE5ElNS0_10empty_typeEbEEZZNS1_14partition_implILS5_5ELb0ES3_mN6hipcub16HIPCUB_304000_NS21CountingInputIteratorIllEEPS6_NSA_22TransformInputIteratorIb7NonZeroIfEPflEENS0_5tupleIJPlS6_EEENSJ_IJSD_SD_EEES6_SK_JS6_EEE10hipError_tPvRmT3_T4_T5_T6_T7_T9_mT8_P12ihipStream_tbDpT10_ENKUlT_T0_E_clISt17integral_constantIbLb1EES16_EEDaS11_S12_EUlS11_E_NS1_11comp_targetILNS1_3genE0ELNS1_11target_archE4294967295ELNS1_3gpuE0ELNS1_3repE0EEENS1_30default_config_static_selectorELNS0_4arch9wavefront6targetE1EEEvT1_.has_dyn_sized_stack, 0
	.set _ZN7rocprim17ROCPRIM_400000_NS6detail17trampoline_kernelINS0_14default_configENS1_25partition_config_selectorILNS1_17partition_subalgoE5ElNS0_10empty_typeEbEEZZNS1_14partition_implILS5_5ELb0ES3_mN6hipcub16HIPCUB_304000_NS21CountingInputIteratorIllEEPS6_NSA_22TransformInputIteratorIb7NonZeroIfEPflEENS0_5tupleIJPlS6_EEENSJ_IJSD_SD_EEES6_SK_JS6_EEE10hipError_tPvRmT3_T4_T5_T6_T7_T9_mT8_P12ihipStream_tbDpT10_ENKUlT_T0_E_clISt17integral_constantIbLb1EES16_EEDaS11_S12_EUlS11_E_NS1_11comp_targetILNS1_3genE0ELNS1_11target_archE4294967295ELNS1_3gpuE0ELNS1_3repE0EEENS1_30default_config_static_selectorELNS0_4arch9wavefront6targetE1EEEvT1_.has_recursion, 0
	.set _ZN7rocprim17ROCPRIM_400000_NS6detail17trampoline_kernelINS0_14default_configENS1_25partition_config_selectorILNS1_17partition_subalgoE5ElNS0_10empty_typeEbEEZZNS1_14partition_implILS5_5ELb0ES3_mN6hipcub16HIPCUB_304000_NS21CountingInputIteratorIllEEPS6_NSA_22TransformInputIteratorIb7NonZeroIfEPflEENS0_5tupleIJPlS6_EEENSJ_IJSD_SD_EEES6_SK_JS6_EEE10hipError_tPvRmT3_T4_T5_T6_T7_T9_mT8_P12ihipStream_tbDpT10_ENKUlT_T0_E_clISt17integral_constantIbLb1EES16_EEDaS11_S12_EUlS11_E_NS1_11comp_targetILNS1_3genE0ELNS1_11target_archE4294967295ELNS1_3gpuE0ELNS1_3repE0EEENS1_30default_config_static_selectorELNS0_4arch9wavefront6targetE1EEEvT1_.has_indirect_call, 0
	.section	.AMDGPU.csdata,"",@progbits
; Kernel info:
; codeLenInByte = 0
; TotalNumSgprs: 4
; NumVgprs: 0
; ScratchSize: 0
; MemoryBound: 0
; FloatMode: 240
; IeeeMode: 1
; LDSByteSize: 0 bytes/workgroup (compile time only)
; SGPRBlocks: 0
; VGPRBlocks: 0
; NumSGPRsForWavesPerEU: 4
; NumVGPRsForWavesPerEU: 1
; Occupancy: 10
; WaveLimiterHint : 0
; COMPUTE_PGM_RSRC2:SCRATCH_EN: 0
; COMPUTE_PGM_RSRC2:USER_SGPR: 6
; COMPUTE_PGM_RSRC2:TRAP_HANDLER: 0
; COMPUTE_PGM_RSRC2:TGID_X_EN: 1
; COMPUTE_PGM_RSRC2:TGID_Y_EN: 0
; COMPUTE_PGM_RSRC2:TGID_Z_EN: 0
; COMPUTE_PGM_RSRC2:TIDIG_COMP_CNT: 0
	.section	.text._ZN7rocprim17ROCPRIM_400000_NS6detail17trampoline_kernelINS0_14default_configENS1_25partition_config_selectorILNS1_17partition_subalgoE5ElNS0_10empty_typeEbEEZZNS1_14partition_implILS5_5ELb0ES3_mN6hipcub16HIPCUB_304000_NS21CountingInputIteratorIllEEPS6_NSA_22TransformInputIteratorIb7NonZeroIfEPflEENS0_5tupleIJPlS6_EEENSJ_IJSD_SD_EEES6_SK_JS6_EEE10hipError_tPvRmT3_T4_T5_T6_T7_T9_mT8_P12ihipStream_tbDpT10_ENKUlT_T0_E_clISt17integral_constantIbLb1EES16_EEDaS11_S12_EUlS11_E_NS1_11comp_targetILNS1_3genE5ELNS1_11target_archE942ELNS1_3gpuE9ELNS1_3repE0EEENS1_30default_config_static_selectorELNS0_4arch9wavefront6targetE1EEEvT1_,"axG",@progbits,_ZN7rocprim17ROCPRIM_400000_NS6detail17trampoline_kernelINS0_14default_configENS1_25partition_config_selectorILNS1_17partition_subalgoE5ElNS0_10empty_typeEbEEZZNS1_14partition_implILS5_5ELb0ES3_mN6hipcub16HIPCUB_304000_NS21CountingInputIteratorIllEEPS6_NSA_22TransformInputIteratorIb7NonZeroIfEPflEENS0_5tupleIJPlS6_EEENSJ_IJSD_SD_EEES6_SK_JS6_EEE10hipError_tPvRmT3_T4_T5_T6_T7_T9_mT8_P12ihipStream_tbDpT10_ENKUlT_T0_E_clISt17integral_constantIbLb1EES16_EEDaS11_S12_EUlS11_E_NS1_11comp_targetILNS1_3genE5ELNS1_11target_archE942ELNS1_3gpuE9ELNS1_3repE0EEENS1_30default_config_static_selectorELNS0_4arch9wavefront6targetE1EEEvT1_,comdat
	.protected	_ZN7rocprim17ROCPRIM_400000_NS6detail17trampoline_kernelINS0_14default_configENS1_25partition_config_selectorILNS1_17partition_subalgoE5ElNS0_10empty_typeEbEEZZNS1_14partition_implILS5_5ELb0ES3_mN6hipcub16HIPCUB_304000_NS21CountingInputIteratorIllEEPS6_NSA_22TransformInputIteratorIb7NonZeroIfEPflEENS0_5tupleIJPlS6_EEENSJ_IJSD_SD_EEES6_SK_JS6_EEE10hipError_tPvRmT3_T4_T5_T6_T7_T9_mT8_P12ihipStream_tbDpT10_ENKUlT_T0_E_clISt17integral_constantIbLb1EES16_EEDaS11_S12_EUlS11_E_NS1_11comp_targetILNS1_3genE5ELNS1_11target_archE942ELNS1_3gpuE9ELNS1_3repE0EEENS1_30default_config_static_selectorELNS0_4arch9wavefront6targetE1EEEvT1_ ; -- Begin function _ZN7rocprim17ROCPRIM_400000_NS6detail17trampoline_kernelINS0_14default_configENS1_25partition_config_selectorILNS1_17partition_subalgoE5ElNS0_10empty_typeEbEEZZNS1_14partition_implILS5_5ELb0ES3_mN6hipcub16HIPCUB_304000_NS21CountingInputIteratorIllEEPS6_NSA_22TransformInputIteratorIb7NonZeroIfEPflEENS0_5tupleIJPlS6_EEENSJ_IJSD_SD_EEES6_SK_JS6_EEE10hipError_tPvRmT3_T4_T5_T6_T7_T9_mT8_P12ihipStream_tbDpT10_ENKUlT_T0_E_clISt17integral_constantIbLb1EES16_EEDaS11_S12_EUlS11_E_NS1_11comp_targetILNS1_3genE5ELNS1_11target_archE942ELNS1_3gpuE9ELNS1_3repE0EEENS1_30default_config_static_selectorELNS0_4arch9wavefront6targetE1EEEvT1_
	.globl	_ZN7rocprim17ROCPRIM_400000_NS6detail17trampoline_kernelINS0_14default_configENS1_25partition_config_selectorILNS1_17partition_subalgoE5ElNS0_10empty_typeEbEEZZNS1_14partition_implILS5_5ELb0ES3_mN6hipcub16HIPCUB_304000_NS21CountingInputIteratorIllEEPS6_NSA_22TransformInputIteratorIb7NonZeroIfEPflEENS0_5tupleIJPlS6_EEENSJ_IJSD_SD_EEES6_SK_JS6_EEE10hipError_tPvRmT3_T4_T5_T6_T7_T9_mT8_P12ihipStream_tbDpT10_ENKUlT_T0_E_clISt17integral_constantIbLb1EES16_EEDaS11_S12_EUlS11_E_NS1_11comp_targetILNS1_3genE5ELNS1_11target_archE942ELNS1_3gpuE9ELNS1_3repE0EEENS1_30default_config_static_selectorELNS0_4arch9wavefront6targetE1EEEvT1_
	.p2align	8
	.type	_ZN7rocprim17ROCPRIM_400000_NS6detail17trampoline_kernelINS0_14default_configENS1_25partition_config_selectorILNS1_17partition_subalgoE5ElNS0_10empty_typeEbEEZZNS1_14partition_implILS5_5ELb0ES3_mN6hipcub16HIPCUB_304000_NS21CountingInputIteratorIllEEPS6_NSA_22TransformInputIteratorIb7NonZeroIfEPflEENS0_5tupleIJPlS6_EEENSJ_IJSD_SD_EEES6_SK_JS6_EEE10hipError_tPvRmT3_T4_T5_T6_T7_T9_mT8_P12ihipStream_tbDpT10_ENKUlT_T0_E_clISt17integral_constantIbLb1EES16_EEDaS11_S12_EUlS11_E_NS1_11comp_targetILNS1_3genE5ELNS1_11target_archE942ELNS1_3gpuE9ELNS1_3repE0EEENS1_30default_config_static_selectorELNS0_4arch9wavefront6targetE1EEEvT1_,@function
_ZN7rocprim17ROCPRIM_400000_NS6detail17trampoline_kernelINS0_14default_configENS1_25partition_config_selectorILNS1_17partition_subalgoE5ElNS0_10empty_typeEbEEZZNS1_14partition_implILS5_5ELb0ES3_mN6hipcub16HIPCUB_304000_NS21CountingInputIteratorIllEEPS6_NSA_22TransformInputIteratorIb7NonZeroIfEPflEENS0_5tupleIJPlS6_EEENSJ_IJSD_SD_EEES6_SK_JS6_EEE10hipError_tPvRmT3_T4_T5_T6_T7_T9_mT8_P12ihipStream_tbDpT10_ENKUlT_T0_E_clISt17integral_constantIbLb1EES16_EEDaS11_S12_EUlS11_E_NS1_11comp_targetILNS1_3genE5ELNS1_11target_archE942ELNS1_3gpuE9ELNS1_3repE0EEENS1_30default_config_static_selectorELNS0_4arch9wavefront6targetE1EEEvT1_: ; @_ZN7rocprim17ROCPRIM_400000_NS6detail17trampoline_kernelINS0_14default_configENS1_25partition_config_selectorILNS1_17partition_subalgoE5ElNS0_10empty_typeEbEEZZNS1_14partition_implILS5_5ELb0ES3_mN6hipcub16HIPCUB_304000_NS21CountingInputIteratorIllEEPS6_NSA_22TransformInputIteratorIb7NonZeroIfEPflEENS0_5tupleIJPlS6_EEENSJ_IJSD_SD_EEES6_SK_JS6_EEE10hipError_tPvRmT3_T4_T5_T6_T7_T9_mT8_P12ihipStream_tbDpT10_ENKUlT_T0_E_clISt17integral_constantIbLb1EES16_EEDaS11_S12_EUlS11_E_NS1_11comp_targetILNS1_3genE5ELNS1_11target_archE942ELNS1_3gpuE9ELNS1_3repE0EEENS1_30default_config_static_selectorELNS0_4arch9wavefront6targetE1EEEvT1_
; %bb.0:
	.section	.rodata,"a",@progbits
	.p2align	6, 0x0
	.amdhsa_kernel _ZN7rocprim17ROCPRIM_400000_NS6detail17trampoline_kernelINS0_14default_configENS1_25partition_config_selectorILNS1_17partition_subalgoE5ElNS0_10empty_typeEbEEZZNS1_14partition_implILS5_5ELb0ES3_mN6hipcub16HIPCUB_304000_NS21CountingInputIteratorIllEEPS6_NSA_22TransformInputIteratorIb7NonZeroIfEPflEENS0_5tupleIJPlS6_EEENSJ_IJSD_SD_EEES6_SK_JS6_EEE10hipError_tPvRmT3_T4_T5_T6_T7_T9_mT8_P12ihipStream_tbDpT10_ENKUlT_T0_E_clISt17integral_constantIbLb1EES16_EEDaS11_S12_EUlS11_E_NS1_11comp_targetILNS1_3genE5ELNS1_11target_archE942ELNS1_3gpuE9ELNS1_3repE0EEENS1_30default_config_static_selectorELNS0_4arch9wavefront6targetE1EEEvT1_
		.amdhsa_group_segment_fixed_size 0
		.amdhsa_private_segment_fixed_size 0
		.amdhsa_kernarg_size 136
		.amdhsa_user_sgpr_count 6
		.amdhsa_user_sgpr_private_segment_buffer 1
		.amdhsa_user_sgpr_dispatch_ptr 0
		.amdhsa_user_sgpr_queue_ptr 0
		.amdhsa_user_sgpr_kernarg_segment_ptr 1
		.amdhsa_user_sgpr_dispatch_id 0
		.amdhsa_user_sgpr_flat_scratch_init 0
		.amdhsa_user_sgpr_private_segment_size 0
		.amdhsa_uses_dynamic_stack 0
		.amdhsa_system_sgpr_private_segment_wavefront_offset 0
		.amdhsa_system_sgpr_workgroup_id_x 1
		.amdhsa_system_sgpr_workgroup_id_y 0
		.amdhsa_system_sgpr_workgroup_id_z 0
		.amdhsa_system_sgpr_workgroup_info 0
		.amdhsa_system_vgpr_workitem_id 0
		.amdhsa_next_free_vgpr 1
		.amdhsa_next_free_sgpr 0
		.amdhsa_reserve_vcc 0
		.amdhsa_reserve_flat_scratch 0
		.amdhsa_float_round_mode_32 0
		.amdhsa_float_round_mode_16_64 0
		.amdhsa_float_denorm_mode_32 3
		.amdhsa_float_denorm_mode_16_64 3
		.amdhsa_dx10_clamp 1
		.amdhsa_ieee_mode 1
		.amdhsa_fp16_overflow 0
		.amdhsa_exception_fp_ieee_invalid_op 0
		.amdhsa_exception_fp_denorm_src 0
		.amdhsa_exception_fp_ieee_div_zero 0
		.amdhsa_exception_fp_ieee_overflow 0
		.amdhsa_exception_fp_ieee_underflow 0
		.amdhsa_exception_fp_ieee_inexact 0
		.amdhsa_exception_int_div_zero 0
	.end_amdhsa_kernel
	.section	.text._ZN7rocprim17ROCPRIM_400000_NS6detail17trampoline_kernelINS0_14default_configENS1_25partition_config_selectorILNS1_17partition_subalgoE5ElNS0_10empty_typeEbEEZZNS1_14partition_implILS5_5ELb0ES3_mN6hipcub16HIPCUB_304000_NS21CountingInputIteratorIllEEPS6_NSA_22TransformInputIteratorIb7NonZeroIfEPflEENS0_5tupleIJPlS6_EEENSJ_IJSD_SD_EEES6_SK_JS6_EEE10hipError_tPvRmT3_T4_T5_T6_T7_T9_mT8_P12ihipStream_tbDpT10_ENKUlT_T0_E_clISt17integral_constantIbLb1EES16_EEDaS11_S12_EUlS11_E_NS1_11comp_targetILNS1_3genE5ELNS1_11target_archE942ELNS1_3gpuE9ELNS1_3repE0EEENS1_30default_config_static_selectorELNS0_4arch9wavefront6targetE1EEEvT1_,"axG",@progbits,_ZN7rocprim17ROCPRIM_400000_NS6detail17trampoline_kernelINS0_14default_configENS1_25partition_config_selectorILNS1_17partition_subalgoE5ElNS0_10empty_typeEbEEZZNS1_14partition_implILS5_5ELb0ES3_mN6hipcub16HIPCUB_304000_NS21CountingInputIteratorIllEEPS6_NSA_22TransformInputIteratorIb7NonZeroIfEPflEENS0_5tupleIJPlS6_EEENSJ_IJSD_SD_EEES6_SK_JS6_EEE10hipError_tPvRmT3_T4_T5_T6_T7_T9_mT8_P12ihipStream_tbDpT10_ENKUlT_T0_E_clISt17integral_constantIbLb1EES16_EEDaS11_S12_EUlS11_E_NS1_11comp_targetILNS1_3genE5ELNS1_11target_archE942ELNS1_3gpuE9ELNS1_3repE0EEENS1_30default_config_static_selectorELNS0_4arch9wavefront6targetE1EEEvT1_,comdat
.Lfunc_end262:
	.size	_ZN7rocprim17ROCPRIM_400000_NS6detail17trampoline_kernelINS0_14default_configENS1_25partition_config_selectorILNS1_17partition_subalgoE5ElNS0_10empty_typeEbEEZZNS1_14partition_implILS5_5ELb0ES3_mN6hipcub16HIPCUB_304000_NS21CountingInputIteratorIllEEPS6_NSA_22TransformInputIteratorIb7NonZeroIfEPflEENS0_5tupleIJPlS6_EEENSJ_IJSD_SD_EEES6_SK_JS6_EEE10hipError_tPvRmT3_T4_T5_T6_T7_T9_mT8_P12ihipStream_tbDpT10_ENKUlT_T0_E_clISt17integral_constantIbLb1EES16_EEDaS11_S12_EUlS11_E_NS1_11comp_targetILNS1_3genE5ELNS1_11target_archE942ELNS1_3gpuE9ELNS1_3repE0EEENS1_30default_config_static_selectorELNS0_4arch9wavefront6targetE1EEEvT1_, .Lfunc_end262-_ZN7rocprim17ROCPRIM_400000_NS6detail17trampoline_kernelINS0_14default_configENS1_25partition_config_selectorILNS1_17partition_subalgoE5ElNS0_10empty_typeEbEEZZNS1_14partition_implILS5_5ELb0ES3_mN6hipcub16HIPCUB_304000_NS21CountingInputIteratorIllEEPS6_NSA_22TransformInputIteratorIb7NonZeroIfEPflEENS0_5tupleIJPlS6_EEENSJ_IJSD_SD_EEES6_SK_JS6_EEE10hipError_tPvRmT3_T4_T5_T6_T7_T9_mT8_P12ihipStream_tbDpT10_ENKUlT_T0_E_clISt17integral_constantIbLb1EES16_EEDaS11_S12_EUlS11_E_NS1_11comp_targetILNS1_3genE5ELNS1_11target_archE942ELNS1_3gpuE9ELNS1_3repE0EEENS1_30default_config_static_selectorELNS0_4arch9wavefront6targetE1EEEvT1_
                                        ; -- End function
	.set _ZN7rocprim17ROCPRIM_400000_NS6detail17trampoline_kernelINS0_14default_configENS1_25partition_config_selectorILNS1_17partition_subalgoE5ElNS0_10empty_typeEbEEZZNS1_14partition_implILS5_5ELb0ES3_mN6hipcub16HIPCUB_304000_NS21CountingInputIteratorIllEEPS6_NSA_22TransformInputIteratorIb7NonZeroIfEPflEENS0_5tupleIJPlS6_EEENSJ_IJSD_SD_EEES6_SK_JS6_EEE10hipError_tPvRmT3_T4_T5_T6_T7_T9_mT8_P12ihipStream_tbDpT10_ENKUlT_T0_E_clISt17integral_constantIbLb1EES16_EEDaS11_S12_EUlS11_E_NS1_11comp_targetILNS1_3genE5ELNS1_11target_archE942ELNS1_3gpuE9ELNS1_3repE0EEENS1_30default_config_static_selectorELNS0_4arch9wavefront6targetE1EEEvT1_.num_vgpr, 0
	.set _ZN7rocprim17ROCPRIM_400000_NS6detail17trampoline_kernelINS0_14default_configENS1_25partition_config_selectorILNS1_17partition_subalgoE5ElNS0_10empty_typeEbEEZZNS1_14partition_implILS5_5ELb0ES3_mN6hipcub16HIPCUB_304000_NS21CountingInputIteratorIllEEPS6_NSA_22TransformInputIteratorIb7NonZeroIfEPflEENS0_5tupleIJPlS6_EEENSJ_IJSD_SD_EEES6_SK_JS6_EEE10hipError_tPvRmT3_T4_T5_T6_T7_T9_mT8_P12ihipStream_tbDpT10_ENKUlT_T0_E_clISt17integral_constantIbLb1EES16_EEDaS11_S12_EUlS11_E_NS1_11comp_targetILNS1_3genE5ELNS1_11target_archE942ELNS1_3gpuE9ELNS1_3repE0EEENS1_30default_config_static_selectorELNS0_4arch9wavefront6targetE1EEEvT1_.num_agpr, 0
	.set _ZN7rocprim17ROCPRIM_400000_NS6detail17trampoline_kernelINS0_14default_configENS1_25partition_config_selectorILNS1_17partition_subalgoE5ElNS0_10empty_typeEbEEZZNS1_14partition_implILS5_5ELb0ES3_mN6hipcub16HIPCUB_304000_NS21CountingInputIteratorIllEEPS6_NSA_22TransformInputIteratorIb7NonZeroIfEPflEENS0_5tupleIJPlS6_EEENSJ_IJSD_SD_EEES6_SK_JS6_EEE10hipError_tPvRmT3_T4_T5_T6_T7_T9_mT8_P12ihipStream_tbDpT10_ENKUlT_T0_E_clISt17integral_constantIbLb1EES16_EEDaS11_S12_EUlS11_E_NS1_11comp_targetILNS1_3genE5ELNS1_11target_archE942ELNS1_3gpuE9ELNS1_3repE0EEENS1_30default_config_static_selectorELNS0_4arch9wavefront6targetE1EEEvT1_.numbered_sgpr, 0
	.set _ZN7rocprim17ROCPRIM_400000_NS6detail17trampoline_kernelINS0_14default_configENS1_25partition_config_selectorILNS1_17partition_subalgoE5ElNS0_10empty_typeEbEEZZNS1_14partition_implILS5_5ELb0ES3_mN6hipcub16HIPCUB_304000_NS21CountingInputIteratorIllEEPS6_NSA_22TransformInputIteratorIb7NonZeroIfEPflEENS0_5tupleIJPlS6_EEENSJ_IJSD_SD_EEES6_SK_JS6_EEE10hipError_tPvRmT3_T4_T5_T6_T7_T9_mT8_P12ihipStream_tbDpT10_ENKUlT_T0_E_clISt17integral_constantIbLb1EES16_EEDaS11_S12_EUlS11_E_NS1_11comp_targetILNS1_3genE5ELNS1_11target_archE942ELNS1_3gpuE9ELNS1_3repE0EEENS1_30default_config_static_selectorELNS0_4arch9wavefront6targetE1EEEvT1_.num_named_barrier, 0
	.set _ZN7rocprim17ROCPRIM_400000_NS6detail17trampoline_kernelINS0_14default_configENS1_25partition_config_selectorILNS1_17partition_subalgoE5ElNS0_10empty_typeEbEEZZNS1_14partition_implILS5_5ELb0ES3_mN6hipcub16HIPCUB_304000_NS21CountingInputIteratorIllEEPS6_NSA_22TransformInputIteratorIb7NonZeroIfEPflEENS0_5tupleIJPlS6_EEENSJ_IJSD_SD_EEES6_SK_JS6_EEE10hipError_tPvRmT3_T4_T5_T6_T7_T9_mT8_P12ihipStream_tbDpT10_ENKUlT_T0_E_clISt17integral_constantIbLb1EES16_EEDaS11_S12_EUlS11_E_NS1_11comp_targetILNS1_3genE5ELNS1_11target_archE942ELNS1_3gpuE9ELNS1_3repE0EEENS1_30default_config_static_selectorELNS0_4arch9wavefront6targetE1EEEvT1_.private_seg_size, 0
	.set _ZN7rocprim17ROCPRIM_400000_NS6detail17trampoline_kernelINS0_14default_configENS1_25partition_config_selectorILNS1_17partition_subalgoE5ElNS0_10empty_typeEbEEZZNS1_14partition_implILS5_5ELb0ES3_mN6hipcub16HIPCUB_304000_NS21CountingInputIteratorIllEEPS6_NSA_22TransformInputIteratorIb7NonZeroIfEPflEENS0_5tupleIJPlS6_EEENSJ_IJSD_SD_EEES6_SK_JS6_EEE10hipError_tPvRmT3_T4_T5_T6_T7_T9_mT8_P12ihipStream_tbDpT10_ENKUlT_T0_E_clISt17integral_constantIbLb1EES16_EEDaS11_S12_EUlS11_E_NS1_11comp_targetILNS1_3genE5ELNS1_11target_archE942ELNS1_3gpuE9ELNS1_3repE0EEENS1_30default_config_static_selectorELNS0_4arch9wavefront6targetE1EEEvT1_.uses_vcc, 0
	.set _ZN7rocprim17ROCPRIM_400000_NS6detail17trampoline_kernelINS0_14default_configENS1_25partition_config_selectorILNS1_17partition_subalgoE5ElNS0_10empty_typeEbEEZZNS1_14partition_implILS5_5ELb0ES3_mN6hipcub16HIPCUB_304000_NS21CountingInputIteratorIllEEPS6_NSA_22TransformInputIteratorIb7NonZeroIfEPflEENS0_5tupleIJPlS6_EEENSJ_IJSD_SD_EEES6_SK_JS6_EEE10hipError_tPvRmT3_T4_T5_T6_T7_T9_mT8_P12ihipStream_tbDpT10_ENKUlT_T0_E_clISt17integral_constantIbLb1EES16_EEDaS11_S12_EUlS11_E_NS1_11comp_targetILNS1_3genE5ELNS1_11target_archE942ELNS1_3gpuE9ELNS1_3repE0EEENS1_30default_config_static_selectorELNS0_4arch9wavefront6targetE1EEEvT1_.uses_flat_scratch, 0
	.set _ZN7rocprim17ROCPRIM_400000_NS6detail17trampoline_kernelINS0_14default_configENS1_25partition_config_selectorILNS1_17partition_subalgoE5ElNS0_10empty_typeEbEEZZNS1_14partition_implILS5_5ELb0ES3_mN6hipcub16HIPCUB_304000_NS21CountingInputIteratorIllEEPS6_NSA_22TransformInputIteratorIb7NonZeroIfEPflEENS0_5tupleIJPlS6_EEENSJ_IJSD_SD_EEES6_SK_JS6_EEE10hipError_tPvRmT3_T4_T5_T6_T7_T9_mT8_P12ihipStream_tbDpT10_ENKUlT_T0_E_clISt17integral_constantIbLb1EES16_EEDaS11_S12_EUlS11_E_NS1_11comp_targetILNS1_3genE5ELNS1_11target_archE942ELNS1_3gpuE9ELNS1_3repE0EEENS1_30default_config_static_selectorELNS0_4arch9wavefront6targetE1EEEvT1_.has_dyn_sized_stack, 0
	.set _ZN7rocprim17ROCPRIM_400000_NS6detail17trampoline_kernelINS0_14default_configENS1_25partition_config_selectorILNS1_17partition_subalgoE5ElNS0_10empty_typeEbEEZZNS1_14partition_implILS5_5ELb0ES3_mN6hipcub16HIPCUB_304000_NS21CountingInputIteratorIllEEPS6_NSA_22TransformInputIteratorIb7NonZeroIfEPflEENS0_5tupleIJPlS6_EEENSJ_IJSD_SD_EEES6_SK_JS6_EEE10hipError_tPvRmT3_T4_T5_T6_T7_T9_mT8_P12ihipStream_tbDpT10_ENKUlT_T0_E_clISt17integral_constantIbLb1EES16_EEDaS11_S12_EUlS11_E_NS1_11comp_targetILNS1_3genE5ELNS1_11target_archE942ELNS1_3gpuE9ELNS1_3repE0EEENS1_30default_config_static_selectorELNS0_4arch9wavefront6targetE1EEEvT1_.has_recursion, 0
	.set _ZN7rocprim17ROCPRIM_400000_NS6detail17trampoline_kernelINS0_14default_configENS1_25partition_config_selectorILNS1_17partition_subalgoE5ElNS0_10empty_typeEbEEZZNS1_14partition_implILS5_5ELb0ES3_mN6hipcub16HIPCUB_304000_NS21CountingInputIteratorIllEEPS6_NSA_22TransformInputIteratorIb7NonZeroIfEPflEENS0_5tupleIJPlS6_EEENSJ_IJSD_SD_EEES6_SK_JS6_EEE10hipError_tPvRmT3_T4_T5_T6_T7_T9_mT8_P12ihipStream_tbDpT10_ENKUlT_T0_E_clISt17integral_constantIbLb1EES16_EEDaS11_S12_EUlS11_E_NS1_11comp_targetILNS1_3genE5ELNS1_11target_archE942ELNS1_3gpuE9ELNS1_3repE0EEENS1_30default_config_static_selectorELNS0_4arch9wavefront6targetE1EEEvT1_.has_indirect_call, 0
	.section	.AMDGPU.csdata,"",@progbits
; Kernel info:
; codeLenInByte = 0
; TotalNumSgprs: 4
; NumVgprs: 0
; ScratchSize: 0
; MemoryBound: 0
; FloatMode: 240
; IeeeMode: 1
; LDSByteSize: 0 bytes/workgroup (compile time only)
; SGPRBlocks: 0
; VGPRBlocks: 0
; NumSGPRsForWavesPerEU: 4
; NumVGPRsForWavesPerEU: 1
; Occupancy: 10
; WaveLimiterHint : 0
; COMPUTE_PGM_RSRC2:SCRATCH_EN: 0
; COMPUTE_PGM_RSRC2:USER_SGPR: 6
; COMPUTE_PGM_RSRC2:TRAP_HANDLER: 0
; COMPUTE_PGM_RSRC2:TGID_X_EN: 1
; COMPUTE_PGM_RSRC2:TGID_Y_EN: 0
; COMPUTE_PGM_RSRC2:TGID_Z_EN: 0
; COMPUTE_PGM_RSRC2:TIDIG_COMP_CNT: 0
	.section	.text._ZN7rocprim17ROCPRIM_400000_NS6detail17trampoline_kernelINS0_14default_configENS1_25partition_config_selectorILNS1_17partition_subalgoE5ElNS0_10empty_typeEbEEZZNS1_14partition_implILS5_5ELb0ES3_mN6hipcub16HIPCUB_304000_NS21CountingInputIteratorIllEEPS6_NSA_22TransformInputIteratorIb7NonZeroIfEPflEENS0_5tupleIJPlS6_EEENSJ_IJSD_SD_EEES6_SK_JS6_EEE10hipError_tPvRmT3_T4_T5_T6_T7_T9_mT8_P12ihipStream_tbDpT10_ENKUlT_T0_E_clISt17integral_constantIbLb1EES16_EEDaS11_S12_EUlS11_E_NS1_11comp_targetILNS1_3genE4ELNS1_11target_archE910ELNS1_3gpuE8ELNS1_3repE0EEENS1_30default_config_static_selectorELNS0_4arch9wavefront6targetE1EEEvT1_,"axG",@progbits,_ZN7rocprim17ROCPRIM_400000_NS6detail17trampoline_kernelINS0_14default_configENS1_25partition_config_selectorILNS1_17partition_subalgoE5ElNS0_10empty_typeEbEEZZNS1_14partition_implILS5_5ELb0ES3_mN6hipcub16HIPCUB_304000_NS21CountingInputIteratorIllEEPS6_NSA_22TransformInputIteratorIb7NonZeroIfEPflEENS0_5tupleIJPlS6_EEENSJ_IJSD_SD_EEES6_SK_JS6_EEE10hipError_tPvRmT3_T4_T5_T6_T7_T9_mT8_P12ihipStream_tbDpT10_ENKUlT_T0_E_clISt17integral_constantIbLb1EES16_EEDaS11_S12_EUlS11_E_NS1_11comp_targetILNS1_3genE4ELNS1_11target_archE910ELNS1_3gpuE8ELNS1_3repE0EEENS1_30default_config_static_selectorELNS0_4arch9wavefront6targetE1EEEvT1_,comdat
	.protected	_ZN7rocprim17ROCPRIM_400000_NS6detail17trampoline_kernelINS0_14default_configENS1_25partition_config_selectorILNS1_17partition_subalgoE5ElNS0_10empty_typeEbEEZZNS1_14partition_implILS5_5ELb0ES3_mN6hipcub16HIPCUB_304000_NS21CountingInputIteratorIllEEPS6_NSA_22TransformInputIteratorIb7NonZeroIfEPflEENS0_5tupleIJPlS6_EEENSJ_IJSD_SD_EEES6_SK_JS6_EEE10hipError_tPvRmT3_T4_T5_T6_T7_T9_mT8_P12ihipStream_tbDpT10_ENKUlT_T0_E_clISt17integral_constantIbLb1EES16_EEDaS11_S12_EUlS11_E_NS1_11comp_targetILNS1_3genE4ELNS1_11target_archE910ELNS1_3gpuE8ELNS1_3repE0EEENS1_30default_config_static_selectorELNS0_4arch9wavefront6targetE1EEEvT1_ ; -- Begin function _ZN7rocprim17ROCPRIM_400000_NS6detail17trampoline_kernelINS0_14default_configENS1_25partition_config_selectorILNS1_17partition_subalgoE5ElNS0_10empty_typeEbEEZZNS1_14partition_implILS5_5ELb0ES3_mN6hipcub16HIPCUB_304000_NS21CountingInputIteratorIllEEPS6_NSA_22TransformInputIteratorIb7NonZeroIfEPflEENS0_5tupleIJPlS6_EEENSJ_IJSD_SD_EEES6_SK_JS6_EEE10hipError_tPvRmT3_T4_T5_T6_T7_T9_mT8_P12ihipStream_tbDpT10_ENKUlT_T0_E_clISt17integral_constantIbLb1EES16_EEDaS11_S12_EUlS11_E_NS1_11comp_targetILNS1_3genE4ELNS1_11target_archE910ELNS1_3gpuE8ELNS1_3repE0EEENS1_30default_config_static_selectorELNS0_4arch9wavefront6targetE1EEEvT1_
	.globl	_ZN7rocprim17ROCPRIM_400000_NS6detail17trampoline_kernelINS0_14default_configENS1_25partition_config_selectorILNS1_17partition_subalgoE5ElNS0_10empty_typeEbEEZZNS1_14partition_implILS5_5ELb0ES3_mN6hipcub16HIPCUB_304000_NS21CountingInputIteratorIllEEPS6_NSA_22TransformInputIteratorIb7NonZeroIfEPflEENS0_5tupleIJPlS6_EEENSJ_IJSD_SD_EEES6_SK_JS6_EEE10hipError_tPvRmT3_T4_T5_T6_T7_T9_mT8_P12ihipStream_tbDpT10_ENKUlT_T0_E_clISt17integral_constantIbLb1EES16_EEDaS11_S12_EUlS11_E_NS1_11comp_targetILNS1_3genE4ELNS1_11target_archE910ELNS1_3gpuE8ELNS1_3repE0EEENS1_30default_config_static_selectorELNS0_4arch9wavefront6targetE1EEEvT1_
	.p2align	8
	.type	_ZN7rocprim17ROCPRIM_400000_NS6detail17trampoline_kernelINS0_14default_configENS1_25partition_config_selectorILNS1_17partition_subalgoE5ElNS0_10empty_typeEbEEZZNS1_14partition_implILS5_5ELb0ES3_mN6hipcub16HIPCUB_304000_NS21CountingInputIteratorIllEEPS6_NSA_22TransformInputIteratorIb7NonZeroIfEPflEENS0_5tupleIJPlS6_EEENSJ_IJSD_SD_EEES6_SK_JS6_EEE10hipError_tPvRmT3_T4_T5_T6_T7_T9_mT8_P12ihipStream_tbDpT10_ENKUlT_T0_E_clISt17integral_constantIbLb1EES16_EEDaS11_S12_EUlS11_E_NS1_11comp_targetILNS1_3genE4ELNS1_11target_archE910ELNS1_3gpuE8ELNS1_3repE0EEENS1_30default_config_static_selectorELNS0_4arch9wavefront6targetE1EEEvT1_,@function
_ZN7rocprim17ROCPRIM_400000_NS6detail17trampoline_kernelINS0_14default_configENS1_25partition_config_selectorILNS1_17partition_subalgoE5ElNS0_10empty_typeEbEEZZNS1_14partition_implILS5_5ELb0ES3_mN6hipcub16HIPCUB_304000_NS21CountingInputIteratorIllEEPS6_NSA_22TransformInputIteratorIb7NonZeroIfEPflEENS0_5tupleIJPlS6_EEENSJ_IJSD_SD_EEES6_SK_JS6_EEE10hipError_tPvRmT3_T4_T5_T6_T7_T9_mT8_P12ihipStream_tbDpT10_ENKUlT_T0_E_clISt17integral_constantIbLb1EES16_EEDaS11_S12_EUlS11_E_NS1_11comp_targetILNS1_3genE4ELNS1_11target_archE910ELNS1_3gpuE8ELNS1_3repE0EEENS1_30default_config_static_selectorELNS0_4arch9wavefront6targetE1EEEvT1_: ; @_ZN7rocprim17ROCPRIM_400000_NS6detail17trampoline_kernelINS0_14default_configENS1_25partition_config_selectorILNS1_17partition_subalgoE5ElNS0_10empty_typeEbEEZZNS1_14partition_implILS5_5ELb0ES3_mN6hipcub16HIPCUB_304000_NS21CountingInputIteratorIllEEPS6_NSA_22TransformInputIteratorIb7NonZeroIfEPflEENS0_5tupleIJPlS6_EEENSJ_IJSD_SD_EEES6_SK_JS6_EEE10hipError_tPvRmT3_T4_T5_T6_T7_T9_mT8_P12ihipStream_tbDpT10_ENKUlT_T0_E_clISt17integral_constantIbLb1EES16_EEDaS11_S12_EUlS11_E_NS1_11comp_targetILNS1_3genE4ELNS1_11target_archE910ELNS1_3gpuE8ELNS1_3repE0EEENS1_30default_config_static_selectorELNS0_4arch9wavefront6targetE1EEEvT1_
; %bb.0:
	.section	.rodata,"a",@progbits
	.p2align	6, 0x0
	.amdhsa_kernel _ZN7rocprim17ROCPRIM_400000_NS6detail17trampoline_kernelINS0_14default_configENS1_25partition_config_selectorILNS1_17partition_subalgoE5ElNS0_10empty_typeEbEEZZNS1_14partition_implILS5_5ELb0ES3_mN6hipcub16HIPCUB_304000_NS21CountingInputIteratorIllEEPS6_NSA_22TransformInputIteratorIb7NonZeroIfEPflEENS0_5tupleIJPlS6_EEENSJ_IJSD_SD_EEES6_SK_JS6_EEE10hipError_tPvRmT3_T4_T5_T6_T7_T9_mT8_P12ihipStream_tbDpT10_ENKUlT_T0_E_clISt17integral_constantIbLb1EES16_EEDaS11_S12_EUlS11_E_NS1_11comp_targetILNS1_3genE4ELNS1_11target_archE910ELNS1_3gpuE8ELNS1_3repE0EEENS1_30default_config_static_selectorELNS0_4arch9wavefront6targetE1EEEvT1_
		.amdhsa_group_segment_fixed_size 0
		.amdhsa_private_segment_fixed_size 0
		.amdhsa_kernarg_size 136
		.amdhsa_user_sgpr_count 6
		.amdhsa_user_sgpr_private_segment_buffer 1
		.amdhsa_user_sgpr_dispatch_ptr 0
		.amdhsa_user_sgpr_queue_ptr 0
		.amdhsa_user_sgpr_kernarg_segment_ptr 1
		.amdhsa_user_sgpr_dispatch_id 0
		.amdhsa_user_sgpr_flat_scratch_init 0
		.amdhsa_user_sgpr_private_segment_size 0
		.amdhsa_uses_dynamic_stack 0
		.amdhsa_system_sgpr_private_segment_wavefront_offset 0
		.amdhsa_system_sgpr_workgroup_id_x 1
		.amdhsa_system_sgpr_workgroup_id_y 0
		.amdhsa_system_sgpr_workgroup_id_z 0
		.amdhsa_system_sgpr_workgroup_info 0
		.amdhsa_system_vgpr_workitem_id 0
		.amdhsa_next_free_vgpr 1
		.amdhsa_next_free_sgpr 0
		.amdhsa_reserve_vcc 0
		.amdhsa_reserve_flat_scratch 0
		.amdhsa_float_round_mode_32 0
		.amdhsa_float_round_mode_16_64 0
		.amdhsa_float_denorm_mode_32 3
		.amdhsa_float_denorm_mode_16_64 3
		.amdhsa_dx10_clamp 1
		.amdhsa_ieee_mode 1
		.amdhsa_fp16_overflow 0
		.amdhsa_exception_fp_ieee_invalid_op 0
		.amdhsa_exception_fp_denorm_src 0
		.amdhsa_exception_fp_ieee_div_zero 0
		.amdhsa_exception_fp_ieee_overflow 0
		.amdhsa_exception_fp_ieee_underflow 0
		.amdhsa_exception_fp_ieee_inexact 0
		.amdhsa_exception_int_div_zero 0
	.end_amdhsa_kernel
	.section	.text._ZN7rocprim17ROCPRIM_400000_NS6detail17trampoline_kernelINS0_14default_configENS1_25partition_config_selectorILNS1_17partition_subalgoE5ElNS0_10empty_typeEbEEZZNS1_14partition_implILS5_5ELb0ES3_mN6hipcub16HIPCUB_304000_NS21CountingInputIteratorIllEEPS6_NSA_22TransformInputIteratorIb7NonZeroIfEPflEENS0_5tupleIJPlS6_EEENSJ_IJSD_SD_EEES6_SK_JS6_EEE10hipError_tPvRmT3_T4_T5_T6_T7_T9_mT8_P12ihipStream_tbDpT10_ENKUlT_T0_E_clISt17integral_constantIbLb1EES16_EEDaS11_S12_EUlS11_E_NS1_11comp_targetILNS1_3genE4ELNS1_11target_archE910ELNS1_3gpuE8ELNS1_3repE0EEENS1_30default_config_static_selectorELNS0_4arch9wavefront6targetE1EEEvT1_,"axG",@progbits,_ZN7rocprim17ROCPRIM_400000_NS6detail17trampoline_kernelINS0_14default_configENS1_25partition_config_selectorILNS1_17partition_subalgoE5ElNS0_10empty_typeEbEEZZNS1_14partition_implILS5_5ELb0ES3_mN6hipcub16HIPCUB_304000_NS21CountingInputIteratorIllEEPS6_NSA_22TransformInputIteratorIb7NonZeroIfEPflEENS0_5tupleIJPlS6_EEENSJ_IJSD_SD_EEES6_SK_JS6_EEE10hipError_tPvRmT3_T4_T5_T6_T7_T9_mT8_P12ihipStream_tbDpT10_ENKUlT_T0_E_clISt17integral_constantIbLb1EES16_EEDaS11_S12_EUlS11_E_NS1_11comp_targetILNS1_3genE4ELNS1_11target_archE910ELNS1_3gpuE8ELNS1_3repE0EEENS1_30default_config_static_selectorELNS0_4arch9wavefront6targetE1EEEvT1_,comdat
.Lfunc_end263:
	.size	_ZN7rocprim17ROCPRIM_400000_NS6detail17trampoline_kernelINS0_14default_configENS1_25partition_config_selectorILNS1_17partition_subalgoE5ElNS0_10empty_typeEbEEZZNS1_14partition_implILS5_5ELb0ES3_mN6hipcub16HIPCUB_304000_NS21CountingInputIteratorIllEEPS6_NSA_22TransformInputIteratorIb7NonZeroIfEPflEENS0_5tupleIJPlS6_EEENSJ_IJSD_SD_EEES6_SK_JS6_EEE10hipError_tPvRmT3_T4_T5_T6_T7_T9_mT8_P12ihipStream_tbDpT10_ENKUlT_T0_E_clISt17integral_constantIbLb1EES16_EEDaS11_S12_EUlS11_E_NS1_11comp_targetILNS1_3genE4ELNS1_11target_archE910ELNS1_3gpuE8ELNS1_3repE0EEENS1_30default_config_static_selectorELNS0_4arch9wavefront6targetE1EEEvT1_, .Lfunc_end263-_ZN7rocprim17ROCPRIM_400000_NS6detail17trampoline_kernelINS0_14default_configENS1_25partition_config_selectorILNS1_17partition_subalgoE5ElNS0_10empty_typeEbEEZZNS1_14partition_implILS5_5ELb0ES3_mN6hipcub16HIPCUB_304000_NS21CountingInputIteratorIllEEPS6_NSA_22TransformInputIteratorIb7NonZeroIfEPflEENS0_5tupleIJPlS6_EEENSJ_IJSD_SD_EEES6_SK_JS6_EEE10hipError_tPvRmT3_T4_T5_T6_T7_T9_mT8_P12ihipStream_tbDpT10_ENKUlT_T0_E_clISt17integral_constantIbLb1EES16_EEDaS11_S12_EUlS11_E_NS1_11comp_targetILNS1_3genE4ELNS1_11target_archE910ELNS1_3gpuE8ELNS1_3repE0EEENS1_30default_config_static_selectorELNS0_4arch9wavefront6targetE1EEEvT1_
                                        ; -- End function
	.set _ZN7rocprim17ROCPRIM_400000_NS6detail17trampoline_kernelINS0_14default_configENS1_25partition_config_selectorILNS1_17partition_subalgoE5ElNS0_10empty_typeEbEEZZNS1_14partition_implILS5_5ELb0ES3_mN6hipcub16HIPCUB_304000_NS21CountingInputIteratorIllEEPS6_NSA_22TransformInputIteratorIb7NonZeroIfEPflEENS0_5tupleIJPlS6_EEENSJ_IJSD_SD_EEES6_SK_JS6_EEE10hipError_tPvRmT3_T4_T5_T6_T7_T9_mT8_P12ihipStream_tbDpT10_ENKUlT_T0_E_clISt17integral_constantIbLb1EES16_EEDaS11_S12_EUlS11_E_NS1_11comp_targetILNS1_3genE4ELNS1_11target_archE910ELNS1_3gpuE8ELNS1_3repE0EEENS1_30default_config_static_selectorELNS0_4arch9wavefront6targetE1EEEvT1_.num_vgpr, 0
	.set _ZN7rocprim17ROCPRIM_400000_NS6detail17trampoline_kernelINS0_14default_configENS1_25partition_config_selectorILNS1_17partition_subalgoE5ElNS0_10empty_typeEbEEZZNS1_14partition_implILS5_5ELb0ES3_mN6hipcub16HIPCUB_304000_NS21CountingInputIteratorIllEEPS6_NSA_22TransformInputIteratorIb7NonZeroIfEPflEENS0_5tupleIJPlS6_EEENSJ_IJSD_SD_EEES6_SK_JS6_EEE10hipError_tPvRmT3_T4_T5_T6_T7_T9_mT8_P12ihipStream_tbDpT10_ENKUlT_T0_E_clISt17integral_constantIbLb1EES16_EEDaS11_S12_EUlS11_E_NS1_11comp_targetILNS1_3genE4ELNS1_11target_archE910ELNS1_3gpuE8ELNS1_3repE0EEENS1_30default_config_static_selectorELNS0_4arch9wavefront6targetE1EEEvT1_.num_agpr, 0
	.set _ZN7rocprim17ROCPRIM_400000_NS6detail17trampoline_kernelINS0_14default_configENS1_25partition_config_selectorILNS1_17partition_subalgoE5ElNS0_10empty_typeEbEEZZNS1_14partition_implILS5_5ELb0ES3_mN6hipcub16HIPCUB_304000_NS21CountingInputIteratorIllEEPS6_NSA_22TransformInputIteratorIb7NonZeroIfEPflEENS0_5tupleIJPlS6_EEENSJ_IJSD_SD_EEES6_SK_JS6_EEE10hipError_tPvRmT3_T4_T5_T6_T7_T9_mT8_P12ihipStream_tbDpT10_ENKUlT_T0_E_clISt17integral_constantIbLb1EES16_EEDaS11_S12_EUlS11_E_NS1_11comp_targetILNS1_3genE4ELNS1_11target_archE910ELNS1_3gpuE8ELNS1_3repE0EEENS1_30default_config_static_selectorELNS0_4arch9wavefront6targetE1EEEvT1_.numbered_sgpr, 0
	.set _ZN7rocprim17ROCPRIM_400000_NS6detail17trampoline_kernelINS0_14default_configENS1_25partition_config_selectorILNS1_17partition_subalgoE5ElNS0_10empty_typeEbEEZZNS1_14partition_implILS5_5ELb0ES3_mN6hipcub16HIPCUB_304000_NS21CountingInputIteratorIllEEPS6_NSA_22TransformInputIteratorIb7NonZeroIfEPflEENS0_5tupleIJPlS6_EEENSJ_IJSD_SD_EEES6_SK_JS6_EEE10hipError_tPvRmT3_T4_T5_T6_T7_T9_mT8_P12ihipStream_tbDpT10_ENKUlT_T0_E_clISt17integral_constantIbLb1EES16_EEDaS11_S12_EUlS11_E_NS1_11comp_targetILNS1_3genE4ELNS1_11target_archE910ELNS1_3gpuE8ELNS1_3repE0EEENS1_30default_config_static_selectorELNS0_4arch9wavefront6targetE1EEEvT1_.num_named_barrier, 0
	.set _ZN7rocprim17ROCPRIM_400000_NS6detail17trampoline_kernelINS0_14default_configENS1_25partition_config_selectorILNS1_17partition_subalgoE5ElNS0_10empty_typeEbEEZZNS1_14partition_implILS5_5ELb0ES3_mN6hipcub16HIPCUB_304000_NS21CountingInputIteratorIllEEPS6_NSA_22TransformInputIteratorIb7NonZeroIfEPflEENS0_5tupleIJPlS6_EEENSJ_IJSD_SD_EEES6_SK_JS6_EEE10hipError_tPvRmT3_T4_T5_T6_T7_T9_mT8_P12ihipStream_tbDpT10_ENKUlT_T0_E_clISt17integral_constantIbLb1EES16_EEDaS11_S12_EUlS11_E_NS1_11comp_targetILNS1_3genE4ELNS1_11target_archE910ELNS1_3gpuE8ELNS1_3repE0EEENS1_30default_config_static_selectorELNS0_4arch9wavefront6targetE1EEEvT1_.private_seg_size, 0
	.set _ZN7rocprim17ROCPRIM_400000_NS6detail17trampoline_kernelINS0_14default_configENS1_25partition_config_selectorILNS1_17partition_subalgoE5ElNS0_10empty_typeEbEEZZNS1_14partition_implILS5_5ELb0ES3_mN6hipcub16HIPCUB_304000_NS21CountingInputIteratorIllEEPS6_NSA_22TransformInputIteratorIb7NonZeroIfEPflEENS0_5tupleIJPlS6_EEENSJ_IJSD_SD_EEES6_SK_JS6_EEE10hipError_tPvRmT3_T4_T5_T6_T7_T9_mT8_P12ihipStream_tbDpT10_ENKUlT_T0_E_clISt17integral_constantIbLb1EES16_EEDaS11_S12_EUlS11_E_NS1_11comp_targetILNS1_3genE4ELNS1_11target_archE910ELNS1_3gpuE8ELNS1_3repE0EEENS1_30default_config_static_selectorELNS0_4arch9wavefront6targetE1EEEvT1_.uses_vcc, 0
	.set _ZN7rocprim17ROCPRIM_400000_NS6detail17trampoline_kernelINS0_14default_configENS1_25partition_config_selectorILNS1_17partition_subalgoE5ElNS0_10empty_typeEbEEZZNS1_14partition_implILS5_5ELb0ES3_mN6hipcub16HIPCUB_304000_NS21CountingInputIteratorIllEEPS6_NSA_22TransformInputIteratorIb7NonZeroIfEPflEENS0_5tupleIJPlS6_EEENSJ_IJSD_SD_EEES6_SK_JS6_EEE10hipError_tPvRmT3_T4_T5_T6_T7_T9_mT8_P12ihipStream_tbDpT10_ENKUlT_T0_E_clISt17integral_constantIbLb1EES16_EEDaS11_S12_EUlS11_E_NS1_11comp_targetILNS1_3genE4ELNS1_11target_archE910ELNS1_3gpuE8ELNS1_3repE0EEENS1_30default_config_static_selectorELNS0_4arch9wavefront6targetE1EEEvT1_.uses_flat_scratch, 0
	.set _ZN7rocprim17ROCPRIM_400000_NS6detail17trampoline_kernelINS0_14default_configENS1_25partition_config_selectorILNS1_17partition_subalgoE5ElNS0_10empty_typeEbEEZZNS1_14partition_implILS5_5ELb0ES3_mN6hipcub16HIPCUB_304000_NS21CountingInputIteratorIllEEPS6_NSA_22TransformInputIteratorIb7NonZeroIfEPflEENS0_5tupleIJPlS6_EEENSJ_IJSD_SD_EEES6_SK_JS6_EEE10hipError_tPvRmT3_T4_T5_T6_T7_T9_mT8_P12ihipStream_tbDpT10_ENKUlT_T0_E_clISt17integral_constantIbLb1EES16_EEDaS11_S12_EUlS11_E_NS1_11comp_targetILNS1_3genE4ELNS1_11target_archE910ELNS1_3gpuE8ELNS1_3repE0EEENS1_30default_config_static_selectorELNS0_4arch9wavefront6targetE1EEEvT1_.has_dyn_sized_stack, 0
	.set _ZN7rocprim17ROCPRIM_400000_NS6detail17trampoline_kernelINS0_14default_configENS1_25partition_config_selectorILNS1_17partition_subalgoE5ElNS0_10empty_typeEbEEZZNS1_14partition_implILS5_5ELb0ES3_mN6hipcub16HIPCUB_304000_NS21CountingInputIteratorIllEEPS6_NSA_22TransformInputIteratorIb7NonZeroIfEPflEENS0_5tupleIJPlS6_EEENSJ_IJSD_SD_EEES6_SK_JS6_EEE10hipError_tPvRmT3_T4_T5_T6_T7_T9_mT8_P12ihipStream_tbDpT10_ENKUlT_T0_E_clISt17integral_constantIbLb1EES16_EEDaS11_S12_EUlS11_E_NS1_11comp_targetILNS1_3genE4ELNS1_11target_archE910ELNS1_3gpuE8ELNS1_3repE0EEENS1_30default_config_static_selectorELNS0_4arch9wavefront6targetE1EEEvT1_.has_recursion, 0
	.set _ZN7rocprim17ROCPRIM_400000_NS6detail17trampoline_kernelINS0_14default_configENS1_25partition_config_selectorILNS1_17partition_subalgoE5ElNS0_10empty_typeEbEEZZNS1_14partition_implILS5_5ELb0ES3_mN6hipcub16HIPCUB_304000_NS21CountingInputIteratorIllEEPS6_NSA_22TransformInputIteratorIb7NonZeroIfEPflEENS0_5tupleIJPlS6_EEENSJ_IJSD_SD_EEES6_SK_JS6_EEE10hipError_tPvRmT3_T4_T5_T6_T7_T9_mT8_P12ihipStream_tbDpT10_ENKUlT_T0_E_clISt17integral_constantIbLb1EES16_EEDaS11_S12_EUlS11_E_NS1_11comp_targetILNS1_3genE4ELNS1_11target_archE910ELNS1_3gpuE8ELNS1_3repE0EEENS1_30default_config_static_selectorELNS0_4arch9wavefront6targetE1EEEvT1_.has_indirect_call, 0
	.section	.AMDGPU.csdata,"",@progbits
; Kernel info:
; codeLenInByte = 0
; TotalNumSgprs: 4
; NumVgprs: 0
; ScratchSize: 0
; MemoryBound: 0
; FloatMode: 240
; IeeeMode: 1
; LDSByteSize: 0 bytes/workgroup (compile time only)
; SGPRBlocks: 0
; VGPRBlocks: 0
; NumSGPRsForWavesPerEU: 4
; NumVGPRsForWavesPerEU: 1
; Occupancy: 10
; WaveLimiterHint : 0
; COMPUTE_PGM_RSRC2:SCRATCH_EN: 0
; COMPUTE_PGM_RSRC2:USER_SGPR: 6
; COMPUTE_PGM_RSRC2:TRAP_HANDLER: 0
; COMPUTE_PGM_RSRC2:TGID_X_EN: 1
; COMPUTE_PGM_RSRC2:TGID_Y_EN: 0
; COMPUTE_PGM_RSRC2:TGID_Z_EN: 0
; COMPUTE_PGM_RSRC2:TIDIG_COMP_CNT: 0
	.section	.text._ZN7rocprim17ROCPRIM_400000_NS6detail17trampoline_kernelINS0_14default_configENS1_25partition_config_selectorILNS1_17partition_subalgoE5ElNS0_10empty_typeEbEEZZNS1_14partition_implILS5_5ELb0ES3_mN6hipcub16HIPCUB_304000_NS21CountingInputIteratorIllEEPS6_NSA_22TransformInputIteratorIb7NonZeroIfEPflEENS0_5tupleIJPlS6_EEENSJ_IJSD_SD_EEES6_SK_JS6_EEE10hipError_tPvRmT3_T4_T5_T6_T7_T9_mT8_P12ihipStream_tbDpT10_ENKUlT_T0_E_clISt17integral_constantIbLb1EES16_EEDaS11_S12_EUlS11_E_NS1_11comp_targetILNS1_3genE3ELNS1_11target_archE908ELNS1_3gpuE7ELNS1_3repE0EEENS1_30default_config_static_selectorELNS0_4arch9wavefront6targetE1EEEvT1_,"axG",@progbits,_ZN7rocprim17ROCPRIM_400000_NS6detail17trampoline_kernelINS0_14default_configENS1_25partition_config_selectorILNS1_17partition_subalgoE5ElNS0_10empty_typeEbEEZZNS1_14partition_implILS5_5ELb0ES3_mN6hipcub16HIPCUB_304000_NS21CountingInputIteratorIllEEPS6_NSA_22TransformInputIteratorIb7NonZeroIfEPflEENS0_5tupleIJPlS6_EEENSJ_IJSD_SD_EEES6_SK_JS6_EEE10hipError_tPvRmT3_T4_T5_T6_T7_T9_mT8_P12ihipStream_tbDpT10_ENKUlT_T0_E_clISt17integral_constantIbLb1EES16_EEDaS11_S12_EUlS11_E_NS1_11comp_targetILNS1_3genE3ELNS1_11target_archE908ELNS1_3gpuE7ELNS1_3repE0EEENS1_30default_config_static_selectorELNS0_4arch9wavefront6targetE1EEEvT1_,comdat
	.protected	_ZN7rocprim17ROCPRIM_400000_NS6detail17trampoline_kernelINS0_14default_configENS1_25partition_config_selectorILNS1_17partition_subalgoE5ElNS0_10empty_typeEbEEZZNS1_14partition_implILS5_5ELb0ES3_mN6hipcub16HIPCUB_304000_NS21CountingInputIteratorIllEEPS6_NSA_22TransformInputIteratorIb7NonZeroIfEPflEENS0_5tupleIJPlS6_EEENSJ_IJSD_SD_EEES6_SK_JS6_EEE10hipError_tPvRmT3_T4_T5_T6_T7_T9_mT8_P12ihipStream_tbDpT10_ENKUlT_T0_E_clISt17integral_constantIbLb1EES16_EEDaS11_S12_EUlS11_E_NS1_11comp_targetILNS1_3genE3ELNS1_11target_archE908ELNS1_3gpuE7ELNS1_3repE0EEENS1_30default_config_static_selectorELNS0_4arch9wavefront6targetE1EEEvT1_ ; -- Begin function _ZN7rocprim17ROCPRIM_400000_NS6detail17trampoline_kernelINS0_14default_configENS1_25partition_config_selectorILNS1_17partition_subalgoE5ElNS0_10empty_typeEbEEZZNS1_14partition_implILS5_5ELb0ES3_mN6hipcub16HIPCUB_304000_NS21CountingInputIteratorIllEEPS6_NSA_22TransformInputIteratorIb7NonZeroIfEPflEENS0_5tupleIJPlS6_EEENSJ_IJSD_SD_EEES6_SK_JS6_EEE10hipError_tPvRmT3_T4_T5_T6_T7_T9_mT8_P12ihipStream_tbDpT10_ENKUlT_T0_E_clISt17integral_constantIbLb1EES16_EEDaS11_S12_EUlS11_E_NS1_11comp_targetILNS1_3genE3ELNS1_11target_archE908ELNS1_3gpuE7ELNS1_3repE0EEENS1_30default_config_static_selectorELNS0_4arch9wavefront6targetE1EEEvT1_
	.globl	_ZN7rocprim17ROCPRIM_400000_NS6detail17trampoline_kernelINS0_14default_configENS1_25partition_config_selectorILNS1_17partition_subalgoE5ElNS0_10empty_typeEbEEZZNS1_14partition_implILS5_5ELb0ES3_mN6hipcub16HIPCUB_304000_NS21CountingInputIteratorIllEEPS6_NSA_22TransformInputIteratorIb7NonZeroIfEPflEENS0_5tupleIJPlS6_EEENSJ_IJSD_SD_EEES6_SK_JS6_EEE10hipError_tPvRmT3_T4_T5_T6_T7_T9_mT8_P12ihipStream_tbDpT10_ENKUlT_T0_E_clISt17integral_constantIbLb1EES16_EEDaS11_S12_EUlS11_E_NS1_11comp_targetILNS1_3genE3ELNS1_11target_archE908ELNS1_3gpuE7ELNS1_3repE0EEENS1_30default_config_static_selectorELNS0_4arch9wavefront6targetE1EEEvT1_
	.p2align	8
	.type	_ZN7rocprim17ROCPRIM_400000_NS6detail17trampoline_kernelINS0_14default_configENS1_25partition_config_selectorILNS1_17partition_subalgoE5ElNS0_10empty_typeEbEEZZNS1_14partition_implILS5_5ELb0ES3_mN6hipcub16HIPCUB_304000_NS21CountingInputIteratorIllEEPS6_NSA_22TransformInputIteratorIb7NonZeroIfEPflEENS0_5tupleIJPlS6_EEENSJ_IJSD_SD_EEES6_SK_JS6_EEE10hipError_tPvRmT3_T4_T5_T6_T7_T9_mT8_P12ihipStream_tbDpT10_ENKUlT_T0_E_clISt17integral_constantIbLb1EES16_EEDaS11_S12_EUlS11_E_NS1_11comp_targetILNS1_3genE3ELNS1_11target_archE908ELNS1_3gpuE7ELNS1_3repE0EEENS1_30default_config_static_selectorELNS0_4arch9wavefront6targetE1EEEvT1_,@function
_ZN7rocprim17ROCPRIM_400000_NS6detail17trampoline_kernelINS0_14default_configENS1_25partition_config_selectorILNS1_17partition_subalgoE5ElNS0_10empty_typeEbEEZZNS1_14partition_implILS5_5ELb0ES3_mN6hipcub16HIPCUB_304000_NS21CountingInputIteratorIllEEPS6_NSA_22TransformInputIteratorIb7NonZeroIfEPflEENS0_5tupleIJPlS6_EEENSJ_IJSD_SD_EEES6_SK_JS6_EEE10hipError_tPvRmT3_T4_T5_T6_T7_T9_mT8_P12ihipStream_tbDpT10_ENKUlT_T0_E_clISt17integral_constantIbLb1EES16_EEDaS11_S12_EUlS11_E_NS1_11comp_targetILNS1_3genE3ELNS1_11target_archE908ELNS1_3gpuE7ELNS1_3repE0EEENS1_30default_config_static_selectorELNS0_4arch9wavefront6targetE1EEEvT1_: ; @_ZN7rocprim17ROCPRIM_400000_NS6detail17trampoline_kernelINS0_14default_configENS1_25partition_config_selectorILNS1_17partition_subalgoE5ElNS0_10empty_typeEbEEZZNS1_14partition_implILS5_5ELb0ES3_mN6hipcub16HIPCUB_304000_NS21CountingInputIteratorIllEEPS6_NSA_22TransformInputIteratorIb7NonZeroIfEPflEENS0_5tupleIJPlS6_EEENSJ_IJSD_SD_EEES6_SK_JS6_EEE10hipError_tPvRmT3_T4_T5_T6_T7_T9_mT8_P12ihipStream_tbDpT10_ENKUlT_T0_E_clISt17integral_constantIbLb1EES16_EEDaS11_S12_EUlS11_E_NS1_11comp_targetILNS1_3genE3ELNS1_11target_archE908ELNS1_3gpuE7ELNS1_3repE0EEENS1_30default_config_static_selectorELNS0_4arch9wavefront6targetE1EEEvT1_
; %bb.0:
	.section	.rodata,"a",@progbits
	.p2align	6, 0x0
	.amdhsa_kernel _ZN7rocprim17ROCPRIM_400000_NS6detail17trampoline_kernelINS0_14default_configENS1_25partition_config_selectorILNS1_17partition_subalgoE5ElNS0_10empty_typeEbEEZZNS1_14partition_implILS5_5ELb0ES3_mN6hipcub16HIPCUB_304000_NS21CountingInputIteratorIllEEPS6_NSA_22TransformInputIteratorIb7NonZeroIfEPflEENS0_5tupleIJPlS6_EEENSJ_IJSD_SD_EEES6_SK_JS6_EEE10hipError_tPvRmT3_T4_T5_T6_T7_T9_mT8_P12ihipStream_tbDpT10_ENKUlT_T0_E_clISt17integral_constantIbLb1EES16_EEDaS11_S12_EUlS11_E_NS1_11comp_targetILNS1_3genE3ELNS1_11target_archE908ELNS1_3gpuE7ELNS1_3repE0EEENS1_30default_config_static_selectorELNS0_4arch9wavefront6targetE1EEEvT1_
		.amdhsa_group_segment_fixed_size 0
		.amdhsa_private_segment_fixed_size 0
		.amdhsa_kernarg_size 136
		.amdhsa_user_sgpr_count 6
		.amdhsa_user_sgpr_private_segment_buffer 1
		.amdhsa_user_sgpr_dispatch_ptr 0
		.amdhsa_user_sgpr_queue_ptr 0
		.amdhsa_user_sgpr_kernarg_segment_ptr 1
		.amdhsa_user_sgpr_dispatch_id 0
		.amdhsa_user_sgpr_flat_scratch_init 0
		.amdhsa_user_sgpr_private_segment_size 0
		.amdhsa_uses_dynamic_stack 0
		.amdhsa_system_sgpr_private_segment_wavefront_offset 0
		.amdhsa_system_sgpr_workgroup_id_x 1
		.amdhsa_system_sgpr_workgroup_id_y 0
		.amdhsa_system_sgpr_workgroup_id_z 0
		.amdhsa_system_sgpr_workgroup_info 0
		.amdhsa_system_vgpr_workitem_id 0
		.amdhsa_next_free_vgpr 1
		.amdhsa_next_free_sgpr 0
		.amdhsa_reserve_vcc 0
		.amdhsa_reserve_flat_scratch 0
		.amdhsa_float_round_mode_32 0
		.amdhsa_float_round_mode_16_64 0
		.amdhsa_float_denorm_mode_32 3
		.amdhsa_float_denorm_mode_16_64 3
		.amdhsa_dx10_clamp 1
		.amdhsa_ieee_mode 1
		.amdhsa_fp16_overflow 0
		.amdhsa_exception_fp_ieee_invalid_op 0
		.amdhsa_exception_fp_denorm_src 0
		.amdhsa_exception_fp_ieee_div_zero 0
		.amdhsa_exception_fp_ieee_overflow 0
		.amdhsa_exception_fp_ieee_underflow 0
		.amdhsa_exception_fp_ieee_inexact 0
		.amdhsa_exception_int_div_zero 0
	.end_amdhsa_kernel
	.section	.text._ZN7rocprim17ROCPRIM_400000_NS6detail17trampoline_kernelINS0_14default_configENS1_25partition_config_selectorILNS1_17partition_subalgoE5ElNS0_10empty_typeEbEEZZNS1_14partition_implILS5_5ELb0ES3_mN6hipcub16HIPCUB_304000_NS21CountingInputIteratorIllEEPS6_NSA_22TransformInputIteratorIb7NonZeroIfEPflEENS0_5tupleIJPlS6_EEENSJ_IJSD_SD_EEES6_SK_JS6_EEE10hipError_tPvRmT3_T4_T5_T6_T7_T9_mT8_P12ihipStream_tbDpT10_ENKUlT_T0_E_clISt17integral_constantIbLb1EES16_EEDaS11_S12_EUlS11_E_NS1_11comp_targetILNS1_3genE3ELNS1_11target_archE908ELNS1_3gpuE7ELNS1_3repE0EEENS1_30default_config_static_selectorELNS0_4arch9wavefront6targetE1EEEvT1_,"axG",@progbits,_ZN7rocprim17ROCPRIM_400000_NS6detail17trampoline_kernelINS0_14default_configENS1_25partition_config_selectorILNS1_17partition_subalgoE5ElNS0_10empty_typeEbEEZZNS1_14partition_implILS5_5ELb0ES3_mN6hipcub16HIPCUB_304000_NS21CountingInputIteratorIllEEPS6_NSA_22TransformInputIteratorIb7NonZeroIfEPflEENS0_5tupleIJPlS6_EEENSJ_IJSD_SD_EEES6_SK_JS6_EEE10hipError_tPvRmT3_T4_T5_T6_T7_T9_mT8_P12ihipStream_tbDpT10_ENKUlT_T0_E_clISt17integral_constantIbLb1EES16_EEDaS11_S12_EUlS11_E_NS1_11comp_targetILNS1_3genE3ELNS1_11target_archE908ELNS1_3gpuE7ELNS1_3repE0EEENS1_30default_config_static_selectorELNS0_4arch9wavefront6targetE1EEEvT1_,comdat
.Lfunc_end264:
	.size	_ZN7rocprim17ROCPRIM_400000_NS6detail17trampoline_kernelINS0_14default_configENS1_25partition_config_selectorILNS1_17partition_subalgoE5ElNS0_10empty_typeEbEEZZNS1_14partition_implILS5_5ELb0ES3_mN6hipcub16HIPCUB_304000_NS21CountingInputIteratorIllEEPS6_NSA_22TransformInputIteratorIb7NonZeroIfEPflEENS0_5tupleIJPlS6_EEENSJ_IJSD_SD_EEES6_SK_JS6_EEE10hipError_tPvRmT3_T4_T5_T6_T7_T9_mT8_P12ihipStream_tbDpT10_ENKUlT_T0_E_clISt17integral_constantIbLb1EES16_EEDaS11_S12_EUlS11_E_NS1_11comp_targetILNS1_3genE3ELNS1_11target_archE908ELNS1_3gpuE7ELNS1_3repE0EEENS1_30default_config_static_selectorELNS0_4arch9wavefront6targetE1EEEvT1_, .Lfunc_end264-_ZN7rocprim17ROCPRIM_400000_NS6detail17trampoline_kernelINS0_14default_configENS1_25partition_config_selectorILNS1_17partition_subalgoE5ElNS0_10empty_typeEbEEZZNS1_14partition_implILS5_5ELb0ES3_mN6hipcub16HIPCUB_304000_NS21CountingInputIteratorIllEEPS6_NSA_22TransformInputIteratorIb7NonZeroIfEPflEENS0_5tupleIJPlS6_EEENSJ_IJSD_SD_EEES6_SK_JS6_EEE10hipError_tPvRmT3_T4_T5_T6_T7_T9_mT8_P12ihipStream_tbDpT10_ENKUlT_T0_E_clISt17integral_constantIbLb1EES16_EEDaS11_S12_EUlS11_E_NS1_11comp_targetILNS1_3genE3ELNS1_11target_archE908ELNS1_3gpuE7ELNS1_3repE0EEENS1_30default_config_static_selectorELNS0_4arch9wavefront6targetE1EEEvT1_
                                        ; -- End function
	.set _ZN7rocprim17ROCPRIM_400000_NS6detail17trampoline_kernelINS0_14default_configENS1_25partition_config_selectorILNS1_17partition_subalgoE5ElNS0_10empty_typeEbEEZZNS1_14partition_implILS5_5ELb0ES3_mN6hipcub16HIPCUB_304000_NS21CountingInputIteratorIllEEPS6_NSA_22TransformInputIteratorIb7NonZeroIfEPflEENS0_5tupleIJPlS6_EEENSJ_IJSD_SD_EEES6_SK_JS6_EEE10hipError_tPvRmT3_T4_T5_T6_T7_T9_mT8_P12ihipStream_tbDpT10_ENKUlT_T0_E_clISt17integral_constantIbLb1EES16_EEDaS11_S12_EUlS11_E_NS1_11comp_targetILNS1_3genE3ELNS1_11target_archE908ELNS1_3gpuE7ELNS1_3repE0EEENS1_30default_config_static_selectorELNS0_4arch9wavefront6targetE1EEEvT1_.num_vgpr, 0
	.set _ZN7rocprim17ROCPRIM_400000_NS6detail17trampoline_kernelINS0_14default_configENS1_25partition_config_selectorILNS1_17partition_subalgoE5ElNS0_10empty_typeEbEEZZNS1_14partition_implILS5_5ELb0ES3_mN6hipcub16HIPCUB_304000_NS21CountingInputIteratorIllEEPS6_NSA_22TransformInputIteratorIb7NonZeroIfEPflEENS0_5tupleIJPlS6_EEENSJ_IJSD_SD_EEES6_SK_JS6_EEE10hipError_tPvRmT3_T4_T5_T6_T7_T9_mT8_P12ihipStream_tbDpT10_ENKUlT_T0_E_clISt17integral_constantIbLb1EES16_EEDaS11_S12_EUlS11_E_NS1_11comp_targetILNS1_3genE3ELNS1_11target_archE908ELNS1_3gpuE7ELNS1_3repE0EEENS1_30default_config_static_selectorELNS0_4arch9wavefront6targetE1EEEvT1_.num_agpr, 0
	.set _ZN7rocprim17ROCPRIM_400000_NS6detail17trampoline_kernelINS0_14default_configENS1_25partition_config_selectorILNS1_17partition_subalgoE5ElNS0_10empty_typeEbEEZZNS1_14partition_implILS5_5ELb0ES3_mN6hipcub16HIPCUB_304000_NS21CountingInputIteratorIllEEPS6_NSA_22TransformInputIteratorIb7NonZeroIfEPflEENS0_5tupleIJPlS6_EEENSJ_IJSD_SD_EEES6_SK_JS6_EEE10hipError_tPvRmT3_T4_T5_T6_T7_T9_mT8_P12ihipStream_tbDpT10_ENKUlT_T0_E_clISt17integral_constantIbLb1EES16_EEDaS11_S12_EUlS11_E_NS1_11comp_targetILNS1_3genE3ELNS1_11target_archE908ELNS1_3gpuE7ELNS1_3repE0EEENS1_30default_config_static_selectorELNS0_4arch9wavefront6targetE1EEEvT1_.numbered_sgpr, 0
	.set _ZN7rocprim17ROCPRIM_400000_NS6detail17trampoline_kernelINS0_14default_configENS1_25partition_config_selectorILNS1_17partition_subalgoE5ElNS0_10empty_typeEbEEZZNS1_14partition_implILS5_5ELb0ES3_mN6hipcub16HIPCUB_304000_NS21CountingInputIteratorIllEEPS6_NSA_22TransformInputIteratorIb7NonZeroIfEPflEENS0_5tupleIJPlS6_EEENSJ_IJSD_SD_EEES6_SK_JS6_EEE10hipError_tPvRmT3_T4_T5_T6_T7_T9_mT8_P12ihipStream_tbDpT10_ENKUlT_T0_E_clISt17integral_constantIbLb1EES16_EEDaS11_S12_EUlS11_E_NS1_11comp_targetILNS1_3genE3ELNS1_11target_archE908ELNS1_3gpuE7ELNS1_3repE0EEENS1_30default_config_static_selectorELNS0_4arch9wavefront6targetE1EEEvT1_.num_named_barrier, 0
	.set _ZN7rocprim17ROCPRIM_400000_NS6detail17trampoline_kernelINS0_14default_configENS1_25partition_config_selectorILNS1_17partition_subalgoE5ElNS0_10empty_typeEbEEZZNS1_14partition_implILS5_5ELb0ES3_mN6hipcub16HIPCUB_304000_NS21CountingInputIteratorIllEEPS6_NSA_22TransformInputIteratorIb7NonZeroIfEPflEENS0_5tupleIJPlS6_EEENSJ_IJSD_SD_EEES6_SK_JS6_EEE10hipError_tPvRmT3_T4_T5_T6_T7_T9_mT8_P12ihipStream_tbDpT10_ENKUlT_T0_E_clISt17integral_constantIbLb1EES16_EEDaS11_S12_EUlS11_E_NS1_11comp_targetILNS1_3genE3ELNS1_11target_archE908ELNS1_3gpuE7ELNS1_3repE0EEENS1_30default_config_static_selectorELNS0_4arch9wavefront6targetE1EEEvT1_.private_seg_size, 0
	.set _ZN7rocprim17ROCPRIM_400000_NS6detail17trampoline_kernelINS0_14default_configENS1_25partition_config_selectorILNS1_17partition_subalgoE5ElNS0_10empty_typeEbEEZZNS1_14partition_implILS5_5ELb0ES3_mN6hipcub16HIPCUB_304000_NS21CountingInputIteratorIllEEPS6_NSA_22TransformInputIteratorIb7NonZeroIfEPflEENS0_5tupleIJPlS6_EEENSJ_IJSD_SD_EEES6_SK_JS6_EEE10hipError_tPvRmT3_T4_T5_T6_T7_T9_mT8_P12ihipStream_tbDpT10_ENKUlT_T0_E_clISt17integral_constantIbLb1EES16_EEDaS11_S12_EUlS11_E_NS1_11comp_targetILNS1_3genE3ELNS1_11target_archE908ELNS1_3gpuE7ELNS1_3repE0EEENS1_30default_config_static_selectorELNS0_4arch9wavefront6targetE1EEEvT1_.uses_vcc, 0
	.set _ZN7rocprim17ROCPRIM_400000_NS6detail17trampoline_kernelINS0_14default_configENS1_25partition_config_selectorILNS1_17partition_subalgoE5ElNS0_10empty_typeEbEEZZNS1_14partition_implILS5_5ELb0ES3_mN6hipcub16HIPCUB_304000_NS21CountingInputIteratorIllEEPS6_NSA_22TransformInputIteratorIb7NonZeroIfEPflEENS0_5tupleIJPlS6_EEENSJ_IJSD_SD_EEES6_SK_JS6_EEE10hipError_tPvRmT3_T4_T5_T6_T7_T9_mT8_P12ihipStream_tbDpT10_ENKUlT_T0_E_clISt17integral_constantIbLb1EES16_EEDaS11_S12_EUlS11_E_NS1_11comp_targetILNS1_3genE3ELNS1_11target_archE908ELNS1_3gpuE7ELNS1_3repE0EEENS1_30default_config_static_selectorELNS0_4arch9wavefront6targetE1EEEvT1_.uses_flat_scratch, 0
	.set _ZN7rocprim17ROCPRIM_400000_NS6detail17trampoline_kernelINS0_14default_configENS1_25partition_config_selectorILNS1_17partition_subalgoE5ElNS0_10empty_typeEbEEZZNS1_14partition_implILS5_5ELb0ES3_mN6hipcub16HIPCUB_304000_NS21CountingInputIteratorIllEEPS6_NSA_22TransformInputIteratorIb7NonZeroIfEPflEENS0_5tupleIJPlS6_EEENSJ_IJSD_SD_EEES6_SK_JS6_EEE10hipError_tPvRmT3_T4_T5_T6_T7_T9_mT8_P12ihipStream_tbDpT10_ENKUlT_T0_E_clISt17integral_constantIbLb1EES16_EEDaS11_S12_EUlS11_E_NS1_11comp_targetILNS1_3genE3ELNS1_11target_archE908ELNS1_3gpuE7ELNS1_3repE0EEENS1_30default_config_static_selectorELNS0_4arch9wavefront6targetE1EEEvT1_.has_dyn_sized_stack, 0
	.set _ZN7rocprim17ROCPRIM_400000_NS6detail17trampoline_kernelINS0_14default_configENS1_25partition_config_selectorILNS1_17partition_subalgoE5ElNS0_10empty_typeEbEEZZNS1_14partition_implILS5_5ELb0ES3_mN6hipcub16HIPCUB_304000_NS21CountingInputIteratorIllEEPS6_NSA_22TransformInputIteratorIb7NonZeroIfEPflEENS0_5tupleIJPlS6_EEENSJ_IJSD_SD_EEES6_SK_JS6_EEE10hipError_tPvRmT3_T4_T5_T6_T7_T9_mT8_P12ihipStream_tbDpT10_ENKUlT_T0_E_clISt17integral_constantIbLb1EES16_EEDaS11_S12_EUlS11_E_NS1_11comp_targetILNS1_3genE3ELNS1_11target_archE908ELNS1_3gpuE7ELNS1_3repE0EEENS1_30default_config_static_selectorELNS0_4arch9wavefront6targetE1EEEvT1_.has_recursion, 0
	.set _ZN7rocprim17ROCPRIM_400000_NS6detail17trampoline_kernelINS0_14default_configENS1_25partition_config_selectorILNS1_17partition_subalgoE5ElNS0_10empty_typeEbEEZZNS1_14partition_implILS5_5ELb0ES3_mN6hipcub16HIPCUB_304000_NS21CountingInputIteratorIllEEPS6_NSA_22TransformInputIteratorIb7NonZeroIfEPflEENS0_5tupleIJPlS6_EEENSJ_IJSD_SD_EEES6_SK_JS6_EEE10hipError_tPvRmT3_T4_T5_T6_T7_T9_mT8_P12ihipStream_tbDpT10_ENKUlT_T0_E_clISt17integral_constantIbLb1EES16_EEDaS11_S12_EUlS11_E_NS1_11comp_targetILNS1_3genE3ELNS1_11target_archE908ELNS1_3gpuE7ELNS1_3repE0EEENS1_30default_config_static_selectorELNS0_4arch9wavefront6targetE1EEEvT1_.has_indirect_call, 0
	.section	.AMDGPU.csdata,"",@progbits
; Kernel info:
; codeLenInByte = 0
; TotalNumSgprs: 4
; NumVgprs: 0
; ScratchSize: 0
; MemoryBound: 0
; FloatMode: 240
; IeeeMode: 1
; LDSByteSize: 0 bytes/workgroup (compile time only)
; SGPRBlocks: 0
; VGPRBlocks: 0
; NumSGPRsForWavesPerEU: 4
; NumVGPRsForWavesPerEU: 1
; Occupancy: 10
; WaveLimiterHint : 0
; COMPUTE_PGM_RSRC2:SCRATCH_EN: 0
; COMPUTE_PGM_RSRC2:USER_SGPR: 6
; COMPUTE_PGM_RSRC2:TRAP_HANDLER: 0
; COMPUTE_PGM_RSRC2:TGID_X_EN: 1
; COMPUTE_PGM_RSRC2:TGID_Y_EN: 0
; COMPUTE_PGM_RSRC2:TGID_Z_EN: 0
; COMPUTE_PGM_RSRC2:TIDIG_COMP_CNT: 0
	.section	.text._ZN7rocprim17ROCPRIM_400000_NS6detail17trampoline_kernelINS0_14default_configENS1_25partition_config_selectorILNS1_17partition_subalgoE5ElNS0_10empty_typeEbEEZZNS1_14partition_implILS5_5ELb0ES3_mN6hipcub16HIPCUB_304000_NS21CountingInputIteratorIllEEPS6_NSA_22TransformInputIteratorIb7NonZeroIfEPflEENS0_5tupleIJPlS6_EEENSJ_IJSD_SD_EEES6_SK_JS6_EEE10hipError_tPvRmT3_T4_T5_T6_T7_T9_mT8_P12ihipStream_tbDpT10_ENKUlT_T0_E_clISt17integral_constantIbLb1EES16_EEDaS11_S12_EUlS11_E_NS1_11comp_targetILNS1_3genE2ELNS1_11target_archE906ELNS1_3gpuE6ELNS1_3repE0EEENS1_30default_config_static_selectorELNS0_4arch9wavefront6targetE1EEEvT1_,"axG",@progbits,_ZN7rocprim17ROCPRIM_400000_NS6detail17trampoline_kernelINS0_14default_configENS1_25partition_config_selectorILNS1_17partition_subalgoE5ElNS0_10empty_typeEbEEZZNS1_14partition_implILS5_5ELb0ES3_mN6hipcub16HIPCUB_304000_NS21CountingInputIteratorIllEEPS6_NSA_22TransformInputIteratorIb7NonZeroIfEPflEENS0_5tupleIJPlS6_EEENSJ_IJSD_SD_EEES6_SK_JS6_EEE10hipError_tPvRmT3_T4_T5_T6_T7_T9_mT8_P12ihipStream_tbDpT10_ENKUlT_T0_E_clISt17integral_constantIbLb1EES16_EEDaS11_S12_EUlS11_E_NS1_11comp_targetILNS1_3genE2ELNS1_11target_archE906ELNS1_3gpuE6ELNS1_3repE0EEENS1_30default_config_static_selectorELNS0_4arch9wavefront6targetE1EEEvT1_,comdat
	.protected	_ZN7rocprim17ROCPRIM_400000_NS6detail17trampoline_kernelINS0_14default_configENS1_25partition_config_selectorILNS1_17partition_subalgoE5ElNS0_10empty_typeEbEEZZNS1_14partition_implILS5_5ELb0ES3_mN6hipcub16HIPCUB_304000_NS21CountingInputIteratorIllEEPS6_NSA_22TransformInputIteratorIb7NonZeroIfEPflEENS0_5tupleIJPlS6_EEENSJ_IJSD_SD_EEES6_SK_JS6_EEE10hipError_tPvRmT3_T4_T5_T6_T7_T9_mT8_P12ihipStream_tbDpT10_ENKUlT_T0_E_clISt17integral_constantIbLb1EES16_EEDaS11_S12_EUlS11_E_NS1_11comp_targetILNS1_3genE2ELNS1_11target_archE906ELNS1_3gpuE6ELNS1_3repE0EEENS1_30default_config_static_selectorELNS0_4arch9wavefront6targetE1EEEvT1_ ; -- Begin function _ZN7rocprim17ROCPRIM_400000_NS6detail17trampoline_kernelINS0_14default_configENS1_25partition_config_selectorILNS1_17partition_subalgoE5ElNS0_10empty_typeEbEEZZNS1_14partition_implILS5_5ELb0ES3_mN6hipcub16HIPCUB_304000_NS21CountingInputIteratorIllEEPS6_NSA_22TransformInputIteratorIb7NonZeroIfEPflEENS0_5tupleIJPlS6_EEENSJ_IJSD_SD_EEES6_SK_JS6_EEE10hipError_tPvRmT3_T4_T5_T6_T7_T9_mT8_P12ihipStream_tbDpT10_ENKUlT_T0_E_clISt17integral_constantIbLb1EES16_EEDaS11_S12_EUlS11_E_NS1_11comp_targetILNS1_3genE2ELNS1_11target_archE906ELNS1_3gpuE6ELNS1_3repE0EEENS1_30default_config_static_selectorELNS0_4arch9wavefront6targetE1EEEvT1_
	.globl	_ZN7rocprim17ROCPRIM_400000_NS6detail17trampoline_kernelINS0_14default_configENS1_25partition_config_selectorILNS1_17partition_subalgoE5ElNS0_10empty_typeEbEEZZNS1_14partition_implILS5_5ELb0ES3_mN6hipcub16HIPCUB_304000_NS21CountingInputIteratorIllEEPS6_NSA_22TransformInputIteratorIb7NonZeroIfEPflEENS0_5tupleIJPlS6_EEENSJ_IJSD_SD_EEES6_SK_JS6_EEE10hipError_tPvRmT3_T4_T5_T6_T7_T9_mT8_P12ihipStream_tbDpT10_ENKUlT_T0_E_clISt17integral_constantIbLb1EES16_EEDaS11_S12_EUlS11_E_NS1_11comp_targetILNS1_3genE2ELNS1_11target_archE906ELNS1_3gpuE6ELNS1_3repE0EEENS1_30default_config_static_selectorELNS0_4arch9wavefront6targetE1EEEvT1_
	.p2align	8
	.type	_ZN7rocprim17ROCPRIM_400000_NS6detail17trampoline_kernelINS0_14default_configENS1_25partition_config_selectorILNS1_17partition_subalgoE5ElNS0_10empty_typeEbEEZZNS1_14partition_implILS5_5ELb0ES3_mN6hipcub16HIPCUB_304000_NS21CountingInputIteratorIllEEPS6_NSA_22TransformInputIteratorIb7NonZeroIfEPflEENS0_5tupleIJPlS6_EEENSJ_IJSD_SD_EEES6_SK_JS6_EEE10hipError_tPvRmT3_T4_T5_T6_T7_T9_mT8_P12ihipStream_tbDpT10_ENKUlT_T0_E_clISt17integral_constantIbLb1EES16_EEDaS11_S12_EUlS11_E_NS1_11comp_targetILNS1_3genE2ELNS1_11target_archE906ELNS1_3gpuE6ELNS1_3repE0EEENS1_30default_config_static_selectorELNS0_4arch9wavefront6targetE1EEEvT1_,@function
_ZN7rocprim17ROCPRIM_400000_NS6detail17trampoline_kernelINS0_14default_configENS1_25partition_config_selectorILNS1_17partition_subalgoE5ElNS0_10empty_typeEbEEZZNS1_14partition_implILS5_5ELb0ES3_mN6hipcub16HIPCUB_304000_NS21CountingInputIteratorIllEEPS6_NSA_22TransformInputIteratorIb7NonZeroIfEPflEENS0_5tupleIJPlS6_EEENSJ_IJSD_SD_EEES6_SK_JS6_EEE10hipError_tPvRmT3_T4_T5_T6_T7_T9_mT8_P12ihipStream_tbDpT10_ENKUlT_T0_E_clISt17integral_constantIbLb1EES16_EEDaS11_S12_EUlS11_E_NS1_11comp_targetILNS1_3genE2ELNS1_11target_archE906ELNS1_3gpuE6ELNS1_3repE0EEENS1_30default_config_static_selectorELNS0_4arch9wavefront6targetE1EEEvT1_: ; @_ZN7rocprim17ROCPRIM_400000_NS6detail17trampoline_kernelINS0_14default_configENS1_25partition_config_selectorILNS1_17partition_subalgoE5ElNS0_10empty_typeEbEEZZNS1_14partition_implILS5_5ELb0ES3_mN6hipcub16HIPCUB_304000_NS21CountingInputIteratorIllEEPS6_NSA_22TransformInputIteratorIb7NonZeroIfEPflEENS0_5tupleIJPlS6_EEENSJ_IJSD_SD_EEES6_SK_JS6_EEE10hipError_tPvRmT3_T4_T5_T6_T7_T9_mT8_P12ihipStream_tbDpT10_ENKUlT_T0_E_clISt17integral_constantIbLb1EES16_EEDaS11_S12_EUlS11_E_NS1_11comp_targetILNS1_3genE2ELNS1_11target_archE906ELNS1_3gpuE6ELNS1_3repE0EEENS1_30default_config_static_selectorELNS0_4arch9wavefront6targetE1EEEvT1_
; %bb.0:
	s_endpgm
	.section	.rodata,"a",@progbits
	.p2align	6, 0x0
	.amdhsa_kernel _ZN7rocprim17ROCPRIM_400000_NS6detail17trampoline_kernelINS0_14default_configENS1_25partition_config_selectorILNS1_17partition_subalgoE5ElNS0_10empty_typeEbEEZZNS1_14partition_implILS5_5ELb0ES3_mN6hipcub16HIPCUB_304000_NS21CountingInputIteratorIllEEPS6_NSA_22TransformInputIteratorIb7NonZeroIfEPflEENS0_5tupleIJPlS6_EEENSJ_IJSD_SD_EEES6_SK_JS6_EEE10hipError_tPvRmT3_T4_T5_T6_T7_T9_mT8_P12ihipStream_tbDpT10_ENKUlT_T0_E_clISt17integral_constantIbLb1EES16_EEDaS11_S12_EUlS11_E_NS1_11comp_targetILNS1_3genE2ELNS1_11target_archE906ELNS1_3gpuE6ELNS1_3repE0EEENS1_30default_config_static_selectorELNS0_4arch9wavefront6targetE1EEEvT1_
		.amdhsa_group_segment_fixed_size 0
		.amdhsa_private_segment_fixed_size 0
		.amdhsa_kernarg_size 136
		.amdhsa_user_sgpr_count 6
		.amdhsa_user_sgpr_private_segment_buffer 1
		.amdhsa_user_sgpr_dispatch_ptr 0
		.amdhsa_user_sgpr_queue_ptr 0
		.amdhsa_user_sgpr_kernarg_segment_ptr 1
		.amdhsa_user_sgpr_dispatch_id 0
		.amdhsa_user_sgpr_flat_scratch_init 0
		.amdhsa_user_sgpr_private_segment_size 0
		.amdhsa_uses_dynamic_stack 0
		.amdhsa_system_sgpr_private_segment_wavefront_offset 0
		.amdhsa_system_sgpr_workgroup_id_x 1
		.amdhsa_system_sgpr_workgroup_id_y 0
		.amdhsa_system_sgpr_workgroup_id_z 0
		.amdhsa_system_sgpr_workgroup_info 0
		.amdhsa_system_vgpr_workitem_id 0
		.amdhsa_next_free_vgpr 1
		.amdhsa_next_free_sgpr 0
		.amdhsa_reserve_vcc 0
		.amdhsa_reserve_flat_scratch 0
		.amdhsa_float_round_mode_32 0
		.amdhsa_float_round_mode_16_64 0
		.amdhsa_float_denorm_mode_32 3
		.amdhsa_float_denorm_mode_16_64 3
		.amdhsa_dx10_clamp 1
		.amdhsa_ieee_mode 1
		.amdhsa_fp16_overflow 0
		.amdhsa_exception_fp_ieee_invalid_op 0
		.amdhsa_exception_fp_denorm_src 0
		.amdhsa_exception_fp_ieee_div_zero 0
		.amdhsa_exception_fp_ieee_overflow 0
		.amdhsa_exception_fp_ieee_underflow 0
		.amdhsa_exception_fp_ieee_inexact 0
		.amdhsa_exception_int_div_zero 0
	.end_amdhsa_kernel
	.section	.text._ZN7rocprim17ROCPRIM_400000_NS6detail17trampoline_kernelINS0_14default_configENS1_25partition_config_selectorILNS1_17partition_subalgoE5ElNS0_10empty_typeEbEEZZNS1_14partition_implILS5_5ELb0ES3_mN6hipcub16HIPCUB_304000_NS21CountingInputIteratorIllEEPS6_NSA_22TransformInputIteratorIb7NonZeroIfEPflEENS0_5tupleIJPlS6_EEENSJ_IJSD_SD_EEES6_SK_JS6_EEE10hipError_tPvRmT3_T4_T5_T6_T7_T9_mT8_P12ihipStream_tbDpT10_ENKUlT_T0_E_clISt17integral_constantIbLb1EES16_EEDaS11_S12_EUlS11_E_NS1_11comp_targetILNS1_3genE2ELNS1_11target_archE906ELNS1_3gpuE6ELNS1_3repE0EEENS1_30default_config_static_selectorELNS0_4arch9wavefront6targetE1EEEvT1_,"axG",@progbits,_ZN7rocprim17ROCPRIM_400000_NS6detail17trampoline_kernelINS0_14default_configENS1_25partition_config_selectorILNS1_17partition_subalgoE5ElNS0_10empty_typeEbEEZZNS1_14partition_implILS5_5ELb0ES3_mN6hipcub16HIPCUB_304000_NS21CountingInputIteratorIllEEPS6_NSA_22TransformInputIteratorIb7NonZeroIfEPflEENS0_5tupleIJPlS6_EEENSJ_IJSD_SD_EEES6_SK_JS6_EEE10hipError_tPvRmT3_T4_T5_T6_T7_T9_mT8_P12ihipStream_tbDpT10_ENKUlT_T0_E_clISt17integral_constantIbLb1EES16_EEDaS11_S12_EUlS11_E_NS1_11comp_targetILNS1_3genE2ELNS1_11target_archE906ELNS1_3gpuE6ELNS1_3repE0EEENS1_30default_config_static_selectorELNS0_4arch9wavefront6targetE1EEEvT1_,comdat
.Lfunc_end265:
	.size	_ZN7rocprim17ROCPRIM_400000_NS6detail17trampoline_kernelINS0_14default_configENS1_25partition_config_selectorILNS1_17partition_subalgoE5ElNS0_10empty_typeEbEEZZNS1_14partition_implILS5_5ELb0ES3_mN6hipcub16HIPCUB_304000_NS21CountingInputIteratorIllEEPS6_NSA_22TransformInputIteratorIb7NonZeroIfEPflEENS0_5tupleIJPlS6_EEENSJ_IJSD_SD_EEES6_SK_JS6_EEE10hipError_tPvRmT3_T4_T5_T6_T7_T9_mT8_P12ihipStream_tbDpT10_ENKUlT_T0_E_clISt17integral_constantIbLb1EES16_EEDaS11_S12_EUlS11_E_NS1_11comp_targetILNS1_3genE2ELNS1_11target_archE906ELNS1_3gpuE6ELNS1_3repE0EEENS1_30default_config_static_selectorELNS0_4arch9wavefront6targetE1EEEvT1_, .Lfunc_end265-_ZN7rocprim17ROCPRIM_400000_NS6detail17trampoline_kernelINS0_14default_configENS1_25partition_config_selectorILNS1_17partition_subalgoE5ElNS0_10empty_typeEbEEZZNS1_14partition_implILS5_5ELb0ES3_mN6hipcub16HIPCUB_304000_NS21CountingInputIteratorIllEEPS6_NSA_22TransformInputIteratorIb7NonZeroIfEPflEENS0_5tupleIJPlS6_EEENSJ_IJSD_SD_EEES6_SK_JS6_EEE10hipError_tPvRmT3_T4_T5_T6_T7_T9_mT8_P12ihipStream_tbDpT10_ENKUlT_T0_E_clISt17integral_constantIbLb1EES16_EEDaS11_S12_EUlS11_E_NS1_11comp_targetILNS1_3genE2ELNS1_11target_archE906ELNS1_3gpuE6ELNS1_3repE0EEENS1_30default_config_static_selectorELNS0_4arch9wavefront6targetE1EEEvT1_
                                        ; -- End function
	.set _ZN7rocprim17ROCPRIM_400000_NS6detail17trampoline_kernelINS0_14default_configENS1_25partition_config_selectorILNS1_17partition_subalgoE5ElNS0_10empty_typeEbEEZZNS1_14partition_implILS5_5ELb0ES3_mN6hipcub16HIPCUB_304000_NS21CountingInputIteratorIllEEPS6_NSA_22TransformInputIteratorIb7NonZeroIfEPflEENS0_5tupleIJPlS6_EEENSJ_IJSD_SD_EEES6_SK_JS6_EEE10hipError_tPvRmT3_T4_T5_T6_T7_T9_mT8_P12ihipStream_tbDpT10_ENKUlT_T0_E_clISt17integral_constantIbLb1EES16_EEDaS11_S12_EUlS11_E_NS1_11comp_targetILNS1_3genE2ELNS1_11target_archE906ELNS1_3gpuE6ELNS1_3repE0EEENS1_30default_config_static_selectorELNS0_4arch9wavefront6targetE1EEEvT1_.num_vgpr, 0
	.set _ZN7rocprim17ROCPRIM_400000_NS6detail17trampoline_kernelINS0_14default_configENS1_25partition_config_selectorILNS1_17partition_subalgoE5ElNS0_10empty_typeEbEEZZNS1_14partition_implILS5_5ELb0ES3_mN6hipcub16HIPCUB_304000_NS21CountingInputIteratorIllEEPS6_NSA_22TransformInputIteratorIb7NonZeroIfEPflEENS0_5tupleIJPlS6_EEENSJ_IJSD_SD_EEES6_SK_JS6_EEE10hipError_tPvRmT3_T4_T5_T6_T7_T9_mT8_P12ihipStream_tbDpT10_ENKUlT_T0_E_clISt17integral_constantIbLb1EES16_EEDaS11_S12_EUlS11_E_NS1_11comp_targetILNS1_3genE2ELNS1_11target_archE906ELNS1_3gpuE6ELNS1_3repE0EEENS1_30default_config_static_selectorELNS0_4arch9wavefront6targetE1EEEvT1_.num_agpr, 0
	.set _ZN7rocprim17ROCPRIM_400000_NS6detail17trampoline_kernelINS0_14default_configENS1_25partition_config_selectorILNS1_17partition_subalgoE5ElNS0_10empty_typeEbEEZZNS1_14partition_implILS5_5ELb0ES3_mN6hipcub16HIPCUB_304000_NS21CountingInputIteratorIllEEPS6_NSA_22TransformInputIteratorIb7NonZeroIfEPflEENS0_5tupleIJPlS6_EEENSJ_IJSD_SD_EEES6_SK_JS6_EEE10hipError_tPvRmT3_T4_T5_T6_T7_T9_mT8_P12ihipStream_tbDpT10_ENKUlT_T0_E_clISt17integral_constantIbLb1EES16_EEDaS11_S12_EUlS11_E_NS1_11comp_targetILNS1_3genE2ELNS1_11target_archE906ELNS1_3gpuE6ELNS1_3repE0EEENS1_30default_config_static_selectorELNS0_4arch9wavefront6targetE1EEEvT1_.numbered_sgpr, 0
	.set _ZN7rocprim17ROCPRIM_400000_NS6detail17trampoline_kernelINS0_14default_configENS1_25partition_config_selectorILNS1_17partition_subalgoE5ElNS0_10empty_typeEbEEZZNS1_14partition_implILS5_5ELb0ES3_mN6hipcub16HIPCUB_304000_NS21CountingInputIteratorIllEEPS6_NSA_22TransformInputIteratorIb7NonZeroIfEPflEENS0_5tupleIJPlS6_EEENSJ_IJSD_SD_EEES6_SK_JS6_EEE10hipError_tPvRmT3_T4_T5_T6_T7_T9_mT8_P12ihipStream_tbDpT10_ENKUlT_T0_E_clISt17integral_constantIbLb1EES16_EEDaS11_S12_EUlS11_E_NS1_11comp_targetILNS1_3genE2ELNS1_11target_archE906ELNS1_3gpuE6ELNS1_3repE0EEENS1_30default_config_static_selectorELNS0_4arch9wavefront6targetE1EEEvT1_.num_named_barrier, 0
	.set _ZN7rocprim17ROCPRIM_400000_NS6detail17trampoline_kernelINS0_14default_configENS1_25partition_config_selectorILNS1_17partition_subalgoE5ElNS0_10empty_typeEbEEZZNS1_14partition_implILS5_5ELb0ES3_mN6hipcub16HIPCUB_304000_NS21CountingInputIteratorIllEEPS6_NSA_22TransformInputIteratorIb7NonZeroIfEPflEENS0_5tupleIJPlS6_EEENSJ_IJSD_SD_EEES6_SK_JS6_EEE10hipError_tPvRmT3_T4_T5_T6_T7_T9_mT8_P12ihipStream_tbDpT10_ENKUlT_T0_E_clISt17integral_constantIbLb1EES16_EEDaS11_S12_EUlS11_E_NS1_11comp_targetILNS1_3genE2ELNS1_11target_archE906ELNS1_3gpuE6ELNS1_3repE0EEENS1_30default_config_static_selectorELNS0_4arch9wavefront6targetE1EEEvT1_.private_seg_size, 0
	.set _ZN7rocprim17ROCPRIM_400000_NS6detail17trampoline_kernelINS0_14default_configENS1_25partition_config_selectorILNS1_17partition_subalgoE5ElNS0_10empty_typeEbEEZZNS1_14partition_implILS5_5ELb0ES3_mN6hipcub16HIPCUB_304000_NS21CountingInputIteratorIllEEPS6_NSA_22TransformInputIteratorIb7NonZeroIfEPflEENS0_5tupleIJPlS6_EEENSJ_IJSD_SD_EEES6_SK_JS6_EEE10hipError_tPvRmT3_T4_T5_T6_T7_T9_mT8_P12ihipStream_tbDpT10_ENKUlT_T0_E_clISt17integral_constantIbLb1EES16_EEDaS11_S12_EUlS11_E_NS1_11comp_targetILNS1_3genE2ELNS1_11target_archE906ELNS1_3gpuE6ELNS1_3repE0EEENS1_30default_config_static_selectorELNS0_4arch9wavefront6targetE1EEEvT1_.uses_vcc, 0
	.set _ZN7rocprim17ROCPRIM_400000_NS6detail17trampoline_kernelINS0_14default_configENS1_25partition_config_selectorILNS1_17partition_subalgoE5ElNS0_10empty_typeEbEEZZNS1_14partition_implILS5_5ELb0ES3_mN6hipcub16HIPCUB_304000_NS21CountingInputIteratorIllEEPS6_NSA_22TransformInputIteratorIb7NonZeroIfEPflEENS0_5tupleIJPlS6_EEENSJ_IJSD_SD_EEES6_SK_JS6_EEE10hipError_tPvRmT3_T4_T5_T6_T7_T9_mT8_P12ihipStream_tbDpT10_ENKUlT_T0_E_clISt17integral_constantIbLb1EES16_EEDaS11_S12_EUlS11_E_NS1_11comp_targetILNS1_3genE2ELNS1_11target_archE906ELNS1_3gpuE6ELNS1_3repE0EEENS1_30default_config_static_selectorELNS0_4arch9wavefront6targetE1EEEvT1_.uses_flat_scratch, 0
	.set _ZN7rocprim17ROCPRIM_400000_NS6detail17trampoline_kernelINS0_14default_configENS1_25partition_config_selectorILNS1_17partition_subalgoE5ElNS0_10empty_typeEbEEZZNS1_14partition_implILS5_5ELb0ES3_mN6hipcub16HIPCUB_304000_NS21CountingInputIteratorIllEEPS6_NSA_22TransformInputIteratorIb7NonZeroIfEPflEENS0_5tupleIJPlS6_EEENSJ_IJSD_SD_EEES6_SK_JS6_EEE10hipError_tPvRmT3_T4_T5_T6_T7_T9_mT8_P12ihipStream_tbDpT10_ENKUlT_T0_E_clISt17integral_constantIbLb1EES16_EEDaS11_S12_EUlS11_E_NS1_11comp_targetILNS1_3genE2ELNS1_11target_archE906ELNS1_3gpuE6ELNS1_3repE0EEENS1_30default_config_static_selectorELNS0_4arch9wavefront6targetE1EEEvT1_.has_dyn_sized_stack, 0
	.set _ZN7rocprim17ROCPRIM_400000_NS6detail17trampoline_kernelINS0_14default_configENS1_25partition_config_selectorILNS1_17partition_subalgoE5ElNS0_10empty_typeEbEEZZNS1_14partition_implILS5_5ELb0ES3_mN6hipcub16HIPCUB_304000_NS21CountingInputIteratorIllEEPS6_NSA_22TransformInputIteratorIb7NonZeroIfEPflEENS0_5tupleIJPlS6_EEENSJ_IJSD_SD_EEES6_SK_JS6_EEE10hipError_tPvRmT3_T4_T5_T6_T7_T9_mT8_P12ihipStream_tbDpT10_ENKUlT_T0_E_clISt17integral_constantIbLb1EES16_EEDaS11_S12_EUlS11_E_NS1_11comp_targetILNS1_3genE2ELNS1_11target_archE906ELNS1_3gpuE6ELNS1_3repE0EEENS1_30default_config_static_selectorELNS0_4arch9wavefront6targetE1EEEvT1_.has_recursion, 0
	.set _ZN7rocprim17ROCPRIM_400000_NS6detail17trampoline_kernelINS0_14default_configENS1_25partition_config_selectorILNS1_17partition_subalgoE5ElNS0_10empty_typeEbEEZZNS1_14partition_implILS5_5ELb0ES3_mN6hipcub16HIPCUB_304000_NS21CountingInputIteratorIllEEPS6_NSA_22TransformInputIteratorIb7NonZeroIfEPflEENS0_5tupleIJPlS6_EEENSJ_IJSD_SD_EEES6_SK_JS6_EEE10hipError_tPvRmT3_T4_T5_T6_T7_T9_mT8_P12ihipStream_tbDpT10_ENKUlT_T0_E_clISt17integral_constantIbLb1EES16_EEDaS11_S12_EUlS11_E_NS1_11comp_targetILNS1_3genE2ELNS1_11target_archE906ELNS1_3gpuE6ELNS1_3repE0EEENS1_30default_config_static_selectorELNS0_4arch9wavefront6targetE1EEEvT1_.has_indirect_call, 0
	.section	.AMDGPU.csdata,"",@progbits
; Kernel info:
; codeLenInByte = 4
; TotalNumSgprs: 4
; NumVgprs: 0
; ScratchSize: 0
; MemoryBound: 0
; FloatMode: 240
; IeeeMode: 1
; LDSByteSize: 0 bytes/workgroup (compile time only)
; SGPRBlocks: 0
; VGPRBlocks: 0
; NumSGPRsForWavesPerEU: 4
; NumVGPRsForWavesPerEU: 1
; Occupancy: 10
; WaveLimiterHint : 0
; COMPUTE_PGM_RSRC2:SCRATCH_EN: 0
; COMPUTE_PGM_RSRC2:USER_SGPR: 6
; COMPUTE_PGM_RSRC2:TRAP_HANDLER: 0
; COMPUTE_PGM_RSRC2:TGID_X_EN: 1
; COMPUTE_PGM_RSRC2:TGID_Y_EN: 0
; COMPUTE_PGM_RSRC2:TGID_Z_EN: 0
; COMPUTE_PGM_RSRC2:TIDIG_COMP_CNT: 0
	.section	.text._ZN7rocprim17ROCPRIM_400000_NS6detail17trampoline_kernelINS0_14default_configENS1_25partition_config_selectorILNS1_17partition_subalgoE5ElNS0_10empty_typeEbEEZZNS1_14partition_implILS5_5ELb0ES3_mN6hipcub16HIPCUB_304000_NS21CountingInputIteratorIllEEPS6_NSA_22TransformInputIteratorIb7NonZeroIfEPflEENS0_5tupleIJPlS6_EEENSJ_IJSD_SD_EEES6_SK_JS6_EEE10hipError_tPvRmT3_T4_T5_T6_T7_T9_mT8_P12ihipStream_tbDpT10_ENKUlT_T0_E_clISt17integral_constantIbLb1EES16_EEDaS11_S12_EUlS11_E_NS1_11comp_targetILNS1_3genE10ELNS1_11target_archE1200ELNS1_3gpuE4ELNS1_3repE0EEENS1_30default_config_static_selectorELNS0_4arch9wavefront6targetE1EEEvT1_,"axG",@progbits,_ZN7rocprim17ROCPRIM_400000_NS6detail17trampoline_kernelINS0_14default_configENS1_25partition_config_selectorILNS1_17partition_subalgoE5ElNS0_10empty_typeEbEEZZNS1_14partition_implILS5_5ELb0ES3_mN6hipcub16HIPCUB_304000_NS21CountingInputIteratorIllEEPS6_NSA_22TransformInputIteratorIb7NonZeroIfEPflEENS0_5tupleIJPlS6_EEENSJ_IJSD_SD_EEES6_SK_JS6_EEE10hipError_tPvRmT3_T4_T5_T6_T7_T9_mT8_P12ihipStream_tbDpT10_ENKUlT_T0_E_clISt17integral_constantIbLb1EES16_EEDaS11_S12_EUlS11_E_NS1_11comp_targetILNS1_3genE10ELNS1_11target_archE1200ELNS1_3gpuE4ELNS1_3repE0EEENS1_30default_config_static_selectorELNS0_4arch9wavefront6targetE1EEEvT1_,comdat
	.protected	_ZN7rocprim17ROCPRIM_400000_NS6detail17trampoline_kernelINS0_14default_configENS1_25partition_config_selectorILNS1_17partition_subalgoE5ElNS0_10empty_typeEbEEZZNS1_14partition_implILS5_5ELb0ES3_mN6hipcub16HIPCUB_304000_NS21CountingInputIteratorIllEEPS6_NSA_22TransformInputIteratorIb7NonZeroIfEPflEENS0_5tupleIJPlS6_EEENSJ_IJSD_SD_EEES6_SK_JS6_EEE10hipError_tPvRmT3_T4_T5_T6_T7_T9_mT8_P12ihipStream_tbDpT10_ENKUlT_T0_E_clISt17integral_constantIbLb1EES16_EEDaS11_S12_EUlS11_E_NS1_11comp_targetILNS1_3genE10ELNS1_11target_archE1200ELNS1_3gpuE4ELNS1_3repE0EEENS1_30default_config_static_selectorELNS0_4arch9wavefront6targetE1EEEvT1_ ; -- Begin function _ZN7rocprim17ROCPRIM_400000_NS6detail17trampoline_kernelINS0_14default_configENS1_25partition_config_selectorILNS1_17partition_subalgoE5ElNS0_10empty_typeEbEEZZNS1_14partition_implILS5_5ELb0ES3_mN6hipcub16HIPCUB_304000_NS21CountingInputIteratorIllEEPS6_NSA_22TransformInputIteratorIb7NonZeroIfEPflEENS0_5tupleIJPlS6_EEENSJ_IJSD_SD_EEES6_SK_JS6_EEE10hipError_tPvRmT3_T4_T5_T6_T7_T9_mT8_P12ihipStream_tbDpT10_ENKUlT_T0_E_clISt17integral_constantIbLb1EES16_EEDaS11_S12_EUlS11_E_NS1_11comp_targetILNS1_3genE10ELNS1_11target_archE1200ELNS1_3gpuE4ELNS1_3repE0EEENS1_30default_config_static_selectorELNS0_4arch9wavefront6targetE1EEEvT1_
	.globl	_ZN7rocprim17ROCPRIM_400000_NS6detail17trampoline_kernelINS0_14default_configENS1_25partition_config_selectorILNS1_17partition_subalgoE5ElNS0_10empty_typeEbEEZZNS1_14partition_implILS5_5ELb0ES3_mN6hipcub16HIPCUB_304000_NS21CountingInputIteratorIllEEPS6_NSA_22TransformInputIteratorIb7NonZeroIfEPflEENS0_5tupleIJPlS6_EEENSJ_IJSD_SD_EEES6_SK_JS6_EEE10hipError_tPvRmT3_T4_T5_T6_T7_T9_mT8_P12ihipStream_tbDpT10_ENKUlT_T0_E_clISt17integral_constantIbLb1EES16_EEDaS11_S12_EUlS11_E_NS1_11comp_targetILNS1_3genE10ELNS1_11target_archE1200ELNS1_3gpuE4ELNS1_3repE0EEENS1_30default_config_static_selectorELNS0_4arch9wavefront6targetE1EEEvT1_
	.p2align	8
	.type	_ZN7rocprim17ROCPRIM_400000_NS6detail17trampoline_kernelINS0_14default_configENS1_25partition_config_selectorILNS1_17partition_subalgoE5ElNS0_10empty_typeEbEEZZNS1_14partition_implILS5_5ELb0ES3_mN6hipcub16HIPCUB_304000_NS21CountingInputIteratorIllEEPS6_NSA_22TransformInputIteratorIb7NonZeroIfEPflEENS0_5tupleIJPlS6_EEENSJ_IJSD_SD_EEES6_SK_JS6_EEE10hipError_tPvRmT3_T4_T5_T6_T7_T9_mT8_P12ihipStream_tbDpT10_ENKUlT_T0_E_clISt17integral_constantIbLb1EES16_EEDaS11_S12_EUlS11_E_NS1_11comp_targetILNS1_3genE10ELNS1_11target_archE1200ELNS1_3gpuE4ELNS1_3repE0EEENS1_30default_config_static_selectorELNS0_4arch9wavefront6targetE1EEEvT1_,@function
_ZN7rocprim17ROCPRIM_400000_NS6detail17trampoline_kernelINS0_14default_configENS1_25partition_config_selectorILNS1_17partition_subalgoE5ElNS0_10empty_typeEbEEZZNS1_14partition_implILS5_5ELb0ES3_mN6hipcub16HIPCUB_304000_NS21CountingInputIteratorIllEEPS6_NSA_22TransformInputIteratorIb7NonZeroIfEPflEENS0_5tupleIJPlS6_EEENSJ_IJSD_SD_EEES6_SK_JS6_EEE10hipError_tPvRmT3_T4_T5_T6_T7_T9_mT8_P12ihipStream_tbDpT10_ENKUlT_T0_E_clISt17integral_constantIbLb1EES16_EEDaS11_S12_EUlS11_E_NS1_11comp_targetILNS1_3genE10ELNS1_11target_archE1200ELNS1_3gpuE4ELNS1_3repE0EEENS1_30default_config_static_selectorELNS0_4arch9wavefront6targetE1EEEvT1_: ; @_ZN7rocprim17ROCPRIM_400000_NS6detail17trampoline_kernelINS0_14default_configENS1_25partition_config_selectorILNS1_17partition_subalgoE5ElNS0_10empty_typeEbEEZZNS1_14partition_implILS5_5ELb0ES3_mN6hipcub16HIPCUB_304000_NS21CountingInputIteratorIllEEPS6_NSA_22TransformInputIteratorIb7NonZeroIfEPflEENS0_5tupleIJPlS6_EEENSJ_IJSD_SD_EEES6_SK_JS6_EEE10hipError_tPvRmT3_T4_T5_T6_T7_T9_mT8_P12ihipStream_tbDpT10_ENKUlT_T0_E_clISt17integral_constantIbLb1EES16_EEDaS11_S12_EUlS11_E_NS1_11comp_targetILNS1_3genE10ELNS1_11target_archE1200ELNS1_3gpuE4ELNS1_3repE0EEENS1_30default_config_static_selectorELNS0_4arch9wavefront6targetE1EEEvT1_
; %bb.0:
	.section	.rodata,"a",@progbits
	.p2align	6, 0x0
	.amdhsa_kernel _ZN7rocprim17ROCPRIM_400000_NS6detail17trampoline_kernelINS0_14default_configENS1_25partition_config_selectorILNS1_17partition_subalgoE5ElNS0_10empty_typeEbEEZZNS1_14partition_implILS5_5ELb0ES3_mN6hipcub16HIPCUB_304000_NS21CountingInputIteratorIllEEPS6_NSA_22TransformInputIteratorIb7NonZeroIfEPflEENS0_5tupleIJPlS6_EEENSJ_IJSD_SD_EEES6_SK_JS6_EEE10hipError_tPvRmT3_T4_T5_T6_T7_T9_mT8_P12ihipStream_tbDpT10_ENKUlT_T0_E_clISt17integral_constantIbLb1EES16_EEDaS11_S12_EUlS11_E_NS1_11comp_targetILNS1_3genE10ELNS1_11target_archE1200ELNS1_3gpuE4ELNS1_3repE0EEENS1_30default_config_static_selectorELNS0_4arch9wavefront6targetE1EEEvT1_
		.amdhsa_group_segment_fixed_size 0
		.amdhsa_private_segment_fixed_size 0
		.amdhsa_kernarg_size 136
		.amdhsa_user_sgpr_count 6
		.amdhsa_user_sgpr_private_segment_buffer 1
		.amdhsa_user_sgpr_dispatch_ptr 0
		.amdhsa_user_sgpr_queue_ptr 0
		.amdhsa_user_sgpr_kernarg_segment_ptr 1
		.amdhsa_user_sgpr_dispatch_id 0
		.amdhsa_user_sgpr_flat_scratch_init 0
		.amdhsa_user_sgpr_private_segment_size 0
		.amdhsa_uses_dynamic_stack 0
		.amdhsa_system_sgpr_private_segment_wavefront_offset 0
		.amdhsa_system_sgpr_workgroup_id_x 1
		.amdhsa_system_sgpr_workgroup_id_y 0
		.amdhsa_system_sgpr_workgroup_id_z 0
		.amdhsa_system_sgpr_workgroup_info 0
		.amdhsa_system_vgpr_workitem_id 0
		.amdhsa_next_free_vgpr 1
		.amdhsa_next_free_sgpr 0
		.amdhsa_reserve_vcc 0
		.amdhsa_reserve_flat_scratch 0
		.amdhsa_float_round_mode_32 0
		.amdhsa_float_round_mode_16_64 0
		.amdhsa_float_denorm_mode_32 3
		.amdhsa_float_denorm_mode_16_64 3
		.amdhsa_dx10_clamp 1
		.amdhsa_ieee_mode 1
		.amdhsa_fp16_overflow 0
		.amdhsa_exception_fp_ieee_invalid_op 0
		.amdhsa_exception_fp_denorm_src 0
		.amdhsa_exception_fp_ieee_div_zero 0
		.amdhsa_exception_fp_ieee_overflow 0
		.amdhsa_exception_fp_ieee_underflow 0
		.amdhsa_exception_fp_ieee_inexact 0
		.amdhsa_exception_int_div_zero 0
	.end_amdhsa_kernel
	.section	.text._ZN7rocprim17ROCPRIM_400000_NS6detail17trampoline_kernelINS0_14default_configENS1_25partition_config_selectorILNS1_17partition_subalgoE5ElNS0_10empty_typeEbEEZZNS1_14partition_implILS5_5ELb0ES3_mN6hipcub16HIPCUB_304000_NS21CountingInputIteratorIllEEPS6_NSA_22TransformInputIteratorIb7NonZeroIfEPflEENS0_5tupleIJPlS6_EEENSJ_IJSD_SD_EEES6_SK_JS6_EEE10hipError_tPvRmT3_T4_T5_T6_T7_T9_mT8_P12ihipStream_tbDpT10_ENKUlT_T0_E_clISt17integral_constantIbLb1EES16_EEDaS11_S12_EUlS11_E_NS1_11comp_targetILNS1_3genE10ELNS1_11target_archE1200ELNS1_3gpuE4ELNS1_3repE0EEENS1_30default_config_static_selectorELNS0_4arch9wavefront6targetE1EEEvT1_,"axG",@progbits,_ZN7rocprim17ROCPRIM_400000_NS6detail17trampoline_kernelINS0_14default_configENS1_25partition_config_selectorILNS1_17partition_subalgoE5ElNS0_10empty_typeEbEEZZNS1_14partition_implILS5_5ELb0ES3_mN6hipcub16HIPCUB_304000_NS21CountingInputIteratorIllEEPS6_NSA_22TransformInputIteratorIb7NonZeroIfEPflEENS0_5tupleIJPlS6_EEENSJ_IJSD_SD_EEES6_SK_JS6_EEE10hipError_tPvRmT3_T4_T5_T6_T7_T9_mT8_P12ihipStream_tbDpT10_ENKUlT_T0_E_clISt17integral_constantIbLb1EES16_EEDaS11_S12_EUlS11_E_NS1_11comp_targetILNS1_3genE10ELNS1_11target_archE1200ELNS1_3gpuE4ELNS1_3repE0EEENS1_30default_config_static_selectorELNS0_4arch9wavefront6targetE1EEEvT1_,comdat
.Lfunc_end266:
	.size	_ZN7rocprim17ROCPRIM_400000_NS6detail17trampoline_kernelINS0_14default_configENS1_25partition_config_selectorILNS1_17partition_subalgoE5ElNS0_10empty_typeEbEEZZNS1_14partition_implILS5_5ELb0ES3_mN6hipcub16HIPCUB_304000_NS21CountingInputIteratorIllEEPS6_NSA_22TransformInputIteratorIb7NonZeroIfEPflEENS0_5tupleIJPlS6_EEENSJ_IJSD_SD_EEES6_SK_JS6_EEE10hipError_tPvRmT3_T4_T5_T6_T7_T9_mT8_P12ihipStream_tbDpT10_ENKUlT_T0_E_clISt17integral_constantIbLb1EES16_EEDaS11_S12_EUlS11_E_NS1_11comp_targetILNS1_3genE10ELNS1_11target_archE1200ELNS1_3gpuE4ELNS1_3repE0EEENS1_30default_config_static_selectorELNS0_4arch9wavefront6targetE1EEEvT1_, .Lfunc_end266-_ZN7rocprim17ROCPRIM_400000_NS6detail17trampoline_kernelINS0_14default_configENS1_25partition_config_selectorILNS1_17partition_subalgoE5ElNS0_10empty_typeEbEEZZNS1_14partition_implILS5_5ELb0ES3_mN6hipcub16HIPCUB_304000_NS21CountingInputIteratorIllEEPS6_NSA_22TransformInputIteratorIb7NonZeroIfEPflEENS0_5tupleIJPlS6_EEENSJ_IJSD_SD_EEES6_SK_JS6_EEE10hipError_tPvRmT3_T4_T5_T6_T7_T9_mT8_P12ihipStream_tbDpT10_ENKUlT_T0_E_clISt17integral_constantIbLb1EES16_EEDaS11_S12_EUlS11_E_NS1_11comp_targetILNS1_3genE10ELNS1_11target_archE1200ELNS1_3gpuE4ELNS1_3repE0EEENS1_30default_config_static_selectorELNS0_4arch9wavefront6targetE1EEEvT1_
                                        ; -- End function
	.set _ZN7rocprim17ROCPRIM_400000_NS6detail17trampoline_kernelINS0_14default_configENS1_25partition_config_selectorILNS1_17partition_subalgoE5ElNS0_10empty_typeEbEEZZNS1_14partition_implILS5_5ELb0ES3_mN6hipcub16HIPCUB_304000_NS21CountingInputIteratorIllEEPS6_NSA_22TransformInputIteratorIb7NonZeroIfEPflEENS0_5tupleIJPlS6_EEENSJ_IJSD_SD_EEES6_SK_JS6_EEE10hipError_tPvRmT3_T4_T5_T6_T7_T9_mT8_P12ihipStream_tbDpT10_ENKUlT_T0_E_clISt17integral_constantIbLb1EES16_EEDaS11_S12_EUlS11_E_NS1_11comp_targetILNS1_3genE10ELNS1_11target_archE1200ELNS1_3gpuE4ELNS1_3repE0EEENS1_30default_config_static_selectorELNS0_4arch9wavefront6targetE1EEEvT1_.num_vgpr, 0
	.set _ZN7rocprim17ROCPRIM_400000_NS6detail17trampoline_kernelINS0_14default_configENS1_25partition_config_selectorILNS1_17partition_subalgoE5ElNS0_10empty_typeEbEEZZNS1_14partition_implILS5_5ELb0ES3_mN6hipcub16HIPCUB_304000_NS21CountingInputIteratorIllEEPS6_NSA_22TransformInputIteratorIb7NonZeroIfEPflEENS0_5tupleIJPlS6_EEENSJ_IJSD_SD_EEES6_SK_JS6_EEE10hipError_tPvRmT3_T4_T5_T6_T7_T9_mT8_P12ihipStream_tbDpT10_ENKUlT_T0_E_clISt17integral_constantIbLb1EES16_EEDaS11_S12_EUlS11_E_NS1_11comp_targetILNS1_3genE10ELNS1_11target_archE1200ELNS1_3gpuE4ELNS1_3repE0EEENS1_30default_config_static_selectorELNS0_4arch9wavefront6targetE1EEEvT1_.num_agpr, 0
	.set _ZN7rocprim17ROCPRIM_400000_NS6detail17trampoline_kernelINS0_14default_configENS1_25partition_config_selectorILNS1_17partition_subalgoE5ElNS0_10empty_typeEbEEZZNS1_14partition_implILS5_5ELb0ES3_mN6hipcub16HIPCUB_304000_NS21CountingInputIteratorIllEEPS6_NSA_22TransformInputIteratorIb7NonZeroIfEPflEENS0_5tupleIJPlS6_EEENSJ_IJSD_SD_EEES6_SK_JS6_EEE10hipError_tPvRmT3_T4_T5_T6_T7_T9_mT8_P12ihipStream_tbDpT10_ENKUlT_T0_E_clISt17integral_constantIbLb1EES16_EEDaS11_S12_EUlS11_E_NS1_11comp_targetILNS1_3genE10ELNS1_11target_archE1200ELNS1_3gpuE4ELNS1_3repE0EEENS1_30default_config_static_selectorELNS0_4arch9wavefront6targetE1EEEvT1_.numbered_sgpr, 0
	.set _ZN7rocprim17ROCPRIM_400000_NS6detail17trampoline_kernelINS0_14default_configENS1_25partition_config_selectorILNS1_17partition_subalgoE5ElNS0_10empty_typeEbEEZZNS1_14partition_implILS5_5ELb0ES3_mN6hipcub16HIPCUB_304000_NS21CountingInputIteratorIllEEPS6_NSA_22TransformInputIteratorIb7NonZeroIfEPflEENS0_5tupleIJPlS6_EEENSJ_IJSD_SD_EEES6_SK_JS6_EEE10hipError_tPvRmT3_T4_T5_T6_T7_T9_mT8_P12ihipStream_tbDpT10_ENKUlT_T0_E_clISt17integral_constantIbLb1EES16_EEDaS11_S12_EUlS11_E_NS1_11comp_targetILNS1_3genE10ELNS1_11target_archE1200ELNS1_3gpuE4ELNS1_3repE0EEENS1_30default_config_static_selectorELNS0_4arch9wavefront6targetE1EEEvT1_.num_named_barrier, 0
	.set _ZN7rocprim17ROCPRIM_400000_NS6detail17trampoline_kernelINS0_14default_configENS1_25partition_config_selectorILNS1_17partition_subalgoE5ElNS0_10empty_typeEbEEZZNS1_14partition_implILS5_5ELb0ES3_mN6hipcub16HIPCUB_304000_NS21CountingInputIteratorIllEEPS6_NSA_22TransformInputIteratorIb7NonZeroIfEPflEENS0_5tupleIJPlS6_EEENSJ_IJSD_SD_EEES6_SK_JS6_EEE10hipError_tPvRmT3_T4_T5_T6_T7_T9_mT8_P12ihipStream_tbDpT10_ENKUlT_T0_E_clISt17integral_constantIbLb1EES16_EEDaS11_S12_EUlS11_E_NS1_11comp_targetILNS1_3genE10ELNS1_11target_archE1200ELNS1_3gpuE4ELNS1_3repE0EEENS1_30default_config_static_selectorELNS0_4arch9wavefront6targetE1EEEvT1_.private_seg_size, 0
	.set _ZN7rocprim17ROCPRIM_400000_NS6detail17trampoline_kernelINS0_14default_configENS1_25partition_config_selectorILNS1_17partition_subalgoE5ElNS0_10empty_typeEbEEZZNS1_14partition_implILS5_5ELb0ES3_mN6hipcub16HIPCUB_304000_NS21CountingInputIteratorIllEEPS6_NSA_22TransformInputIteratorIb7NonZeroIfEPflEENS0_5tupleIJPlS6_EEENSJ_IJSD_SD_EEES6_SK_JS6_EEE10hipError_tPvRmT3_T4_T5_T6_T7_T9_mT8_P12ihipStream_tbDpT10_ENKUlT_T0_E_clISt17integral_constantIbLb1EES16_EEDaS11_S12_EUlS11_E_NS1_11comp_targetILNS1_3genE10ELNS1_11target_archE1200ELNS1_3gpuE4ELNS1_3repE0EEENS1_30default_config_static_selectorELNS0_4arch9wavefront6targetE1EEEvT1_.uses_vcc, 0
	.set _ZN7rocprim17ROCPRIM_400000_NS6detail17trampoline_kernelINS0_14default_configENS1_25partition_config_selectorILNS1_17partition_subalgoE5ElNS0_10empty_typeEbEEZZNS1_14partition_implILS5_5ELb0ES3_mN6hipcub16HIPCUB_304000_NS21CountingInputIteratorIllEEPS6_NSA_22TransformInputIteratorIb7NonZeroIfEPflEENS0_5tupleIJPlS6_EEENSJ_IJSD_SD_EEES6_SK_JS6_EEE10hipError_tPvRmT3_T4_T5_T6_T7_T9_mT8_P12ihipStream_tbDpT10_ENKUlT_T0_E_clISt17integral_constantIbLb1EES16_EEDaS11_S12_EUlS11_E_NS1_11comp_targetILNS1_3genE10ELNS1_11target_archE1200ELNS1_3gpuE4ELNS1_3repE0EEENS1_30default_config_static_selectorELNS0_4arch9wavefront6targetE1EEEvT1_.uses_flat_scratch, 0
	.set _ZN7rocprim17ROCPRIM_400000_NS6detail17trampoline_kernelINS0_14default_configENS1_25partition_config_selectorILNS1_17partition_subalgoE5ElNS0_10empty_typeEbEEZZNS1_14partition_implILS5_5ELb0ES3_mN6hipcub16HIPCUB_304000_NS21CountingInputIteratorIllEEPS6_NSA_22TransformInputIteratorIb7NonZeroIfEPflEENS0_5tupleIJPlS6_EEENSJ_IJSD_SD_EEES6_SK_JS6_EEE10hipError_tPvRmT3_T4_T5_T6_T7_T9_mT8_P12ihipStream_tbDpT10_ENKUlT_T0_E_clISt17integral_constantIbLb1EES16_EEDaS11_S12_EUlS11_E_NS1_11comp_targetILNS1_3genE10ELNS1_11target_archE1200ELNS1_3gpuE4ELNS1_3repE0EEENS1_30default_config_static_selectorELNS0_4arch9wavefront6targetE1EEEvT1_.has_dyn_sized_stack, 0
	.set _ZN7rocprim17ROCPRIM_400000_NS6detail17trampoline_kernelINS0_14default_configENS1_25partition_config_selectorILNS1_17partition_subalgoE5ElNS0_10empty_typeEbEEZZNS1_14partition_implILS5_5ELb0ES3_mN6hipcub16HIPCUB_304000_NS21CountingInputIteratorIllEEPS6_NSA_22TransformInputIteratorIb7NonZeroIfEPflEENS0_5tupleIJPlS6_EEENSJ_IJSD_SD_EEES6_SK_JS6_EEE10hipError_tPvRmT3_T4_T5_T6_T7_T9_mT8_P12ihipStream_tbDpT10_ENKUlT_T0_E_clISt17integral_constantIbLb1EES16_EEDaS11_S12_EUlS11_E_NS1_11comp_targetILNS1_3genE10ELNS1_11target_archE1200ELNS1_3gpuE4ELNS1_3repE0EEENS1_30default_config_static_selectorELNS0_4arch9wavefront6targetE1EEEvT1_.has_recursion, 0
	.set _ZN7rocprim17ROCPRIM_400000_NS6detail17trampoline_kernelINS0_14default_configENS1_25partition_config_selectorILNS1_17partition_subalgoE5ElNS0_10empty_typeEbEEZZNS1_14partition_implILS5_5ELb0ES3_mN6hipcub16HIPCUB_304000_NS21CountingInputIteratorIllEEPS6_NSA_22TransformInputIteratorIb7NonZeroIfEPflEENS0_5tupleIJPlS6_EEENSJ_IJSD_SD_EEES6_SK_JS6_EEE10hipError_tPvRmT3_T4_T5_T6_T7_T9_mT8_P12ihipStream_tbDpT10_ENKUlT_T0_E_clISt17integral_constantIbLb1EES16_EEDaS11_S12_EUlS11_E_NS1_11comp_targetILNS1_3genE10ELNS1_11target_archE1200ELNS1_3gpuE4ELNS1_3repE0EEENS1_30default_config_static_selectorELNS0_4arch9wavefront6targetE1EEEvT1_.has_indirect_call, 0
	.section	.AMDGPU.csdata,"",@progbits
; Kernel info:
; codeLenInByte = 0
; TotalNumSgprs: 4
; NumVgprs: 0
; ScratchSize: 0
; MemoryBound: 0
; FloatMode: 240
; IeeeMode: 1
; LDSByteSize: 0 bytes/workgroup (compile time only)
; SGPRBlocks: 0
; VGPRBlocks: 0
; NumSGPRsForWavesPerEU: 4
; NumVGPRsForWavesPerEU: 1
; Occupancy: 10
; WaveLimiterHint : 0
; COMPUTE_PGM_RSRC2:SCRATCH_EN: 0
; COMPUTE_PGM_RSRC2:USER_SGPR: 6
; COMPUTE_PGM_RSRC2:TRAP_HANDLER: 0
; COMPUTE_PGM_RSRC2:TGID_X_EN: 1
; COMPUTE_PGM_RSRC2:TGID_Y_EN: 0
; COMPUTE_PGM_RSRC2:TGID_Z_EN: 0
; COMPUTE_PGM_RSRC2:TIDIG_COMP_CNT: 0
	.section	.text._ZN7rocprim17ROCPRIM_400000_NS6detail17trampoline_kernelINS0_14default_configENS1_25partition_config_selectorILNS1_17partition_subalgoE5ElNS0_10empty_typeEbEEZZNS1_14partition_implILS5_5ELb0ES3_mN6hipcub16HIPCUB_304000_NS21CountingInputIteratorIllEEPS6_NSA_22TransformInputIteratorIb7NonZeroIfEPflEENS0_5tupleIJPlS6_EEENSJ_IJSD_SD_EEES6_SK_JS6_EEE10hipError_tPvRmT3_T4_T5_T6_T7_T9_mT8_P12ihipStream_tbDpT10_ENKUlT_T0_E_clISt17integral_constantIbLb1EES16_EEDaS11_S12_EUlS11_E_NS1_11comp_targetILNS1_3genE9ELNS1_11target_archE1100ELNS1_3gpuE3ELNS1_3repE0EEENS1_30default_config_static_selectorELNS0_4arch9wavefront6targetE1EEEvT1_,"axG",@progbits,_ZN7rocprim17ROCPRIM_400000_NS6detail17trampoline_kernelINS0_14default_configENS1_25partition_config_selectorILNS1_17partition_subalgoE5ElNS0_10empty_typeEbEEZZNS1_14partition_implILS5_5ELb0ES3_mN6hipcub16HIPCUB_304000_NS21CountingInputIteratorIllEEPS6_NSA_22TransformInputIteratorIb7NonZeroIfEPflEENS0_5tupleIJPlS6_EEENSJ_IJSD_SD_EEES6_SK_JS6_EEE10hipError_tPvRmT3_T4_T5_T6_T7_T9_mT8_P12ihipStream_tbDpT10_ENKUlT_T0_E_clISt17integral_constantIbLb1EES16_EEDaS11_S12_EUlS11_E_NS1_11comp_targetILNS1_3genE9ELNS1_11target_archE1100ELNS1_3gpuE3ELNS1_3repE0EEENS1_30default_config_static_selectorELNS0_4arch9wavefront6targetE1EEEvT1_,comdat
	.protected	_ZN7rocprim17ROCPRIM_400000_NS6detail17trampoline_kernelINS0_14default_configENS1_25partition_config_selectorILNS1_17partition_subalgoE5ElNS0_10empty_typeEbEEZZNS1_14partition_implILS5_5ELb0ES3_mN6hipcub16HIPCUB_304000_NS21CountingInputIteratorIllEEPS6_NSA_22TransformInputIteratorIb7NonZeroIfEPflEENS0_5tupleIJPlS6_EEENSJ_IJSD_SD_EEES6_SK_JS6_EEE10hipError_tPvRmT3_T4_T5_T6_T7_T9_mT8_P12ihipStream_tbDpT10_ENKUlT_T0_E_clISt17integral_constantIbLb1EES16_EEDaS11_S12_EUlS11_E_NS1_11comp_targetILNS1_3genE9ELNS1_11target_archE1100ELNS1_3gpuE3ELNS1_3repE0EEENS1_30default_config_static_selectorELNS0_4arch9wavefront6targetE1EEEvT1_ ; -- Begin function _ZN7rocprim17ROCPRIM_400000_NS6detail17trampoline_kernelINS0_14default_configENS1_25partition_config_selectorILNS1_17partition_subalgoE5ElNS0_10empty_typeEbEEZZNS1_14partition_implILS5_5ELb0ES3_mN6hipcub16HIPCUB_304000_NS21CountingInputIteratorIllEEPS6_NSA_22TransformInputIteratorIb7NonZeroIfEPflEENS0_5tupleIJPlS6_EEENSJ_IJSD_SD_EEES6_SK_JS6_EEE10hipError_tPvRmT3_T4_T5_T6_T7_T9_mT8_P12ihipStream_tbDpT10_ENKUlT_T0_E_clISt17integral_constantIbLb1EES16_EEDaS11_S12_EUlS11_E_NS1_11comp_targetILNS1_3genE9ELNS1_11target_archE1100ELNS1_3gpuE3ELNS1_3repE0EEENS1_30default_config_static_selectorELNS0_4arch9wavefront6targetE1EEEvT1_
	.globl	_ZN7rocprim17ROCPRIM_400000_NS6detail17trampoline_kernelINS0_14default_configENS1_25partition_config_selectorILNS1_17partition_subalgoE5ElNS0_10empty_typeEbEEZZNS1_14partition_implILS5_5ELb0ES3_mN6hipcub16HIPCUB_304000_NS21CountingInputIteratorIllEEPS6_NSA_22TransformInputIteratorIb7NonZeroIfEPflEENS0_5tupleIJPlS6_EEENSJ_IJSD_SD_EEES6_SK_JS6_EEE10hipError_tPvRmT3_T4_T5_T6_T7_T9_mT8_P12ihipStream_tbDpT10_ENKUlT_T0_E_clISt17integral_constantIbLb1EES16_EEDaS11_S12_EUlS11_E_NS1_11comp_targetILNS1_3genE9ELNS1_11target_archE1100ELNS1_3gpuE3ELNS1_3repE0EEENS1_30default_config_static_selectorELNS0_4arch9wavefront6targetE1EEEvT1_
	.p2align	8
	.type	_ZN7rocprim17ROCPRIM_400000_NS6detail17trampoline_kernelINS0_14default_configENS1_25partition_config_selectorILNS1_17partition_subalgoE5ElNS0_10empty_typeEbEEZZNS1_14partition_implILS5_5ELb0ES3_mN6hipcub16HIPCUB_304000_NS21CountingInputIteratorIllEEPS6_NSA_22TransformInputIteratorIb7NonZeroIfEPflEENS0_5tupleIJPlS6_EEENSJ_IJSD_SD_EEES6_SK_JS6_EEE10hipError_tPvRmT3_T4_T5_T6_T7_T9_mT8_P12ihipStream_tbDpT10_ENKUlT_T0_E_clISt17integral_constantIbLb1EES16_EEDaS11_S12_EUlS11_E_NS1_11comp_targetILNS1_3genE9ELNS1_11target_archE1100ELNS1_3gpuE3ELNS1_3repE0EEENS1_30default_config_static_selectorELNS0_4arch9wavefront6targetE1EEEvT1_,@function
_ZN7rocprim17ROCPRIM_400000_NS6detail17trampoline_kernelINS0_14default_configENS1_25partition_config_selectorILNS1_17partition_subalgoE5ElNS0_10empty_typeEbEEZZNS1_14partition_implILS5_5ELb0ES3_mN6hipcub16HIPCUB_304000_NS21CountingInputIteratorIllEEPS6_NSA_22TransformInputIteratorIb7NonZeroIfEPflEENS0_5tupleIJPlS6_EEENSJ_IJSD_SD_EEES6_SK_JS6_EEE10hipError_tPvRmT3_T4_T5_T6_T7_T9_mT8_P12ihipStream_tbDpT10_ENKUlT_T0_E_clISt17integral_constantIbLb1EES16_EEDaS11_S12_EUlS11_E_NS1_11comp_targetILNS1_3genE9ELNS1_11target_archE1100ELNS1_3gpuE3ELNS1_3repE0EEENS1_30default_config_static_selectorELNS0_4arch9wavefront6targetE1EEEvT1_: ; @_ZN7rocprim17ROCPRIM_400000_NS6detail17trampoline_kernelINS0_14default_configENS1_25partition_config_selectorILNS1_17partition_subalgoE5ElNS0_10empty_typeEbEEZZNS1_14partition_implILS5_5ELb0ES3_mN6hipcub16HIPCUB_304000_NS21CountingInputIteratorIllEEPS6_NSA_22TransformInputIteratorIb7NonZeroIfEPflEENS0_5tupleIJPlS6_EEENSJ_IJSD_SD_EEES6_SK_JS6_EEE10hipError_tPvRmT3_T4_T5_T6_T7_T9_mT8_P12ihipStream_tbDpT10_ENKUlT_T0_E_clISt17integral_constantIbLb1EES16_EEDaS11_S12_EUlS11_E_NS1_11comp_targetILNS1_3genE9ELNS1_11target_archE1100ELNS1_3gpuE3ELNS1_3repE0EEENS1_30default_config_static_selectorELNS0_4arch9wavefront6targetE1EEEvT1_
; %bb.0:
	.section	.rodata,"a",@progbits
	.p2align	6, 0x0
	.amdhsa_kernel _ZN7rocprim17ROCPRIM_400000_NS6detail17trampoline_kernelINS0_14default_configENS1_25partition_config_selectorILNS1_17partition_subalgoE5ElNS0_10empty_typeEbEEZZNS1_14partition_implILS5_5ELb0ES3_mN6hipcub16HIPCUB_304000_NS21CountingInputIteratorIllEEPS6_NSA_22TransformInputIteratorIb7NonZeroIfEPflEENS0_5tupleIJPlS6_EEENSJ_IJSD_SD_EEES6_SK_JS6_EEE10hipError_tPvRmT3_T4_T5_T6_T7_T9_mT8_P12ihipStream_tbDpT10_ENKUlT_T0_E_clISt17integral_constantIbLb1EES16_EEDaS11_S12_EUlS11_E_NS1_11comp_targetILNS1_3genE9ELNS1_11target_archE1100ELNS1_3gpuE3ELNS1_3repE0EEENS1_30default_config_static_selectorELNS0_4arch9wavefront6targetE1EEEvT1_
		.amdhsa_group_segment_fixed_size 0
		.amdhsa_private_segment_fixed_size 0
		.amdhsa_kernarg_size 136
		.amdhsa_user_sgpr_count 6
		.amdhsa_user_sgpr_private_segment_buffer 1
		.amdhsa_user_sgpr_dispatch_ptr 0
		.amdhsa_user_sgpr_queue_ptr 0
		.amdhsa_user_sgpr_kernarg_segment_ptr 1
		.amdhsa_user_sgpr_dispatch_id 0
		.amdhsa_user_sgpr_flat_scratch_init 0
		.amdhsa_user_sgpr_private_segment_size 0
		.amdhsa_uses_dynamic_stack 0
		.amdhsa_system_sgpr_private_segment_wavefront_offset 0
		.amdhsa_system_sgpr_workgroup_id_x 1
		.amdhsa_system_sgpr_workgroup_id_y 0
		.amdhsa_system_sgpr_workgroup_id_z 0
		.amdhsa_system_sgpr_workgroup_info 0
		.amdhsa_system_vgpr_workitem_id 0
		.amdhsa_next_free_vgpr 1
		.amdhsa_next_free_sgpr 0
		.amdhsa_reserve_vcc 0
		.amdhsa_reserve_flat_scratch 0
		.amdhsa_float_round_mode_32 0
		.amdhsa_float_round_mode_16_64 0
		.amdhsa_float_denorm_mode_32 3
		.amdhsa_float_denorm_mode_16_64 3
		.amdhsa_dx10_clamp 1
		.amdhsa_ieee_mode 1
		.amdhsa_fp16_overflow 0
		.amdhsa_exception_fp_ieee_invalid_op 0
		.amdhsa_exception_fp_denorm_src 0
		.amdhsa_exception_fp_ieee_div_zero 0
		.amdhsa_exception_fp_ieee_overflow 0
		.amdhsa_exception_fp_ieee_underflow 0
		.amdhsa_exception_fp_ieee_inexact 0
		.amdhsa_exception_int_div_zero 0
	.end_amdhsa_kernel
	.section	.text._ZN7rocprim17ROCPRIM_400000_NS6detail17trampoline_kernelINS0_14default_configENS1_25partition_config_selectorILNS1_17partition_subalgoE5ElNS0_10empty_typeEbEEZZNS1_14partition_implILS5_5ELb0ES3_mN6hipcub16HIPCUB_304000_NS21CountingInputIteratorIllEEPS6_NSA_22TransformInputIteratorIb7NonZeroIfEPflEENS0_5tupleIJPlS6_EEENSJ_IJSD_SD_EEES6_SK_JS6_EEE10hipError_tPvRmT3_T4_T5_T6_T7_T9_mT8_P12ihipStream_tbDpT10_ENKUlT_T0_E_clISt17integral_constantIbLb1EES16_EEDaS11_S12_EUlS11_E_NS1_11comp_targetILNS1_3genE9ELNS1_11target_archE1100ELNS1_3gpuE3ELNS1_3repE0EEENS1_30default_config_static_selectorELNS0_4arch9wavefront6targetE1EEEvT1_,"axG",@progbits,_ZN7rocprim17ROCPRIM_400000_NS6detail17trampoline_kernelINS0_14default_configENS1_25partition_config_selectorILNS1_17partition_subalgoE5ElNS0_10empty_typeEbEEZZNS1_14partition_implILS5_5ELb0ES3_mN6hipcub16HIPCUB_304000_NS21CountingInputIteratorIllEEPS6_NSA_22TransformInputIteratorIb7NonZeroIfEPflEENS0_5tupleIJPlS6_EEENSJ_IJSD_SD_EEES6_SK_JS6_EEE10hipError_tPvRmT3_T4_T5_T6_T7_T9_mT8_P12ihipStream_tbDpT10_ENKUlT_T0_E_clISt17integral_constantIbLb1EES16_EEDaS11_S12_EUlS11_E_NS1_11comp_targetILNS1_3genE9ELNS1_11target_archE1100ELNS1_3gpuE3ELNS1_3repE0EEENS1_30default_config_static_selectorELNS0_4arch9wavefront6targetE1EEEvT1_,comdat
.Lfunc_end267:
	.size	_ZN7rocprim17ROCPRIM_400000_NS6detail17trampoline_kernelINS0_14default_configENS1_25partition_config_selectorILNS1_17partition_subalgoE5ElNS0_10empty_typeEbEEZZNS1_14partition_implILS5_5ELb0ES3_mN6hipcub16HIPCUB_304000_NS21CountingInputIteratorIllEEPS6_NSA_22TransformInputIteratorIb7NonZeroIfEPflEENS0_5tupleIJPlS6_EEENSJ_IJSD_SD_EEES6_SK_JS6_EEE10hipError_tPvRmT3_T4_T5_T6_T7_T9_mT8_P12ihipStream_tbDpT10_ENKUlT_T0_E_clISt17integral_constantIbLb1EES16_EEDaS11_S12_EUlS11_E_NS1_11comp_targetILNS1_3genE9ELNS1_11target_archE1100ELNS1_3gpuE3ELNS1_3repE0EEENS1_30default_config_static_selectorELNS0_4arch9wavefront6targetE1EEEvT1_, .Lfunc_end267-_ZN7rocprim17ROCPRIM_400000_NS6detail17trampoline_kernelINS0_14default_configENS1_25partition_config_selectorILNS1_17partition_subalgoE5ElNS0_10empty_typeEbEEZZNS1_14partition_implILS5_5ELb0ES3_mN6hipcub16HIPCUB_304000_NS21CountingInputIteratorIllEEPS6_NSA_22TransformInputIteratorIb7NonZeroIfEPflEENS0_5tupleIJPlS6_EEENSJ_IJSD_SD_EEES6_SK_JS6_EEE10hipError_tPvRmT3_T4_T5_T6_T7_T9_mT8_P12ihipStream_tbDpT10_ENKUlT_T0_E_clISt17integral_constantIbLb1EES16_EEDaS11_S12_EUlS11_E_NS1_11comp_targetILNS1_3genE9ELNS1_11target_archE1100ELNS1_3gpuE3ELNS1_3repE0EEENS1_30default_config_static_selectorELNS0_4arch9wavefront6targetE1EEEvT1_
                                        ; -- End function
	.set _ZN7rocprim17ROCPRIM_400000_NS6detail17trampoline_kernelINS0_14default_configENS1_25partition_config_selectorILNS1_17partition_subalgoE5ElNS0_10empty_typeEbEEZZNS1_14partition_implILS5_5ELb0ES3_mN6hipcub16HIPCUB_304000_NS21CountingInputIteratorIllEEPS6_NSA_22TransformInputIteratorIb7NonZeroIfEPflEENS0_5tupleIJPlS6_EEENSJ_IJSD_SD_EEES6_SK_JS6_EEE10hipError_tPvRmT3_T4_T5_T6_T7_T9_mT8_P12ihipStream_tbDpT10_ENKUlT_T0_E_clISt17integral_constantIbLb1EES16_EEDaS11_S12_EUlS11_E_NS1_11comp_targetILNS1_3genE9ELNS1_11target_archE1100ELNS1_3gpuE3ELNS1_3repE0EEENS1_30default_config_static_selectorELNS0_4arch9wavefront6targetE1EEEvT1_.num_vgpr, 0
	.set _ZN7rocprim17ROCPRIM_400000_NS6detail17trampoline_kernelINS0_14default_configENS1_25partition_config_selectorILNS1_17partition_subalgoE5ElNS0_10empty_typeEbEEZZNS1_14partition_implILS5_5ELb0ES3_mN6hipcub16HIPCUB_304000_NS21CountingInputIteratorIllEEPS6_NSA_22TransformInputIteratorIb7NonZeroIfEPflEENS0_5tupleIJPlS6_EEENSJ_IJSD_SD_EEES6_SK_JS6_EEE10hipError_tPvRmT3_T4_T5_T6_T7_T9_mT8_P12ihipStream_tbDpT10_ENKUlT_T0_E_clISt17integral_constantIbLb1EES16_EEDaS11_S12_EUlS11_E_NS1_11comp_targetILNS1_3genE9ELNS1_11target_archE1100ELNS1_3gpuE3ELNS1_3repE0EEENS1_30default_config_static_selectorELNS0_4arch9wavefront6targetE1EEEvT1_.num_agpr, 0
	.set _ZN7rocprim17ROCPRIM_400000_NS6detail17trampoline_kernelINS0_14default_configENS1_25partition_config_selectorILNS1_17partition_subalgoE5ElNS0_10empty_typeEbEEZZNS1_14partition_implILS5_5ELb0ES3_mN6hipcub16HIPCUB_304000_NS21CountingInputIteratorIllEEPS6_NSA_22TransformInputIteratorIb7NonZeroIfEPflEENS0_5tupleIJPlS6_EEENSJ_IJSD_SD_EEES6_SK_JS6_EEE10hipError_tPvRmT3_T4_T5_T6_T7_T9_mT8_P12ihipStream_tbDpT10_ENKUlT_T0_E_clISt17integral_constantIbLb1EES16_EEDaS11_S12_EUlS11_E_NS1_11comp_targetILNS1_3genE9ELNS1_11target_archE1100ELNS1_3gpuE3ELNS1_3repE0EEENS1_30default_config_static_selectorELNS0_4arch9wavefront6targetE1EEEvT1_.numbered_sgpr, 0
	.set _ZN7rocprim17ROCPRIM_400000_NS6detail17trampoline_kernelINS0_14default_configENS1_25partition_config_selectorILNS1_17partition_subalgoE5ElNS0_10empty_typeEbEEZZNS1_14partition_implILS5_5ELb0ES3_mN6hipcub16HIPCUB_304000_NS21CountingInputIteratorIllEEPS6_NSA_22TransformInputIteratorIb7NonZeroIfEPflEENS0_5tupleIJPlS6_EEENSJ_IJSD_SD_EEES6_SK_JS6_EEE10hipError_tPvRmT3_T4_T5_T6_T7_T9_mT8_P12ihipStream_tbDpT10_ENKUlT_T0_E_clISt17integral_constantIbLb1EES16_EEDaS11_S12_EUlS11_E_NS1_11comp_targetILNS1_3genE9ELNS1_11target_archE1100ELNS1_3gpuE3ELNS1_3repE0EEENS1_30default_config_static_selectorELNS0_4arch9wavefront6targetE1EEEvT1_.num_named_barrier, 0
	.set _ZN7rocprim17ROCPRIM_400000_NS6detail17trampoline_kernelINS0_14default_configENS1_25partition_config_selectorILNS1_17partition_subalgoE5ElNS0_10empty_typeEbEEZZNS1_14partition_implILS5_5ELb0ES3_mN6hipcub16HIPCUB_304000_NS21CountingInputIteratorIllEEPS6_NSA_22TransformInputIteratorIb7NonZeroIfEPflEENS0_5tupleIJPlS6_EEENSJ_IJSD_SD_EEES6_SK_JS6_EEE10hipError_tPvRmT3_T4_T5_T6_T7_T9_mT8_P12ihipStream_tbDpT10_ENKUlT_T0_E_clISt17integral_constantIbLb1EES16_EEDaS11_S12_EUlS11_E_NS1_11comp_targetILNS1_3genE9ELNS1_11target_archE1100ELNS1_3gpuE3ELNS1_3repE0EEENS1_30default_config_static_selectorELNS0_4arch9wavefront6targetE1EEEvT1_.private_seg_size, 0
	.set _ZN7rocprim17ROCPRIM_400000_NS6detail17trampoline_kernelINS0_14default_configENS1_25partition_config_selectorILNS1_17partition_subalgoE5ElNS0_10empty_typeEbEEZZNS1_14partition_implILS5_5ELb0ES3_mN6hipcub16HIPCUB_304000_NS21CountingInputIteratorIllEEPS6_NSA_22TransformInputIteratorIb7NonZeroIfEPflEENS0_5tupleIJPlS6_EEENSJ_IJSD_SD_EEES6_SK_JS6_EEE10hipError_tPvRmT3_T4_T5_T6_T7_T9_mT8_P12ihipStream_tbDpT10_ENKUlT_T0_E_clISt17integral_constantIbLb1EES16_EEDaS11_S12_EUlS11_E_NS1_11comp_targetILNS1_3genE9ELNS1_11target_archE1100ELNS1_3gpuE3ELNS1_3repE0EEENS1_30default_config_static_selectorELNS0_4arch9wavefront6targetE1EEEvT1_.uses_vcc, 0
	.set _ZN7rocprim17ROCPRIM_400000_NS6detail17trampoline_kernelINS0_14default_configENS1_25partition_config_selectorILNS1_17partition_subalgoE5ElNS0_10empty_typeEbEEZZNS1_14partition_implILS5_5ELb0ES3_mN6hipcub16HIPCUB_304000_NS21CountingInputIteratorIllEEPS6_NSA_22TransformInputIteratorIb7NonZeroIfEPflEENS0_5tupleIJPlS6_EEENSJ_IJSD_SD_EEES6_SK_JS6_EEE10hipError_tPvRmT3_T4_T5_T6_T7_T9_mT8_P12ihipStream_tbDpT10_ENKUlT_T0_E_clISt17integral_constantIbLb1EES16_EEDaS11_S12_EUlS11_E_NS1_11comp_targetILNS1_3genE9ELNS1_11target_archE1100ELNS1_3gpuE3ELNS1_3repE0EEENS1_30default_config_static_selectorELNS0_4arch9wavefront6targetE1EEEvT1_.uses_flat_scratch, 0
	.set _ZN7rocprim17ROCPRIM_400000_NS6detail17trampoline_kernelINS0_14default_configENS1_25partition_config_selectorILNS1_17partition_subalgoE5ElNS0_10empty_typeEbEEZZNS1_14partition_implILS5_5ELb0ES3_mN6hipcub16HIPCUB_304000_NS21CountingInputIteratorIllEEPS6_NSA_22TransformInputIteratorIb7NonZeroIfEPflEENS0_5tupleIJPlS6_EEENSJ_IJSD_SD_EEES6_SK_JS6_EEE10hipError_tPvRmT3_T4_T5_T6_T7_T9_mT8_P12ihipStream_tbDpT10_ENKUlT_T0_E_clISt17integral_constantIbLb1EES16_EEDaS11_S12_EUlS11_E_NS1_11comp_targetILNS1_3genE9ELNS1_11target_archE1100ELNS1_3gpuE3ELNS1_3repE0EEENS1_30default_config_static_selectorELNS0_4arch9wavefront6targetE1EEEvT1_.has_dyn_sized_stack, 0
	.set _ZN7rocprim17ROCPRIM_400000_NS6detail17trampoline_kernelINS0_14default_configENS1_25partition_config_selectorILNS1_17partition_subalgoE5ElNS0_10empty_typeEbEEZZNS1_14partition_implILS5_5ELb0ES3_mN6hipcub16HIPCUB_304000_NS21CountingInputIteratorIllEEPS6_NSA_22TransformInputIteratorIb7NonZeroIfEPflEENS0_5tupleIJPlS6_EEENSJ_IJSD_SD_EEES6_SK_JS6_EEE10hipError_tPvRmT3_T4_T5_T6_T7_T9_mT8_P12ihipStream_tbDpT10_ENKUlT_T0_E_clISt17integral_constantIbLb1EES16_EEDaS11_S12_EUlS11_E_NS1_11comp_targetILNS1_3genE9ELNS1_11target_archE1100ELNS1_3gpuE3ELNS1_3repE0EEENS1_30default_config_static_selectorELNS0_4arch9wavefront6targetE1EEEvT1_.has_recursion, 0
	.set _ZN7rocprim17ROCPRIM_400000_NS6detail17trampoline_kernelINS0_14default_configENS1_25partition_config_selectorILNS1_17partition_subalgoE5ElNS0_10empty_typeEbEEZZNS1_14partition_implILS5_5ELb0ES3_mN6hipcub16HIPCUB_304000_NS21CountingInputIteratorIllEEPS6_NSA_22TransformInputIteratorIb7NonZeroIfEPflEENS0_5tupleIJPlS6_EEENSJ_IJSD_SD_EEES6_SK_JS6_EEE10hipError_tPvRmT3_T4_T5_T6_T7_T9_mT8_P12ihipStream_tbDpT10_ENKUlT_T0_E_clISt17integral_constantIbLb1EES16_EEDaS11_S12_EUlS11_E_NS1_11comp_targetILNS1_3genE9ELNS1_11target_archE1100ELNS1_3gpuE3ELNS1_3repE0EEENS1_30default_config_static_selectorELNS0_4arch9wavefront6targetE1EEEvT1_.has_indirect_call, 0
	.section	.AMDGPU.csdata,"",@progbits
; Kernel info:
; codeLenInByte = 0
; TotalNumSgprs: 4
; NumVgprs: 0
; ScratchSize: 0
; MemoryBound: 0
; FloatMode: 240
; IeeeMode: 1
; LDSByteSize: 0 bytes/workgroup (compile time only)
; SGPRBlocks: 0
; VGPRBlocks: 0
; NumSGPRsForWavesPerEU: 4
; NumVGPRsForWavesPerEU: 1
; Occupancy: 10
; WaveLimiterHint : 0
; COMPUTE_PGM_RSRC2:SCRATCH_EN: 0
; COMPUTE_PGM_RSRC2:USER_SGPR: 6
; COMPUTE_PGM_RSRC2:TRAP_HANDLER: 0
; COMPUTE_PGM_RSRC2:TGID_X_EN: 1
; COMPUTE_PGM_RSRC2:TGID_Y_EN: 0
; COMPUTE_PGM_RSRC2:TGID_Z_EN: 0
; COMPUTE_PGM_RSRC2:TIDIG_COMP_CNT: 0
	.section	.text._ZN7rocprim17ROCPRIM_400000_NS6detail17trampoline_kernelINS0_14default_configENS1_25partition_config_selectorILNS1_17partition_subalgoE5ElNS0_10empty_typeEbEEZZNS1_14partition_implILS5_5ELb0ES3_mN6hipcub16HIPCUB_304000_NS21CountingInputIteratorIllEEPS6_NSA_22TransformInputIteratorIb7NonZeroIfEPflEENS0_5tupleIJPlS6_EEENSJ_IJSD_SD_EEES6_SK_JS6_EEE10hipError_tPvRmT3_T4_T5_T6_T7_T9_mT8_P12ihipStream_tbDpT10_ENKUlT_T0_E_clISt17integral_constantIbLb1EES16_EEDaS11_S12_EUlS11_E_NS1_11comp_targetILNS1_3genE8ELNS1_11target_archE1030ELNS1_3gpuE2ELNS1_3repE0EEENS1_30default_config_static_selectorELNS0_4arch9wavefront6targetE1EEEvT1_,"axG",@progbits,_ZN7rocprim17ROCPRIM_400000_NS6detail17trampoline_kernelINS0_14default_configENS1_25partition_config_selectorILNS1_17partition_subalgoE5ElNS0_10empty_typeEbEEZZNS1_14partition_implILS5_5ELb0ES3_mN6hipcub16HIPCUB_304000_NS21CountingInputIteratorIllEEPS6_NSA_22TransformInputIteratorIb7NonZeroIfEPflEENS0_5tupleIJPlS6_EEENSJ_IJSD_SD_EEES6_SK_JS6_EEE10hipError_tPvRmT3_T4_T5_T6_T7_T9_mT8_P12ihipStream_tbDpT10_ENKUlT_T0_E_clISt17integral_constantIbLb1EES16_EEDaS11_S12_EUlS11_E_NS1_11comp_targetILNS1_3genE8ELNS1_11target_archE1030ELNS1_3gpuE2ELNS1_3repE0EEENS1_30default_config_static_selectorELNS0_4arch9wavefront6targetE1EEEvT1_,comdat
	.protected	_ZN7rocprim17ROCPRIM_400000_NS6detail17trampoline_kernelINS0_14default_configENS1_25partition_config_selectorILNS1_17partition_subalgoE5ElNS0_10empty_typeEbEEZZNS1_14partition_implILS5_5ELb0ES3_mN6hipcub16HIPCUB_304000_NS21CountingInputIteratorIllEEPS6_NSA_22TransformInputIteratorIb7NonZeroIfEPflEENS0_5tupleIJPlS6_EEENSJ_IJSD_SD_EEES6_SK_JS6_EEE10hipError_tPvRmT3_T4_T5_T6_T7_T9_mT8_P12ihipStream_tbDpT10_ENKUlT_T0_E_clISt17integral_constantIbLb1EES16_EEDaS11_S12_EUlS11_E_NS1_11comp_targetILNS1_3genE8ELNS1_11target_archE1030ELNS1_3gpuE2ELNS1_3repE0EEENS1_30default_config_static_selectorELNS0_4arch9wavefront6targetE1EEEvT1_ ; -- Begin function _ZN7rocprim17ROCPRIM_400000_NS6detail17trampoline_kernelINS0_14default_configENS1_25partition_config_selectorILNS1_17partition_subalgoE5ElNS0_10empty_typeEbEEZZNS1_14partition_implILS5_5ELb0ES3_mN6hipcub16HIPCUB_304000_NS21CountingInputIteratorIllEEPS6_NSA_22TransformInputIteratorIb7NonZeroIfEPflEENS0_5tupleIJPlS6_EEENSJ_IJSD_SD_EEES6_SK_JS6_EEE10hipError_tPvRmT3_T4_T5_T6_T7_T9_mT8_P12ihipStream_tbDpT10_ENKUlT_T0_E_clISt17integral_constantIbLb1EES16_EEDaS11_S12_EUlS11_E_NS1_11comp_targetILNS1_3genE8ELNS1_11target_archE1030ELNS1_3gpuE2ELNS1_3repE0EEENS1_30default_config_static_selectorELNS0_4arch9wavefront6targetE1EEEvT1_
	.globl	_ZN7rocprim17ROCPRIM_400000_NS6detail17trampoline_kernelINS0_14default_configENS1_25partition_config_selectorILNS1_17partition_subalgoE5ElNS0_10empty_typeEbEEZZNS1_14partition_implILS5_5ELb0ES3_mN6hipcub16HIPCUB_304000_NS21CountingInputIteratorIllEEPS6_NSA_22TransformInputIteratorIb7NonZeroIfEPflEENS0_5tupleIJPlS6_EEENSJ_IJSD_SD_EEES6_SK_JS6_EEE10hipError_tPvRmT3_T4_T5_T6_T7_T9_mT8_P12ihipStream_tbDpT10_ENKUlT_T0_E_clISt17integral_constantIbLb1EES16_EEDaS11_S12_EUlS11_E_NS1_11comp_targetILNS1_3genE8ELNS1_11target_archE1030ELNS1_3gpuE2ELNS1_3repE0EEENS1_30default_config_static_selectorELNS0_4arch9wavefront6targetE1EEEvT1_
	.p2align	8
	.type	_ZN7rocprim17ROCPRIM_400000_NS6detail17trampoline_kernelINS0_14default_configENS1_25partition_config_selectorILNS1_17partition_subalgoE5ElNS0_10empty_typeEbEEZZNS1_14partition_implILS5_5ELb0ES3_mN6hipcub16HIPCUB_304000_NS21CountingInputIteratorIllEEPS6_NSA_22TransformInputIteratorIb7NonZeroIfEPflEENS0_5tupleIJPlS6_EEENSJ_IJSD_SD_EEES6_SK_JS6_EEE10hipError_tPvRmT3_T4_T5_T6_T7_T9_mT8_P12ihipStream_tbDpT10_ENKUlT_T0_E_clISt17integral_constantIbLb1EES16_EEDaS11_S12_EUlS11_E_NS1_11comp_targetILNS1_3genE8ELNS1_11target_archE1030ELNS1_3gpuE2ELNS1_3repE0EEENS1_30default_config_static_selectorELNS0_4arch9wavefront6targetE1EEEvT1_,@function
_ZN7rocprim17ROCPRIM_400000_NS6detail17trampoline_kernelINS0_14default_configENS1_25partition_config_selectorILNS1_17partition_subalgoE5ElNS0_10empty_typeEbEEZZNS1_14partition_implILS5_5ELb0ES3_mN6hipcub16HIPCUB_304000_NS21CountingInputIteratorIllEEPS6_NSA_22TransformInputIteratorIb7NonZeroIfEPflEENS0_5tupleIJPlS6_EEENSJ_IJSD_SD_EEES6_SK_JS6_EEE10hipError_tPvRmT3_T4_T5_T6_T7_T9_mT8_P12ihipStream_tbDpT10_ENKUlT_T0_E_clISt17integral_constantIbLb1EES16_EEDaS11_S12_EUlS11_E_NS1_11comp_targetILNS1_3genE8ELNS1_11target_archE1030ELNS1_3gpuE2ELNS1_3repE0EEENS1_30default_config_static_selectorELNS0_4arch9wavefront6targetE1EEEvT1_: ; @_ZN7rocprim17ROCPRIM_400000_NS6detail17trampoline_kernelINS0_14default_configENS1_25partition_config_selectorILNS1_17partition_subalgoE5ElNS0_10empty_typeEbEEZZNS1_14partition_implILS5_5ELb0ES3_mN6hipcub16HIPCUB_304000_NS21CountingInputIteratorIllEEPS6_NSA_22TransformInputIteratorIb7NonZeroIfEPflEENS0_5tupleIJPlS6_EEENSJ_IJSD_SD_EEES6_SK_JS6_EEE10hipError_tPvRmT3_T4_T5_T6_T7_T9_mT8_P12ihipStream_tbDpT10_ENKUlT_T0_E_clISt17integral_constantIbLb1EES16_EEDaS11_S12_EUlS11_E_NS1_11comp_targetILNS1_3genE8ELNS1_11target_archE1030ELNS1_3gpuE2ELNS1_3repE0EEENS1_30default_config_static_selectorELNS0_4arch9wavefront6targetE1EEEvT1_
; %bb.0:
	.section	.rodata,"a",@progbits
	.p2align	6, 0x0
	.amdhsa_kernel _ZN7rocprim17ROCPRIM_400000_NS6detail17trampoline_kernelINS0_14default_configENS1_25partition_config_selectorILNS1_17partition_subalgoE5ElNS0_10empty_typeEbEEZZNS1_14partition_implILS5_5ELb0ES3_mN6hipcub16HIPCUB_304000_NS21CountingInputIteratorIllEEPS6_NSA_22TransformInputIteratorIb7NonZeroIfEPflEENS0_5tupleIJPlS6_EEENSJ_IJSD_SD_EEES6_SK_JS6_EEE10hipError_tPvRmT3_T4_T5_T6_T7_T9_mT8_P12ihipStream_tbDpT10_ENKUlT_T0_E_clISt17integral_constantIbLb1EES16_EEDaS11_S12_EUlS11_E_NS1_11comp_targetILNS1_3genE8ELNS1_11target_archE1030ELNS1_3gpuE2ELNS1_3repE0EEENS1_30default_config_static_selectorELNS0_4arch9wavefront6targetE1EEEvT1_
		.amdhsa_group_segment_fixed_size 0
		.amdhsa_private_segment_fixed_size 0
		.amdhsa_kernarg_size 136
		.amdhsa_user_sgpr_count 6
		.amdhsa_user_sgpr_private_segment_buffer 1
		.amdhsa_user_sgpr_dispatch_ptr 0
		.amdhsa_user_sgpr_queue_ptr 0
		.amdhsa_user_sgpr_kernarg_segment_ptr 1
		.amdhsa_user_sgpr_dispatch_id 0
		.amdhsa_user_sgpr_flat_scratch_init 0
		.amdhsa_user_sgpr_private_segment_size 0
		.amdhsa_uses_dynamic_stack 0
		.amdhsa_system_sgpr_private_segment_wavefront_offset 0
		.amdhsa_system_sgpr_workgroup_id_x 1
		.amdhsa_system_sgpr_workgroup_id_y 0
		.amdhsa_system_sgpr_workgroup_id_z 0
		.amdhsa_system_sgpr_workgroup_info 0
		.amdhsa_system_vgpr_workitem_id 0
		.amdhsa_next_free_vgpr 1
		.amdhsa_next_free_sgpr 0
		.amdhsa_reserve_vcc 0
		.amdhsa_reserve_flat_scratch 0
		.amdhsa_float_round_mode_32 0
		.amdhsa_float_round_mode_16_64 0
		.amdhsa_float_denorm_mode_32 3
		.amdhsa_float_denorm_mode_16_64 3
		.amdhsa_dx10_clamp 1
		.amdhsa_ieee_mode 1
		.amdhsa_fp16_overflow 0
		.amdhsa_exception_fp_ieee_invalid_op 0
		.amdhsa_exception_fp_denorm_src 0
		.amdhsa_exception_fp_ieee_div_zero 0
		.amdhsa_exception_fp_ieee_overflow 0
		.amdhsa_exception_fp_ieee_underflow 0
		.amdhsa_exception_fp_ieee_inexact 0
		.amdhsa_exception_int_div_zero 0
	.end_amdhsa_kernel
	.section	.text._ZN7rocprim17ROCPRIM_400000_NS6detail17trampoline_kernelINS0_14default_configENS1_25partition_config_selectorILNS1_17partition_subalgoE5ElNS0_10empty_typeEbEEZZNS1_14partition_implILS5_5ELb0ES3_mN6hipcub16HIPCUB_304000_NS21CountingInputIteratorIllEEPS6_NSA_22TransformInputIteratorIb7NonZeroIfEPflEENS0_5tupleIJPlS6_EEENSJ_IJSD_SD_EEES6_SK_JS6_EEE10hipError_tPvRmT3_T4_T5_T6_T7_T9_mT8_P12ihipStream_tbDpT10_ENKUlT_T0_E_clISt17integral_constantIbLb1EES16_EEDaS11_S12_EUlS11_E_NS1_11comp_targetILNS1_3genE8ELNS1_11target_archE1030ELNS1_3gpuE2ELNS1_3repE0EEENS1_30default_config_static_selectorELNS0_4arch9wavefront6targetE1EEEvT1_,"axG",@progbits,_ZN7rocprim17ROCPRIM_400000_NS6detail17trampoline_kernelINS0_14default_configENS1_25partition_config_selectorILNS1_17partition_subalgoE5ElNS0_10empty_typeEbEEZZNS1_14partition_implILS5_5ELb0ES3_mN6hipcub16HIPCUB_304000_NS21CountingInputIteratorIllEEPS6_NSA_22TransformInputIteratorIb7NonZeroIfEPflEENS0_5tupleIJPlS6_EEENSJ_IJSD_SD_EEES6_SK_JS6_EEE10hipError_tPvRmT3_T4_T5_T6_T7_T9_mT8_P12ihipStream_tbDpT10_ENKUlT_T0_E_clISt17integral_constantIbLb1EES16_EEDaS11_S12_EUlS11_E_NS1_11comp_targetILNS1_3genE8ELNS1_11target_archE1030ELNS1_3gpuE2ELNS1_3repE0EEENS1_30default_config_static_selectorELNS0_4arch9wavefront6targetE1EEEvT1_,comdat
.Lfunc_end268:
	.size	_ZN7rocprim17ROCPRIM_400000_NS6detail17trampoline_kernelINS0_14default_configENS1_25partition_config_selectorILNS1_17partition_subalgoE5ElNS0_10empty_typeEbEEZZNS1_14partition_implILS5_5ELb0ES3_mN6hipcub16HIPCUB_304000_NS21CountingInputIteratorIllEEPS6_NSA_22TransformInputIteratorIb7NonZeroIfEPflEENS0_5tupleIJPlS6_EEENSJ_IJSD_SD_EEES6_SK_JS6_EEE10hipError_tPvRmT3_T4_T5_T6_T7_T9_mT8_P12ihipStream_tbDpT10_ENKUlT_T0_E_clISt17integral_constantIbLb1EES16_EEDaS11_S12_EUlS11_E_NS1_11comp_targetILNS1_3genE8ELNS1_11target_archE1030ELNS1_3gpuE2ELNS1_3repE0EEENS1_30default_config_static_selectorELNS0_4arch9wavefront6targetE1EEEvT1_, .Lfunc_end268-_ZN7rocprim17ROCPRIM_400000_NS6detail17trampoline_kernelINS0_14default_configENS1_25partition_config_selectorILNS1_17partition_subalgoE5ElNS0_10empty_typeEbEEZZNS1_14partition_implILS5_5ELb0ES3_mN6hipcub16HIPCUB_304000_NS21CountingInputIteratorIllEEPS6_NSA_22TransformInputIteratorIb7NonZeroIfEPflEENS0_5tupleIJPlS6_EEENSJ_IJSD_SD_EEES6_SK_JS6_EEE10hipError_tPvRmT3_T4_T5_T6_T7_T9_mT8_P12ihipStream_tbDpT10_ENKUlT_T0_E_clISt17integral_constantIbLb1EES16_EEDaS11_S12_EUlS11_E_NS1_11comp_targetILNS1_3genE8ELNS1_11target_archE1030ELNS1_3gpuE2ELNS1_3repE0EEENS1_30default_config_static_selectorELNS0_4arch9wavefront6targetE1EEEvT1_
                                        ; -- End function
	.set _ZN7rocprim17ROCPRIM_400000_NS6detail17trampoline_kernelINS0_14default_configENS1_25partition_config_selectorILNS1_17partition_subalgoE5ElNS0_10empty_typeEbEEZZNS1_14partition_implILS5_5ELb0ES3_mN6hipcub16HIPCUB_304000_NS21CountingInputIteratorIllEEPS6_NSA_22TransformInputIteratorIb7NonZeroIfEPflEENS0_5tupleIJPlS6_EEENSJ_IJSD_SD_EEES6_SK_JS6_EEE10hipError_tPvRmT3_T4_T5_T6_T7_T9_mT8_P12ihipStream_tbDpT10_ENKUlT_T0_E_clISt17integral_constantIbLb1EES16_EEDaS11_S12_EUlS11_E_NS1_11comp_targetILNS1_3genE8ELNS1_11target_archE1030ELNS1_3gpuE2ELNS1_3repE0EEENS1_30default_config_static_selectorELNS0_4arch9wavefront6targetE1EEEvT1_.num_vgpr, 0
	.set _ZN7rocprim17ROCPRIM_400000_NS6detail17trampoline_kernelINS0_14default_configENS1_25partition_config_selectorILNS1_17partition_subalgoE5ElNS0_10empty_typeEbEEZZNS1_14partition_implILS5_5ELb0ES3_mN6hipcub16HIPCUB_304000_NS21CountingInputIteratorIllEEPS6_NSA_22TransformInputIteratorIb7NonZeroIfEPflEENS0_5tupleIJPlS6_EEENSJ_IJSD_SD_EEES6_SK_JS6_EEE10hipError_tPvRmT3_T4_T5_T6_T7_T9_mT8_P12ihipStream_tbDpT10_ENKUlT_T0_E_clISt17integral_constantIbLb1EES16_EEDaS11_S12_EUlS11_E_NS1_11comp_targetILNS1_3genE8ELNS1_11target_archE1030ELNS1_3gpuE2ELNS1_3repE0EEENS1_30default_config_static_selectorELNS0_4arch9wavefront6targetE1EEEvT1_.num_agpr, 0
	.set _ZN7rocprim17ROCPRIM_400000_NS6detail17trampoline_kernelINS0_14default_configENS1_25partition_config_selectorILNS1_17partition_subalgoE5ElNS0_10empty_typeEbEEZZNS1_14partition_implILS5_5ELb0ES3_mN6hipcub16HIPCUB_304000_NS21CountingInputIteratorIllEEPS6_NSA_22TransformInputIteratorIb7NonZeroIfEPflEENS0_5tupleIJPlS6_EEENSJ_IJSD_SD_EEES6_SK_JS6_EEE10hipError_tPvRmT3_T4_T5_T6_T7_T9_mT8_P12ihipStream_tbDpT10_ENKUlT_T0_E_clISt17integral_constantIbLb1EES16_EEDaS11_S12_EUlS11_E_NS1_11comp_targetILNS1_3genE8ELNS1_11target_archE1030ELNS1_3gpuE2ELNS1_3repE0EEENS1_30default_config_static_selectorELNS0_4arch9wavefront6targetE1EEEvT1_.numbered_sgpr, 0
	.set _ZN7rocprim17ROCPRIM_400000_NS6detail17trampoline_kernelINS0_14default_configENS1_25partition_config_selectorILNS1_17partition_subalgoE5ElNS0_10empty_typeEbEEZZNS1_14partition_implILS5_5ELb0ES3_mN6hipcub16HIPCUB_304000_NS21CountingInputIteratorIllEEPS6_NSA_22TransformInputIteratorIb7NonZeroIfEPflEENS0_5tupleIJPlS6_EEENSJ_IJSD_SD_EEES6_SK_JS6_EEE10hipError_tPvRmT3_T4_T5_T6_T7_T9_mT8_P12ihipStream_tbDpT10_ENKUlT_T0_E_clISt17integral_constantIbLb1EES16_EEDaS11_S12_EUlS11_E_NS1_11comp_targetILNS1_3genE8ELNS1_11target_archE1030ELNS1_3gpuE2ELNS1_3repE0EEENS1_30default_config_static_selectorELNS0_4arch9wavefront6targetE1EEEvT1_.num_named_barrier, 0
	.set _ZN7rocprim17ROCPRIM_400000_NS6detail17trampoline_kernelINS0_14default_configENS1_25partition_config_selectorILNS1_17partition_subalgoE5ElNS0_10empty_typeEbEEZZNS1_14partition_implILS5_5ELb0ES3_mN6hipcub16HIPCUB_304000_NS21CountingInputIteratorIllEEPS6_NSA_22TransformInputIteratorIb7NonZeroIfEPflEENS0_5tupleIJPlS6_EEENSJ_IJSD_SD_EEES6_SK_JS6_EEE10hipError_tPvRmT3_T4_T5_T6_T7_T9_mT8_P12ihipStream_tbDpT10_ENKUlT_T0_E_clISt17integral_constantIbLb1EES16_EEDaS11_S12_EUlS11_E_NS1_11comp_targetILNS1_3genE8ELNS1_11target_archE1030ELNS1_3gpuE2ELNS1_3repE0EEENS1_30default_config_static_selectorELNS0_4arch9wavefront6targetE1EEEvT1_.private_seg_size, 0
	.set _ZN7rocprim17ROCPRIM_400000_NS6detail17trampoline_kernelINS0_14default_configENS1_25partition_config_selectorILNS1_17partition_subalgoE5ElNS0_10empty_typeEbEEZZNS1_14partition_implILS5_5ELb0ES3_mN6hipcub16HIPCUB_304000_NS21CountingInputIteratorIllEEPS6_NSA_22TransformInputIteratorIb7NonZeroIfEPflEENS0_5tupleIJPlS6_EEENSJ_IJSD_SD_EEES6_SK_JS6_EEE10hipError_tPvRmT3_T4_T5_T6_T7_T9_mT8_P12ihipStream_tbDpT10_ENKUlT_T0_E_clISt17integral_constantIbLb1EES16_EEDaS11_S12_EUlS11_E_NS1_11comp_targetILNS1_3genE8ELNS1_11target_archE1030ELNS1_3gpuE2ELNS1_3repE0EEENS1_30default_config_static_selectorELNS0_4arch9wavefront6targetE1EEEvT1_.uses_vcc, 0
	.set _ZN7rocprim17ROCPRIM_400000_NS6detail17trampoline_kernelINS0_14default_configENS1_25partition_config_selectorILNS1_17partition_subalgoE5ElNS0_10empty_typeEbEEZZNS1_14partition_implILS5_5ELb0ES3_mN6hipcub16HIPCUB_304000_NS21CountingInputIteratorIllEEPS6_NSA_22TransformInputIteratorIb7NonZeroIfEPflEENS0_5tupleIJPlS6_EEENSJ_IJSD_SD_EEES6_SK_JS6_EEE10hipError_tPvRmT3_T4_T5_T6_T7_T9_mT8_P12ihipStream_tbDpT10_ENKUlT_T0_E_clISt17integral_constantIbLb1EES16_EEDaS11_S12_EUlS11_E_NS1_11comp_targetILNS1_3genE8ELNS1_11target_archE1030ELNS1_3gpuE2ELNS1_3repE0EEENS1_30default_config_static_selectorELNS0_4arch9wavefront6targetE1EEEvT1_.uses_flat_scratch, 0
	.set _ZN7rocprim17ROCPRIM_400000_NS6detail17trampoline_kernelINS0_14default_configENS1_25partition_config_selectorILNS1_17partition_subalgoE5ElNS0_10empty_typeEbEEZZNS1_14partition_implILS5_5ELb0ES3_mN6hipcub16HIPCUB_304000_NS21CountingInputIteratorIllEEPS6_NSA_22TransformInputIteratorIb7NonZeroIfEPflEENS0_5tupleIJPlS6_EEENSJ_IJSD_SD_EEES6_SK_JS6_EEE10hipError_tPvRmT3_T4_T5_T6_T7_T9_mT8_P12ihipStream_tbDpT10_ENKUlT_T0_E_clISt17integral_constantIbLb1EES16_EEDaS11_S12_EUlS11_E_NS1_11comp_targetILNS1_3genE8ELNS1_11target_archE1030ELNS1_3gpuE2ELNS1_3repE0EEENS1_30default_config_static_selectorELNS0_4arch9wavefront6targetE1EEEvT1_.has_dyn_sized_stack, 0
	.set _ZN7rocprim17ROCPRIM_400000_NS6detail17trampoline_kernelINS0_14default_configENS1_25partition_config_selectorILNS1_17partition_subalgoE5ElNS0_10empty_typeEbEEZZNS1_14partition_implILS5_5ELb0ES3_mN6hipcub16HIPCUB_304000_NS21CountingInputIteratorIllEEPS6_NSA_22TransformInputIteratorIb7NonZeroIfEPflEENS0_5tupleIJPlS6_EEENSJ_IJSD_SD_EEES6_SK_JS6_EEE10hipError_tPvRmT3_T4_T5_T6_T7_T9_mT8_P12ihipStream_tbDpT10_ENKUlT_T0_E_clISt17integral_constantIbLb1EES16_EEDaS11_S12_EUlS11_E_NS1_11comp_targetILNS1_3genE8ELNS1_11target_archE1030ELNS1_3gpuE2ELNS1_3repE0EEENS1_30default_config_static_selectorELNS0_4arch9wavefront6targetE1EEEvT1_.has_recursion, 0
	.set _ZN7rocprim17ROCPRIM_400000_NS6detail17trampoline_kernelINS0_14default_configENS1_25partition_config_selectorILNS1_17partition_subalgoE5ElNS0_10empty_typeEbEEZZNS1_14partition_implILS5_5ELb0ES3_mN6hipcub16HIPCUB_304000_NS21CountingInputIteratorIllEEPS6_NSA_22TransformInputIteratorIb7NonZeroIfEPflEENS0_5tupleIJPlS6_EEENSJ_IJSD_SD_EEES6_SK_JS6_EEE10hipError_tPvRmT3_T4_T5_T6_T7_T9_mT8_P12ihipStream_tbDpT10_ENKUlT_T0_E_clISt17integral_constantIbLb1EES16_EEDaS11_S12_EUlS11_E_NS1_11comp_targetILNS1_3genE8ELNS1_11target_archE1030ELNS1_3gpuE2ELNS1_3repE0EEENS1_30default_config_static_selectorELNS0_4arch9wavefront6targetE1EEEvT1_.has_indirect_call, 0
	.section	.AMDGPU.csdata,"",@progbits
; Kernel info:
; codeLenInByte = 0
; TotalNumSgprs: 4
; NumVgprs: 0
; ScratchSize: 0
; MemoryBound: 0
; FloatMode: 240
; IeeeMode: 1
; LDSByteSize: 0 bytes/workgroup (compile time only)
; SGPRBlocks: 0
; VGPRBlocks: 0
; NumSGPRsForWavesPerEU: 4
; NumVGPRsForWavesPerEU: 1
; Occupancy: 10
; WaveLimiterHint : 0
; COMPUTE_PGM_RSRC2:SCRATCH_EN: 0
; COMPUTE_PGM_RSRC2:USER_SGPR: 6
; COMPUTE_PGM_RSRC2:TRAP_HANDLER: 0
; COMPUTE_PGM_RSRC2:TGID_X_EN: 1
; COMPUTE_PGM_RSRC2:TGID_Y_EN: 0
; COMPUTE_PGM_RSRC2:TGID_Z_EN: 0
; COMPUTE_PGM_RSRC2:TIDIG_COMP_CNT: 0
	.section	.text._ZN7rocprim17ROCPRIM_400000_NS6detail17trampoline_kernelINS0_14default_configENS1_25partition_config_selectorILNS1_17partition_subalgoE5ElNS0_10empty_typeEbEEZZNS1_14partition_implILS5_5ELb0ES3_mN6hipcub16HIPCUB_304000_NS21CountingInputIteratorIllEEPS6_NSA_22TransformInputIteratorIb7NonZeroIfEPflEENS0_5tupleIJPlS6_EEENSJ_IJSD_SD_EEES6_SK_JS6_EEE10hipError_tPvRmT3_T4_T5_T6_T7_T9_mT8_P12ihipStream_tbDpT10_ENKUlT_T0_E_clISt17integral_constantIbLb1EES15_IbLb0EEEEDaS11_S12_EUlS11_E_NS1_11comp_targetILNS1_3genE0ELNS1_11target_archE4294967295ELNS1_3gpuE0ELNS1_3repE0EEENS1_30default_config_static_selectorELNS0_4arch9wavefront6targetE1EEEvT1_,"axG",@progbits,_ZN7rocprim17ROCPRIM_400000_NS6detail17trampoline_kernelINS0_14default_configENS1_25partition_config_selectorILNS1_17partition_subalgoE5ElNS0_10empty_typeEbEEZZNS1_14partition_implILS5_5ELb0ES3_mN6hipcub16HIPCUB_304000_NS21CountingInputIteratorIllEEPS6_NSA_22TransformInputIteratorIb7NonZeroIfEPflEENS0_5tupleIJPlS6_EEENSJ_IJSD_SD_EEES6_SK_JS6_EEE10hipError_tPvRmT3_T4_T5_T6_T7_T9_mT8_P12ihipStream_tbDpT10_ENKUlT_T0_E_clISt17integral_constantIbLb1EES15_IbLb0EEEEDaS11_S12_EUlS11_E_NS1_11comp_targetILNS1_3genE0ELNS1_11target_archE4294967295ELNS1_3gpuE0ELNS1_3repE0EEENS1_30default_config_static_selectorELNS0_4arch9wavefront6targetE1EEEvT1_,comdat
	.protected	_ZN7rocprim17ROCPRIM_400000_NS6detail17trampoline_kernelINS0_14default_configENS1_25partition_config_selectorILNS1_17partition_subalgoE5ElNS0_10empty_typeEbEEZZNS1_14partition_implILS5_5ELb0ES3_mN6hipcub16HIPCUB_304000_NS21CountingInputIteratorIllEEPS6_NSA_22TransformInputIteratorIb7NonZeroIfEPflEENS0_5tupleIJPlS6_EEENSJ_IJSD_SD_EEES6_SK_JS6_EEE10hipError_tPvRmT3_T4_T5_T6_T7_T9_mT8_P12ihipStream_tbDpT10_ENKUlT_T0_E_clISt17integral_constantIbLb1EES15_IbLb0EEEEDaS11_S12_EUlS11_E_NS1_11comp_targetILNS1_3genE0ELNS1_11target_archE4294967295ELNS1_3gpuE0ELNS1_3repE0EEENS1_30default_config_static_selectorELNS0_4arch9wavefront6targetE1EEEvT1_ ; -- Begin function _ZN7rocprim17ROCPRIM_400000_NS6detail17trampoline_kernelINS0_14default_configENS1_25partition_config_selectorILNS1_17partition_subalgoE5ElNS0_10empty_typeEbEEZZNS1_14partition_implILS5_5ELb0ES3_mN6hipcub16HIPCUB_304000_NS21CountingInputIteratorIllEEPS6_NSA_22TransformInputIteratorIb7NonZeroIfEPflEENS0_5tupleIJPlS6_EEENSJ_IJSD_SD_EEES6_SK_JS6_EEE10hipError_tPvRmT3_T4_T5_T6_T7_T9_mT8_P12ihipStream_tbDpT10_ENKUlT_T0_E_clISt17integral_constantIbLb1EES15_IbLb0EEEEDaS11_S12_EUlS11_E_NS1_11comp_targetILNS1_3genE0ELNS1_11target_archE4294967295ELNS1_3gpuE0ELNS1_3repE0EEENS1_30default_config_static_selectorELNS0_4arch9wavefront6targetE1EEEvT1_
	.globl	_ZN7rocprim17ROCPRIM_400000_NS6detail17trampoline_kernelINS0_14default_configENS1_25partition_config_selectorILNS1_17partition_subalgoE5ElNS0_10empty_typeEbEEZZNS1_14partition_implILS5_5ELb0ES3_mN6hipcub16HIPCUB_304000_NS21CountingInputIteratorIllEEPS6_NSA_22TransformInputIteratorIb7NonZeroIfEPflEENS0_5tupleIJPlS6_EEENSJ_IJSD_SD_EEES6_SK_JS6_EEE10hipError_tPvRmT3_T4_T5_T6_T7_T9_mT8_P12ihipStream_tbDpT10_ENKUlT_T0_E_clISt17integral_constantIbLb1EES15_IbLb0EEEEDaS11_S12_EUlS11_E_NS1_11comp_targetILNS1_3genE0ELNS1_11target_archE4294967295ELNS1_3gpuE0ELNS1_3repE0EEENS1_30default_config_static_selectorELNS0_4arch9wavefront6targetE1EEEvT1_
	.p2align	8
	.type	_ZN7rocprim17ROCPRIM_400000_NS6detail17trampoline_kernelINS0_14default_configENS1_25partition_config_selectorILNS1_17partition_subalgoE5ElNS0_10empty_typeEbEEZZNS1_14partition_implILS5_5ELb0ES3_mN6hipcub16HIPCUB_304000_NS21CountingInputIteratorIllEEPS6_NSA_22TransformInputIteratorIb7NonZeroIfEPflEENS0_5tupleIJPlS6_EEENSJ_IJSD_SD_EEES6_SK_JS6_EEE10hipError_tPvRmT3_T4_T5_T6_T7_T9_mT8_P12ihipStream_tbDpT10_ENKUlT_T0_E_clISt17integral_constantIbLb1EES15_IbLb0EEEEDaS11_S12_EUlS11_E_NS1_11comp_targetILNS1_3genE0ELNS1_11target_archE4294967295ELNS1_3gpuE0ELNS1_3repE0EEENS1_30default_config_static_selectorELNS0_4arch9wavefront6targetE1EEEvT1_,@function
_ZN7rocprim17ROCPRIM_400000_NS6detail17trampoline_kernelINS0_14default_configENS1_25partition_config_selectorILNS1_17partition_subalgoE5ElNS0_10empty_typeEbEEZZNS1_14partition_implILS5_5ELb0ES3_mN6hipcub16HIPCUB_304000_NS21CountingInputIteratorIllEEPS6_NSA_22TransformInputIteratorIb7NonZeroIfEPflEENS0_5tupleIJPlS6_EEENSJ_IJSD_SD_EEES6_SK_JS6_EEE10hipError_tPvRmT3_T4_T5_T6_T7_T9_mT8_P12ihipStream_tbDpT10_ENKUlT_T0_E_clISt17integral_constantIbLb1EES15_IbLb0EEEEDaS11_S12_EUlS11_E_NS1_11comp_targetILNS1_3genE0ELNS1_11target_archE4294967295ELNS1_3gpuE0ELNS1_3repE0EEENS1_30default_config_static_selectorELNS0_4arch9wavefront6targetE1EEEvT1_: ; @_ZN7rocprim17ROCPRIM_400000_NS6detail17trampoline_kernelINS0_14default_configENS1_25partition_config_selectorILNS1_17partition_subalgoE5ElNS0_10empty_typeEbEEZZNS1_14partition_implILS5_5ELb0ES3_mN6hipcub16HIPCUB_304000_NS21CountingInputIteratorIllEEPS6_NSA_22TransformInputIteratorIb7NonZeroIfEPflEENS0_5tupleIJPlS6_EEENSJ_IJSD_SD_EEES6_SK_JS6_EEE10hipError_tPvRmT3_T4_T5_T6_T7_T9_mT8_P12ihipStream_tbDpT10_ENKUlT_T0_E_clISt17integral_constantIbLb1EES15_IbLb0EEEEDaS11_S12_EUlS11_E_NS1_11comp_targetILNS1_3genE0ELNS1_11target_archE4294967295ELNS1_3gpuE0ELNS1_3repE0EEENS1_30default_config_static_selectorELNS0_4arch9wavefront6targetE1EEEvT1_
; %bb.0:
	.section	.rodata,"a",@progbits
	.p2align	6, 0x0
	.amdhsa_kernel _ZN7rocprim17ROCPRIM_400000_NS6detail17trampoline_kernelINS0_14default_configENS1_25partition_config_selectorILNS1_17partition_subalgoE5ElNS0_10empty_typeEbEEZZNS1_14partition_implILS5_5ELb0ES3_mN6hipcub16HIPCUB_304000_NS21CountingInputIteratorIllEEPS6_NSA_22TransformInputIteratorIb7NonZeroIfEPflEENS0_5tupleIJPlS6_EEENSJ_IJSD_SD_EEES6_SK_JS6_EEE10hipError_tPvRmT3_T4_T5_T6_T7_T9_mT8_P12ihipStream_tbDpT10_ENKUlT_T0_E_clISt17integral_constantIbLb1EES15_IbLb0EEEEDaS11_S12_EUlS11_E_NS1_11comp_targetILNS1_3genE0ELNS1_11target_archE4294967295ELNS1_3gpuE0ELNS1_3repE0EEENS1_30default_config_static_selectorELNS0_4arch9wavefront6targetE1EEEvT1_
		.amdhsa_group_segment_fixed_size 0
		.amdhsa_private_segment_fixed_size 0
		.amdhsa_kernarg_size 120
		.amdhsa_user_sgpr_count 6
		.amdhsa_user_sgpr_private_segment_buffer 1
		.amdhsa_user_sgpr_dispatch_ptr 0
		.amdhsa_user_sgpr_queue_ptr 0
		.amdhsa_user_sgpr_kernarg_segment_ptr 1
		.amdhsa_user_sgpr_dispatch_id 0
		.amdhsa_user_sgpr_flat_scratch_init 0
		.amdhsa_user_sgpr_private_segment_size 0
		.amdhsa_uses_dynamic_stack 0
		.amdhsa_system_sgpr_private_segment_wavefront_offset 0
		.amdhsa_system_sgpr_workgroup_id_x 1
		.amdhsa_system_sgpr_workgroup_id_y 0
		.amdhsa_system_sgpr_workgroup_id_z 0
		.amdhsa_system_sgpr_workgroup_info 0
		.amdhsa_system_vgpr_workitem_id 0
		.amdhsa_next_free_vgpr 1
		.amdhsa_next_free_sgpr 0
		.amdhsa_reserve_vcc 0
		.amdhsa_reserve_flat_scratch 0
		.amdhsa_float_round_mode_32 0
		.amdhsa_float_round_mode_16_64 0
		.amdhsa_float_denorm_mode_32 3
		.amdhsa_float_denorm_mode_16_64 3
		.amdhsa_dx10_clamp 1
		.amdhsa_ieee_mode 1
		.amdhsa_fp16_overflow 0
		.amdhsa_exception_fp_ieee_invalid_op 0
		.amdhsa_exception_fp_denorm_src 0
		.amdhsa_exception_fp_ieee_div_zero 0
		.amdhsa_exception_fp_ieee_overflow 0
		.amdhsa_exception_fp_ieee_underflow 0
		.amdhsa_exception_fp_ieee_inexact 0
		.amdhsa_exception_int_div_zero 0
	.end_amdhsa_kernel
	.section	.text._ZN7rocprim17ROCPRIM_400000_NS6detail17trampoline_kernelINS0_14default_configENS1_25partition_config_selectorILNS1_17partition_subalgoE5ElNS0_10empty_typeEbEEZZNS1_14partition_implILS5_5ELb0ES3_mN6hipcub16HIPCUB_304000_NS21CountingInputIteratorIllEEPS6_NSA_22TransformInputIteratorIb7NonZeroIfEPflEENS0_5tupleIJPlS6_EEENSJ_IJSD_SD_EEES6_SK_JS6_EEE10hipError_tPvRmT3_T4_T5_T6_T7_T9_mT8_P12ihipStream_tbDpT10_ENKUlT_T0_E_clISt17integral_constantIbLb1EES15_IbLb0EEEEDaS11_S12_EUlS11_E_NS1_11comp_targetILNS1_3genE0ELNS1_11target_archE4294967295ELNS1_3gpuE0ELNS1_3repE0EEENS1_30default_config_static_selectorELNS0_4arch9wavefront6targetE1EEEvT1_,"axG",@progbits,_ZN7rocprim17ROCPRIM_400000_NS6detail17trampoline_kernelINS0_14default_configENS1_25partition_config_selectorILNS1_17partition_subalgoE5ElNS0_10empty_typeEbEEZZNS1_14partition_implILS5_5ELb0ES3_mN6hipcub16HIPCUB_304000_NS21CountingInputIteratorIllEEPS6_NSA_22TransformInputIteratorIb7NonZeroIfEPflEENS0_5tupleIJPlS6_EEENSJ_IJSD_SD_EEES6_SK_JS6_EEE10hipError_tPvRmT3_T4_T5_T6_T7_T9_mT8_P12ihipStream_tbDpT10_ENKUlT_T0_E_clISt17integral_constantIbLb1EES15_IbLb0EEEEDaS11_S12_EUlS11_E_NS1_11comp_targetILNS1_3genE0ELNS1_11target_archE4294967295ELNS1_3gpuE0ELNS1_3repE0EEENS1_30default_config_static_selectorELNS0_4arch9wavefront6targetE1EEEvT1_,comdat
.Lfunc_end269:
	.size	_ZN7rocprim17ROCPRIM_400000_NS6detail17trampoline_kernelINS0_14default_configENS1_25partition_config_selectorILNS1_17partition_subalgoE5ElNS0_10empty_typeEbEEZZNS1_14partition_implILS5_5ELb0ES3_mN6hipcub16HIPCUB_304000_NS21CountingInputIteratorIllEEPS6_NSA_22TransformInputIteratorIb7NonZeroIfEPflEENS0_5tupleIJPlS6_EEENSJ_IJSD_SD_EEES6_SK_JS6_EEE10hipError_tPvRmT3_T4_T5_T6_T7_T9_mT8_P12ihipStream_tbDpT10_ENKUlT_T0_E_clISt17integral_constantIbLb1EES15_IbLb0EEEEDaS11_S12_EUlS11_E_NS1_11comp_targetILNS1_3genE0ELNS1_11target_archE4294967295ELNS1_3gpuE0ELNS1_3repE0EEENS1_30default_config_static_selectorELNS0_4arch9wavefront6targetE1EEEvT1_, .Lfunc_end269-_ZN7rocprim17ROCPRIM_400000_NS6detail17trampoline_kernelINS0_14default_configENS1_25partition_config_selectorILNS1_17partition_subalgoE5ElNS0_10empty_typeEbEEZZNS1_14partition_implILS5_5ELb0ES3_mN6hipcub16HIPCUB_304000_NS21CountingInputIteratorIllEEPS6_NSA_22TransformInputIteratorIb7NonZeroIfEPflEENS0_5tupleIJPlS6_EEENSJ_IJSD_SD_EEES6_SK_JS6_EEE10hipError_tPvRmT3_T4_T5_T6_T7_T9_mT8_P12ihipStream_tbDpT10_ENKUlT_T0_E_clISt17integral_constantIbLb1EES15_IbLb0EEEEDaS11_S12_EUlS11_E_NS1_11comp_targetILNS1_3genE0ELNS1_11target_archE4294967295ELNS1_3gpuE0ELNS1_3repE0EEENS1_30default_config_static_selectorELNS0_4arch9wavefront6targetE1EEEvT1_
                                        ; -- End function
	.set _ZN7rocprim17ROCPRIM_400000_NS6detail17trampoline_kernelINS0_14default_configENS1_25partition_config_selectorILNS1_17partition_subalgoE5ElNS0_10empty_typeEbEEZZNS1_14partition_implILS5_5ELb0ES3_mN6hipcub16HIPCUB_304000_NS21CountingInputIteratorIllEEPS6_NSA_22TransformInputIteratorIb7NonZeroIfEPflEENS0_5tupleIJPlS6_EEENSJ_IJSD_SD_EEES6_SK_JS6_EEE10hipError_tPvRmT3_T4_T5_T6_T7_T9_mT8_P12ihipStream_tbDpT10_ENKUlT_T0_E_clISt17integral_constantIbLb1EES15_IbLb0EEEEDaS11_S12_EUlS11_E_NS1_11comp_targetILNS1_3genE0ELNS1_11target_archE4294967295ELNS1_3gpuE0ELNS1_3repE0EEENS1_30default_config_static_selectorELNS0_4arch9wavefront6targetE1EEEvT1_.num_vgpr, 0
	.set _ZN7rocprim17ROCPRIM_400000_NS6detail17trampoline_kernelINS0_14default_configENS1_25partition_config_selectorILNS1_17partition_subalgoE5ElNS0_10empty_typeEbEEZZNS1_14partition_implILS5_5ELb0ES3_mN6hipcub16HIPCUB_304000_NS21CountingInputIteratorIllEEPS6_NSA_22TransformInputIteratorIb7NonZeroIfEPflEENS0_5tupleIJPlS6_EEENSJ_IJSD_SD_EEES6_SK_JS6_EEE10hipError_tPvRmT3_T4_T5_T6_T7_T9_mT8_P12ihipStream_tbDpT10_ENKUlT_T0_E_clISt17integral_constantIbLb1EES15_IbLb0EEEEDaS11_S12_EUlS11_E_NS1_11comp_targetILNS1_3genE0ELNS1_11target_archE4294967295ELNS1_3gpuE0ELNS1_3repE0EEENS1_30default_config_static_selectorELNS0_4arch9wavefront6targetE1EEEvT1_.num_agpr, 0
	.set _ZN7rocprim17ROCPRIM_400000_NS6detail17trampoline_kernelINS0_14default_configENS1_25partition_config_selectorILNS1_17partition_subalgoE5ElNS0_10empty_typeEbEEZZNS1_14partition_implILS5_5ELb0ES3_mN6hipcub16HIPCUB_304000_NS21CountingInputIteratorIllEEPS6_NSA_22TransformInputIteratorIb7NonZeroIfEPflEENS0_5tupleIJPlS6_EEENSJ_IJSD_SD_EEES6_SK_JS6_EEE10hipError_tPvRmT3_T4_T5_T6_T7_T9_mT8_P12ihipStream_tbDpT10_ENKUlT_T0_E_clISt17integral_constantIbLb1EES15_IbLb0EEEEDaS11_S12_EUlS11_E_NS1_11comp_targetILNS1_3genE0ELNS1_11target_archE4294967295ELNS1_3gpuE0ELNS1_3repE0EEENS1_30default_config_static_selectorELNS0_4arch9wavefront6targetE1EEEvT1_.numbered_sgpr, 0
	.set _ZN7rocprim17ROCPRIM_400000_NS6detail17trampoline_kernelINS0_14default_configENS1_25partition_config_selectorILNS1_17partition_subalgoE5ElNS0_10empty_typeEbEEZZNS1_14partition_implILS5_5ELb0ES3_mN6hipcub16HIPCUB_304000_NS21CountingInputIteratorIllEEPS6_NSA_22TransformInputIteratorIb7NonZeroIfEPflEENS0_5tupleIJPlS6_EEENSJ_IJSD_SD_EEES6_SK_JS6_EEE10hipError_tPvRmT3_T4_T5_T6_T7_T9_mT8_P12ihipStream_tbDpT10_ENKUlT_T0_E_clISt17integral_constantIbLb1EES15_IbLb0EEEEDaS11_S12_EUlS11_E_NS1_11comp_targetILNS1_3genE0ELNS1_11target_archE4294967295ELNS1_3gpuE0ELNS1_3repE0EEENS1_30default_config_static_selectorELNS0_4arch9wavefront6targetE1EEEvT1_.num_named_barrier, 0
	.set _ZN7rocprim17ROCPRIM_400000_NS6detail17trampoline_kernelINS0_14default_configENS1_25partition_config_selectorILNS1_17partition_subalgoE5ElNS0_10empty_typeEbEEZZNS1_14partition_implILS5_5ELb0ES3_mN6hipcub16HIPCUB_304000_NS21CountingInputIteratorIllEEPS6_NSA_22TransformInputIteratorIb7NonZeroIfEPflEENS0_5tupleIJPlS6_EEENSJ_IJSD_SD_EEES6_SK_JS6_EEE10hipError_tPvRmT3_T4_T5_T6_T7_T9_mT8_P12ihipStream_tbDpT10_ENKUlT_T0_E_clISt17integral_constantIbLb1EES15_IbLb0EEEEDaS11_S12_EUlS11_E_NS1_11comp_targetILNS1_3genE0ELNS1_11target_archE4294967295ELNS1_3gpuE0ELNS1_3repE0EEENS1_30default_config_static_selectorELNS0_4arch9wavefront6targetE1EEEvT1_.private_seg_size, 0
	.set _ZN7rocprim17ROCPRIM_400000_NS6detail17trampoline_kernelINS0_14default_configENS1_25partition_config_selectorILNS1_17partition_subalgoE5ElNS0_10empty_typeEbEEZZNS1_14partition_implILS5_5ELb0ES3_mN6hipcub16HIPCUB_304000_NS21CountingInputIteratorIllEEPS6_NSA_22TransformInputIteratorIb7NonZeroIfEPflEENS0_5tupleIJPlS6_EEENSJ_IJSD_SD_EEES6_SK_JS6_EEE10hipError_tPvRmT3_T4_T5_T6_T7_T9_mT8_P12ihipStream_tbDpT10_ENKUlT_T0_E_clISt17integral_constantIbLb1EES15_IbLb0EEEEDaS11_S12_EUlS11_E_NS1_11comp_targetILNS1_3genE0ELNS1_11target_archE4294967295ELNS1_3gpuE0ELNS1_3repE0EEENS1_30default_config_static_selectorELNS0_4arch9wavefront6targetE1EEEvT1_.uses_vcc, 0
	.set _ZN7rocprim17ROCPRIM_400000_NS6detail17trampoline_kernelINS0_14default_configENS1_25partition_config_selectorILNS1_17partition_subalgoE5ElNS0_10empty_typeEbEEZZNS1_14partition_implILS5_5ELb0ES3_mN6hipcub16HIPCUB_304000_NS21CountingInputIteratorIllEEPS6_NSA_22TransformInputIteratorIb7NonZeroIfEPflEENS0_5tupleIJPlS6_EEENSJ_IJSD_SD_EEES6_SK_JS6_EEE10hipError_tPvRmT3_T4_T5_T6_T7_T9_mT8_P12ihipStream_tbDpT10_ENKUlT_T0_E_clISt17integral_constantIbLb1EES15_IbLb0EEEEDaS11_S12_EUlS11_E_NS1_11comp_targetILNS1_3genE0ELNS1_11target_archE4294967295ELNS1_3gpuE0ELNS1_3repE0EEENS1_30default_config_static_selectorELNS0_4arch9wavefront6targetE1EEEvT1_.uses_flat_scratch, 0
	.set _ZN7rocprim17ROCPRIM_400000_NS6detail17trampoline_kernelINS0_14default_configENS1_25partition_config_selectorILNS1_17partition_subalgoE5ElNS0_10empty_typeEbEEZZNS1_14partition_implILS5_5ELb0ES3_mN6hipcub16HIPCUB_304000_NS21CountingInputIteratorIllEEPS6_NSA_22TransformInputIteratorIb7NonZeroIfEPflEENS0_5tupleIJPlS6_EEENSJ_IJSD_SD_EEES6_SK_JS6_EEE10hipError_tPvRmT3_T4_T5_T6_T7_T9_mT8_P12ihipStream_tbDpT10_ENKUlT_T0_E_clISt17integral_constantIbLb1EES15_IbLb0EEEEDaS11_S12_EUlS11_E_NS1_11comp_targetILNS1_3genE0ELNS1_11target_archE4294967295ELNS1_3gpuE0ELNS1_3repE0EEENS1_30default_config_static_selectorELNS0_4arch9wavefront6targetE1EEEvT1_.has_dyn_sized_stack, 0
	.set _ZN7rocprim17ROCPRIM_400000_NS6detail17trampoline_kernelINS0_14default_configENS1_25partition_config_selectorILNS1_17partition_subalgoE5ElNS0_10empty_typeEbEEZZNS1_14partition_implILS5_5ELb0ES3_mN6hipcub16HIPCUB_304000_NS21CountingInputIteratorIllEEPS6_NSA_22TransformInputIteratorIb7NonZeroIfEPflEENS0_5tupleIJPlS6_EEENSJ_IJSD_SD_EEES6_SK_JS6_EEE10hipError_tPvRmT3_T4_T5_T6_T7_T9_mT8_P12ihipStream_tbDpT10_ENKUlT_T0_E_clISt17integral_constantIbLb1EES15_IbLb0EEEEDaS11_S12_EUlS11_E_NS1_11comp_targetILNS1_3genE0ELNS1_11target_archE4294967295ELNS1_3gpuE0ELNS1_3repE0EEENS1_30default_config_static_selectorELNS0_4arch9wavefront6targetE1EEEvT1_.has_recursion, 0
	.set _ZN7rocprim17ROCPRIM_400000_NS6detail17trampoline_kernelINS0_14default_configENS1_25partition_config_selectorILNS1_17partition_subalgoE5ElNS0_10empty_typeEbEEZZNS1_14partition_implILS5_5ELb0ES3_mN6hipcub16HIPCUB_304000_NS21CountingInputIteratorIllEEPS6_NSA_22TransformInputIteratorIb7NonZeroIfEPflEENS0_5tupleIJPlS6_EEENSJ_IJSD_SD_EEES6_SK_JS6_EEE10hipError_tPvRmT3_T4_T5_T6_T7_T9_mT8_P12ihipStream_tbDpT10_ENKUlT_T0_E_clISt17integral_constantIbLb1EES15_IbLb0EEEEDaS11_S12_EUlS11_E_NS1_11comp_targetILNS1_3genE0ELNS1_11target_archE4294967295ELNS1_3gpuE0ELNS1_3repE0EEENS1_30default_config_static_selectorELNS0_4arch9wavefront6targetE1EEEvT1_.has_indirect_call, 0
	.section	.AMDGPU.csdata,"",@progbits
; Kernel info:
; codeLenInByte = 0
; TotalNumSgprs: 4
; NumVgprs: 0
; ScratchSize: 0
; MemoryBound: 0
; FloatMode: 240
; IeeeMode: 1
; LDSByteSize: 0 bytes/workgroup (compile time only)
; SGPRBlocks: 0
; VGPRBlocks: 0
; NumSGPRsForWavesPerEU: 4
; NumVGPRsForWavesPerEU: 1
; Occupancy: 10
; WaveLimiterHint : 0
; COMPUTE_PGM_RSRC2:SCRATCH_EN: 0
; COMPUTE_PGM_RSRC2:USER_SGPR: 6
; COMPUTE_PGM_RSRC2:TRAP_HANDLER: 0
; COMPUTE_PGM_RSRC2:TGID_X_EN: 1
; COMPUTE_PGM_RSRC2:TGID_Y_EN: 0
; COMPUTE_PGM_RSRC2:TGID_Z_EN: 0
; COMPUTE_PGM_RSRC2:TIDIG_COMP_CNT: 0
	.section	.text._ZN7rocprim17ROCPRIM_400000_NS6detail17trampoline_kernelINS0_14default_configENS1_25partition_config_selectorILNS1_17partition_subalgoE5ElNS0_10empty_typeEbEEZZNS1_14partition_implILS5_5ELb0ES3_mN6hipcub16HIPCUB_304000_NS21CountingInputIteratorIllEEPS6_NSA_22TransformInputIteratorIb7NonZeroIfEPflEENS0_5tupleIJPlS6_EEENSJ_IJSD_SD_EEES6_SK_JS6_EEE10hipError_tPvRmT3_T4_T5_T6_T7_T9_mT8_P12ihipStream_tbDpT10_ENKUlT_T0_E_clISt17integral_constantIbLb1EES15_IbLb0EEEEDaS11_S12_EUlS11_E_NS1_11comp_targetILNS1_3genE5ELNS1_11target_archE942ELNS1_3gpuE9ELNS1_3repE0EEENS1_30default_config_static_selectorELNS0_4arch9wavefront6targetE1EEEvT1_,"axG",@progbits,_ZN7rocprim17ROCPRIM_400000_NS6detail17trampoline_kernelINS0_14default_configENS1_25partition_config_selectorILNS1_17partition_subalgoE5ElNS0_10empty_typeEbEEZZNS1_14partition_implILS5_5ELb0ES3_mN6hipcub16HIPCUB_304000_NS21CountingInputIteratorIllEEPS6_NSA_22TransformInputIteratorIb7NonZeroIfEPflEENS0_5tupleIJPlS6_EEENSJ_IJSD_SD_EEES6_SK_JS6_EEE10hipError_tPvRmT3_T4_T5_T6_T7_T9_mT8_P12ihipStream_tbDpT10_ENKUlT_T0_E_clISt17integral_constantIbLb1EES15_IbLb0EEEEDaS11_S12_EUlS11_E_NS1_11comp_targetILNS1_3genE5ELNS1_11target_archE942ELNS1_3gpuE9ELNS1_3repE0EEENS1_30default_config_static_selectorELNS0_4arch9wavefront6targetE1EEEvT1_,comdat
	.protected	_ZN7rocprim17ROCPRIM_400000_NS6detail17trampoline_kernelINS0_14default_configENS1_25partition_config_selectorILNS1_17partition_subalgoE5ElNS0_10empty_typeEbEEZZNS1_14partition_implILS5_5ELb0ES3_mN6hipcub16HIPCUB_304000_NS21CountingInputIteratorIllEEPS6_NSA_22TransformInputIteratorIb7NonZeroIfEPflEENS0_5tupleIJPlS6_EEENSJ_IJSD_SD_EEES6_SK_JS6_EEE10hipError_tPvRmT3_T4_T5_T6_T7_T9_mT8_P12ihipStream_tbDpT10_ENKUlT_T0_E_clISt17integral_constantIbLb1EES15_IbLb0EEEEDaS11_S12_EUlS11_E_NS1_11comp_targetILNS1_3genE5ELNS1_11target_archE942ELNS1_3gpuE9ELNS1_3repE0EEENS1_30default_config_static_selectorELNS0_4arch9wavefront6targetE1EEEvT1_ ; -- Begin function _ZN7rocprim17ROCPRIM_400000_NS6detail17trampoline_kernelINS0_14default_configENS1_25partition_config_selectorILNS1_17partition_subalgoE5ElNS0_10empty_typeEbEEZZNS1_14partition_implILS5_5ELb0ES3_mN6hipcub16HIPCUB_304000_NS21CountingInputIteratorIllEEPS6_NSA_22TransformInputIteratorIb7NonZeroIfEPflEENS0_5tupleIJPlS6_EEENSJ_IJSD_SD_EEES6_SK_JS6_EEE10hipError_tPvRmT3_T4_T5_T6_T7_T9_mT8_P12ihipStream_tbDpT10_ENKUlT_T0_E_clISt17integral_constantIbLb1EES15_IbLb0EEEEDaS11_S12_EUlS11_E_NS1_11comp_targetILNS1_3genE5ELNS1_11target_archE942ELNS1_3gpuE9ELNS1_3repE0EEENS1_30default_config_static_selectorELNS0_4arch9wavefront6targetE1EEEvT1_
	.globl	_ZN7rocprim17ROCPRIM_400000_NS6detail17trampoline_kernelINS0_14default_configENS1_25partition_config_selectorILNS1_17partition_subalgoE5ElNS0_10empty_typeEbEEZZNS1_14partition_implILS5_5ELb0ES3_mN6hipcub16HIPCUB_304000_NS21CountingInputIteratorIllEEPS6_NSA_22TransformInputIteratorIb7NonZeroIfEPflEENS0_5tupleIJPlS6_EEENSJ_IJSD_SD_EEES6_SK_JS6_EEE10hipError_tPvRmT3_T4_T5_T6_T7_T9_mT8_P12ihipStream_tbDpT10_ENKUlT_T0_E_clISt17integral_constantIbLb1EES15_IbLb0EEEEDaS11_S12_EUlS11_E_NS1_11comp_targetILNS1_3genE5ELNS1_11target_archE942ELNS1_3gpuE9ELNS1_3repE0EEENS1_30default_config_static_selectorELNS0_4arch9wavefront6targetE1EEEvT1_
	.p2align	8
	.type	_ZN7rocprim17ROCPRIM_400000_NS6detail17trampoline_kernelINS0_14default_configENS1_25partition_config_selectorILNS1_17partition_subalgoE5ElNS0_10empty_typeEbEEZZNS1_14partition_implILS5_5ELb0ES3_mN6hipcub16HIPCUB_304000_NS21CountingInputIteratorIllEEPS6_NSA_22TransformInputIteratorIb7NonZeroIfEPflEENS0_5tupleIJPlS6_EEENSJ_IJSD_SD_EEES6_SK_JS6_EEE10hipError_tPvRmT3_T4_T5_T6_T7_T9_mT8_P12ihipStream_tbDpT10_ENKUlT_T0_E_clISt17integral_constantIbLb1EES15_IbLb0EEEEDaS11_S12_EUlS11_E_NS1_11comp_targetILNS1_3genE5ELNS1_11target_archE942ELNS1_3gpuE9ELNS1_3repE0EEENS1_30default_config_static_selectorELNS0_4arch9wavefront6targetE1EEEvT1_,@function
_ZN7rocprim17ROCPRIM_400000_NS6detail17trampoline_kernelINS0_14default_configENS1_25partition_config_selectorILNS1_17partition_subalgoE5ElNS0_10empty_typeEbEEZZNS1_14partition_implILS5_5ELb0ES3_mN6hipcub16HIPCUB_304000_NS21CountingInputIteratorIllEEPS6_NSA_22TransformInputIteratorIb7NonZeroIfEPflEENS0_5tupleIJPlS6_EEENSJ_IJSD_SD_EEES6_SK_JS6_EEE10hipError_tPvRmT3_T4_T5_T6_T7_T9_mT8_P12ihipStream_tbDpT10_ENKUlT_T0_E_clISt17integral_constantIbLb1EES15_IbLb0EEEEDaS11_S12_EUlS11_E_NS1_11comp_targetILNS1_3genE5ELNS1_11target_archE942ELNS1_3gpuE9ELNS1_3repE0EEENS1_30default_config_static_selectorELNS0_4arch9wavefront6targetE1EEEvT1_: ; @_ZN7rocprim17ROCPRIM_400000_NS6detail17trampoline_kernelINS0_14default_configENS1_25partition_config_selectorILNS1_17partition_subalgoE5ElNS0_10empty_typeEbEEZZNS1_14partition_implILS5_5ELb0ES3_mN6hipcub16HIPCUB_304000_NS21CountingInputIteratorIllEEPS6_NSA_22TransformInputIteratorIb7NonZeroIfEPflEENS0_5tupleIJPlS6_EEENSJ_IJSD_SD_EEES6_SK_JS6_EEE10hipError_tPvRmT3_T4_T5_T6_T7_T9_mT8_P12ihipStream_tbDpT10_ENKUlT_T0_E_clISt17integral_constantIbLb1EES15_IbLb0EEEEDaS11_S12_EUlS11_E_NS1_11comp_targetILNS1_3genE5ELNS1_11target_archE942ELNS1_3gpuE9ELNS1_3repE0EEENS1_30default_config_static_selectorELNS0_4arch9wavefront6targetE1EEEvT1_
; %bb.0:
	.section	.rodata,"a",@progbits
	.p2align	6, 0x0
	.amdhsa_kernel _ZN7rocprim17ROCPRIM_400000_NS6detail17trampoline_kernelINS0_14default_configENS1_25partition_config_selectorILNS1_17partition_subalgoE5ElNS0_10empty_typeEbEEZZNS1_14partition_implILS5_5ELb0ES3_mN6hipcub16HIPCUB_304000_NS21CountingInputIteratorIllEEPS6_NSA_22TransformInputIteratorIb7NonZeroIfEPflEENS0_5tupleIJPlS6_EEENSJ_IJSD_SD_EEES6_SK_JS6_EEE10hipError_tPvRmT3_T4_T5_T6_T7_T9_mT8_P12ihipStream_tbDpT10_ENKUlT_T0_E_clISt17integral_constantIbLb1EES15_IbLb0EEEEDaS11_S12_EUlS11_E_NS1_11comp_targetILNS1_3genE5ELNS1_11target_archE942ELNS1_3gpuE9ELNS1_3repE0EEENS1_30default_config_static_selectorELNS0_4arch9wavefront6targetE1EEEvT1_
		.amdhsa_group_segment_fixed_size 0
		.amdhsa_private_segment_fixed_size 0
		.amdhsa_kernarg_size 120
		.amdhsa_user_sgpr_count 6
		.amdhsa_user_sgpr_private_segment_buffer 1
		.amdhsa_user_sgpr_dispatch_ptr 0
		.amdhsa_user_sgpr_queue_ptr 0
		.amdhsa_user_sgpr_kernarg_segment_ptr 1
		.amdhsa_user_sgpr_dispatch_id 0
		.amdhsa_user_sgpr_flat_scratch_init 0
		.amdhsa_user_sgpr_private_segment_size 0
		.amdhsa_uses_dynamic_stack 0
		.amdhsa_system_sgpr_private_segment_wavefront_offset 0
		.amdhsa_system_sgpr_workgroup_id_x 1
		.amdhsa_system_sgpr_workgroup_id_y 0
		.amdhsa_system_sgpr_workgroup_id_z 0
		.amdhsa_system_sgpr_workgroup_info 0
		.amdhsa_system_vgpr_workitem_id 0
		.amdhsa_next_free_vgpr 1
		.amdhsa_next_free_sgpr 0
		.amdhsa_reserve_vcc 0
		.amdhsa_reserve_flat_scratch 0
		.amdhsa_float_round_mode_32 0
		.amdhsa_float_round_mode_16_64 0
		.amdhsa_float_denorm_mode_32 3
		.amdhsa_float_denorm_mode_16_64 3
		.amdhsa_dx10_clamp 1
		.amdhsa_ieee_mode 1
		.amdhsa_fp16_overflow 0
		.amdhsa_exception_fp_ieee_invalid_op 0
		.amdhsa_exception_fp_denorm_src 0
		.amdhsa_exception_fp_ieee_div_zero 0
		.amdhsa_exception_fp_ieee_overflow 0
		.amdhsa_exception_fp_ieee_underflow 0
		.amdhsa_exception_fp_ieee_inexact 0
		.amdhsa_exception_int_div_zero 0
	.end_amdhsa_kernel
	.section	.text._ZN7rocprim17ROCPRIM_400000_NS6detail17trampoline_kernelINS0_14default_configENS1_25partition_config_selectorILNS1_17partition_subalgoE5ElNS0_10empty_typeEbEEZZNS1_14partition_implILS5_5ELb0ES3_mN6hipcub16HIPCUB_304000_NS21CountingInputIteratorIllEEPS6_NSA_22TransformInputIteratorIb7NonZeroIfEPflEENS0_5tupleIJPlS6_EEENSJ_IJSD_SD_EEES6_SK_JS6_EEE10hipError_tPvRmT3_T4_T5_T6_T7_T9_mT8_P12ihipStream_tbDpT10_ENKUlT_T0_E_clISt17integral_constantIbLb1EES15_IbLb0EEEEDaS11_S12_EUlS11_E_NS1_11comp_targetILNS1_3genE5ELNS1_11target_archE942ELNS1_3gpuE9ELNS1_3repE0EEENS1_30default_config_static_selectorELNS0_4arch9wavefront6targetE1EEEvT1_,"axG",@progbits,_ZN7rocprim17ROCPRIM_400000_NS6detail17trampoline_kernelINS0_14default_configENS1_25partition_config_selectorILNS1_17partition_subalgoE5ElNS0_10empty_typeEbEEZZNS1_14partition_implILS5_5ELb0ES3_mN6hipcub16HIPCUB_304000_NS21CountingInputIteratorIllEEPS6_NSA_22TransformInputIteratorIb7NonZeroIfEPflEENS0_5tupleIJPlS6_EEENSJ_IJSD_SD_EEES6_SK_JS6_EEE10hipError_tPvRmT3_T4_T5_T6_T7_T9_mT8_P12ihipStream_tbDpT10_ENKUlT_T0_E_clISt17integral_constantIbLb1EES15_IbLb0EEEEDaS11_S12_EUlS11_E_NS1_11comp_targetILNS1_3genE5ELNS1_11target_archE942ELNS1_3gpuE9ELNS1_3repE0EEENS1_30default_config_static_selectorELNS0_4arch9wavefront6targetE1EEEvT1_,comdat
.Lfunc_end270:
	.size	_ZN7rocprim17ROCPRIM_400000_NS6detail17trampoline_kernelINS0_14default_configENS1_25partition_config_selectorILNS1_17partition_subalgoE5ElNS0_10empty_typeEbEEZZNS1_14partition_implILS5_5ELb0ES3_mN6hipcub16HIPCUB_304000_NS21CountingInputIteratorIllEEPS6_NSA_22TransformInputIteratorIb7NonZeroIfEPflEENS0_5tupleIJPlS6_EEENSJ_IJSD_SD_EEES6_SK_JS6_EEE10hipError_tPvRmT3_T4_T5_T6_T7_T9_mT8_P12ihipStream_tbDpT10_ENKUlT_T0_E_clISt17integral_constantIbLb1EES15_IbLb0EEEEDaS11_S12_EUlS11_E_NS1_11comp_targetILNS1_3genE5ELNS1_11target_archE942ELNS1_3gpuE9ELNS1_3repE0EEENS1_30default_config_static_selectorELNS0_4arch9wavefront6targetE1EEEvT1_, .Lfunc_end270-_ZN7rocprim17ROCPRIM_400000_NS6detail17trampoline_kernelINS0_14default_configENS1_25partition_config_selectorILNS1_17partition_subalgoE5ElNS0_10empty_typeEbEEZZNS1_14partition_implILS5_5ELb0ES3_mN6hipcub16HIPCUB_304000_NS21CountingInputIteratorIllEEPS6_NSA_22TransformInputIteratorIb7NonZeroIfEPflEENS0_5tupleIJPlS6_EEENSJ_IJSD_SD_EEES6_SK_JS6_EEE10hipError_tPvRmT3_T4_T5_T6_T7_T9_mT8_P12ihipStream_tbDpT10_ENKUlT_T0_E_clISt17integral_constantIbLb1EES15_IbLb0EEEEDaS11_S12_EUlS11_E_NS1_11comp_targetILNS1_3genE5ELNS1_11target_archE942ELNS1_3gpuE9ELNS1_3repE0EEENS1_30default_config_static_selectorELNS0_4arch9wavefront6targetE1EEEvT1_
                                        ; -- End function
	.set _ZN7rocprim17ROCPRIM_400000_NS6detail17trampoline_kernelINS0_14default_configENS1_25partition_config_selectorILNS1_17partition_subalgoE5ElNS0_10empty_typeEbEEZZNS1_14partition_implILS5_5ELb0ES3_mN6hipcub16HIPCUB_304000_NS21CountingInputIteratorIllEEPS6_NSA_22TransformInputIteratorIb7NonZeroIfEPflEENS0_5tupleIJPlS6_EEENSJ_IJSD_SD_EEES6_SK_JS6_EEE10hipError_tPvRmT3_T4_T5_T6_T7_T9_mT8_P12ihipStream_tbDpT10_ENKUlT_T0_E_clISt17integral_constantIbLb1EES15_IbLb0EEEEDaS11_S12_EUlS11_E_NS1_11comp_targetILNS1_3genE5ELNS1_11target_archE942ELNS1_3gpuE9ELNS1_3repE0EEENS1_30default_config_static_selectorELNS0_4arch9wavefront6targetE1EEEvT1_.num_vgpr, 0
	.set _ZN7rocprim17ROCPRIM_400000_NS6detail17trampoline_kernelINS0_14default_configENS1_25partition_config_selectorILNS1_17partition_subalgoE5ElNS0_10empty_typeEbEEZZNS1_14partition_implILS5_5ELb0ES3_mN6hipcub16HIPCUB_304000_NS21CountingInputIteratorIllEEPS6_NSA_22TransformInputIteratorIb7NonZeroIfEPflEENS0_5tupleIJPlS6_EEENSJ_IJSD_SD_EEES6_SK_JS6_EEE10hipError_tPvRmT3_T4_T5_T6_T7_T9_mT8_P12ihipStream_tbDpT10_ENKUlT_T0_E_clISt17integral_constantIbLb1EES15_IbLb0EEEEDaS11_S12_EUlS11_E_NS1_11comp_targetILNS1_3genE5ELNS1_11target_archE942ELNS1_3gpuE9ELNS1_3repE0EEENS1_30default_config_static_selectorELNS0_4arch9wavefront6targetE1EEEvT1_.num_agpr, 0
	.set _ZN7rocprim17ROCPRIM_400000_NS6detail17trampoline_kernelINS0_14default_configENS1_25partition_config_selectorILNS1_17partition_subalgoE5ElNS0_10empty_typeEbEEZZNS1_14partition_implILS5_5ELb0ES3_mN6hipcub16HIPCUB_304000_NS21CountingInputIteratorIllEEPS6_NSA_22TransformInputIteratorIb7NonZeroIfEPflEENS0_5tupleIJPlS6_EEENSJ_IJSD_SD_EEES6_SK_JS6_EEE10hipError_tPvRmT3_T4_T5_T6_T7_T9_mT8_P12ihipStream_tbDpT10_ENKUlT_T0_E_clISt17integral_constantIbLb1EES15_IbLb0EEEEDaS11_S12_EUlS11_E_NS1_11comp_targetILNS1_3genE5ELNS1_11target_archE942ELNS1_3gpuE9ELNS1_3repE0EEENS1_30default_config_static_selectorELNS0_4arch9wavefront6targetE1EEEvT1_.numbered_sgpr, 0
	.set _ZN7rocprim17ROCPRIM_400000_NS6detail17trampoline_kernelINS0_14default_configENS1_25partition_config_selectorILNS1_17partition_subalgoE5ElNS0_10empty_typeEbEEZZNS1_14partition_implILS5_5ELb0ES3_mN6hipcub16HIPCUB_304000_NS21CountingInputIteratorIllEEPS6_NSA_22TransformInputIteratorIb7NonZeroIfEPflEENS0_5tupleIJPlS6_EEENSJ_IJSD_SD_EEES6_SK_JS6_EEE10hipError_tPvRmT3_T4_T5_T6_T7_T9_mT8_P12ihipStream_tbDpT10_ENKUlT_T0_E_clISt17integral_constantIbLb1EES15_IbLb0EEEEDaS11_S12_EUlS11_E_NS1_11comp_targetILNS1_3genE5ELNS1_11target_archE942ELNS1_3gpuE9ELNS1_3repE0EEENS1_30default_config_static_selectorELNS0_4arch9wavefront6targetE1EEEvT1_.num_named_barrier, 0
	.set _ZN7rocprim17ROCPRIM_400000_NS6detail17trampoline_kernelINS0_14default_configENS1_25partition_config_selectorILNS1_17partition_subalgoE5ElNS0_10empty_typeEbEEZZNS1_14partition_implILS5_5ELb0ES3_mN6hipcub16HIPCUB_304000_NS21CountingInputIteratorIllEEPS6_NSA_22TransformInputIteratorIb7NonZeroIfEPflEENS0_5tupleIJPlS6_EEENSJ_IJSD_SD_EEES6_SK_JS6_EEE10hipError_tPvRmT3_T4_T5_T6_T7_T9_mT8_P12ihipStream_tbDpT10_ENKUlT_T0_E_clISt17integral_constantIbLb1EES15_IbLb0EEEEDaS11_S12_EUlS11_E_NS1_11comp_targetILNS1_3genE5ELNS1_11target_archE942ELNS1_3gpuE9ELNS1_3repE0EEENS1_30default_config_static_selectorELNS0_4arch9wavefront6targetE1EEEvT1_.private_seg_size, 0
	.set _ZN7rocprim17ROCPRIM_400000_NS6detail17trampoline_kernelINS0_14default_configENS1_25partition_config_selectorILNS1_17partition_subalgoE5ElNS0_10empty_typeEbEEZZNS1_14partition_implILS5_5ELb0ES3_mN6hipcub16HIPCUB_304000_NS21CountingInputIteratorIllEEPS6_NSA_22TransformInputIteratorIb7NonZeroIfEPflEENS0_5tupleIJPlS6_EEENSJ_IJSD_SD_EEES6_SK_JS6_EEE10hipError_tPvRmT3_T4_T5_T6_T7_T9_mT8_P12ihipStream_tbDpT10_ENKUlT_T0_E_clISt17integral_constantIbLb1EES15_IbLb0EEEEDaS11_S12_EUlS11_E_NS1_11comp_targetILNS1_3genE5ELNS1_11target_archE942ELNS1_3gpuE9ELNS1_3repE0EEENS1_30default_config_static_selectorELNS0_4arch9wavefront6targetE1EEEvT1_.uses_vcc, 0
	.set _ZN7rocprim17ROCPRIM_400000_NS6detail17trampoline_kernelINS0_14default_configENS1_25partition_config_selectorILNS1_17partition_subalgoE5ElNS0_10empty_typeEbEEZZNS1_14partition_implILS5_5ELb0ES3_mN6hipcub16HIPCUB_304000_NS21CountingInputIteratorIllEEPS6_NSA_22TransformInputIteratorIb7NonZeroIfEPflEENS0_5tupleIJPlS6_EEENSJ_IJSD_SD_EEES6_SK_JS6_EEE10hipError_tPvRmT3_T4_T5_T6_T7_T9_mT8_P12ihipStream_tbDpT10_ENKUlT_T0_E_clISt17integral_constantIbLb1EES15_IbLb0EEEEDaS11_S12_EUlS11_E_NS1_11comp_targetILNS1_3genE5ELNS1_11target_archE942ELNS1_3gpuE9ELNS1_3repE0EEENS1_30default_config_static_selectorELNS0_4arch9wavefront6targetE1EEEvT1_.uses_flat_scratch, 0
	.set _ZN7rocprim17ROCPRIM_400000_NS6detail17trampoline_kernelINS0_14default_configENS1_25partition_config_selectorILNS1_17partition_subalgoE5ElNS0_10empty_typeEbEEZZNS1_14partition_implILS5_5ELb0ES3_mN6hipcub16HIPCUB_304000_NS21CountingInputIteratorIllEEPS6_NSA_22TransformInputIteratorIb7NonZeroIfEPflEENS0_5tupleIJPlS6_EEENSJ_IJSD_SD_EEES6_SK_JS6_EEE10hipError_tPvRmT3_T4_T5_T6_T7_T9_mT8_P12ihipStream_tbDpT10_ENKUlT_T0_E_clISt17integral_constantIbLb1EES15_IbLb0EEEEDaS11_S12_EUlS11_E_NS1_11comp_targetILNS1_3genE5ELNS1_11target_archE942ELNS1_3gpuE9ELNS1_3repE0EEENS1_30default_config_static_selectorELNS0_4arch9wavefront6targetE1EEEvT1_.has_dyn_sized_stack, 0
	.set _ZN7rocprim17ROCPRIM_400000_NS6detail17trampoline_kernelINS0_14default_configENS1_25partition_config_selectorILNS1_17partition_subalgoE5ElNS0_10empty_typeEbEEZZNS1_14partition_implILS5_5ELb0ES3_mN6hipcub16HIPCUB_304000_NS21CountingInputIteratorIllEEPS6_NSA_22TransformInputIteratorIb7NonZeroIfEPflEENS0_5tupleIJPlS6_EEENSJ_IJSD_SD_EEES6_SK_JS6_EEE10hipError_tPvRmT3_T4_T5_T6_T7_T9_mT8_P12ihipStream_tbDpT10_ENKUlT_T0_E_clISt17integral_constantIbLb1EES15_IbLb0EEEEDaS11_S12_EUlS11_E_NS1_11comp_targetILNS1_3genE5ELNS1_11target_archE942ELNS1_3gpuE9ELNS1_3repE0EEENS1_30default_config_static_selectorELNS0_4arch9wavefront6targetE1EEEvT1_.has_recursion, 0
	.set _ZN7rocprim17ROCPRIM_400000_NS6detail17trampoline_kernelINS0_14default_configENS1_25partition_config_selectorILNS1_17partition_subalgoE5ElNS0_10empty_typeEbEEZZNS1_14partition_implILS5_5ELb0ES3_mN6hipcub16HIPCUB_304000_NS21CountingInputIteratorIllEEPS6_NSA_22TransformInputIteratorIb7NonZeroIfEPflEENS0_5tupleIJPlS6_EEENSJ_IJSD_SD_EEES6_SK_JS6_EEE10hipError_tPvRmT3_T4_T5_T6_T7_T9_mT8_P12ihipStream_tbDpT10_ENKUlT_T0_E_clISt17integral_constantIbLb1EES15_IbLb0EEEEDaS11_S12_EUlS11_E_NS1_11comp_targetILNS1_3genE5ELNS1_11target_archE942ELNS1_3gpuE9ELNS1_3repE0EEENS1_30default_config_static_selectorELNS0_4arch9wavefront6targetE1EEEvT1_.has_indirect_call, 0
	.section	.AMDGPU.csdata,"",@progbits
; Kernel info:
; codeLenInByte = 0
; TotalNumSgprs: 4
; NumVgprs: 0
; ScratchSize: 0
; MemoryBound: 0
; FloatMode: 240
; IeeeMode: 1
; LDSByteSize: 0 bytes/workgroup (compile time only)
; SGPRBlocks: 0
; VGPRBlocks: 0
; NumSGPRsForWavesPerEU: 4
; NumVGPRsForWavesPerEU: 1
; Occupancy: 10
; WaveLimiterHint : 0
; COMPUTE_PGM_RSRC2:SCRATCH_EN: 0
; COMPUTE_PGM_RSRC2:USER_SGPR: 6
; COMPUTE_PGM_RSRC2:TRAP_HANDLER: 0
; COMPUTE_PGM_RSRC2:TGID_X_EN: 1
; COMPUTE_PGM_RSRC2:TGID_Y_EN: 0
; COMPUTE_PGM_RSRC2:TGID_Z_EN: 0
; COMPUTE_PGM_RSRC2:TIDIG_COMP_CNT: 0
	.section	.text._ZN7rocprim17ROCPRIM_400000_NS6detail17trampoline_kernelINS0_14default_configENS1_25partition_config_selectorILNS1_17partition_subalgoE5ElNS0_10empty_typeEbEEZZNS1_14partition_implILS5_5ELb0ES3_mN6hipcub16HIPCUB_304000_NS21CountingInputIteratorIllEEPS6_NSA_22TransformInputIteratorIb7NonZeroIfEPflEENS0_5tupleIJPlS6_EEENSJ_IJSD_SD_EEES6_SK_JS6_EEE10hipError_tPvRmT3_T4_T5_T6_T7_T9_mT8_P12ihipStream_tbDpT10_ENKUlT_T0_E_clISt17integral_constantIbLb1EES15_IbLb0EEEEDaS11_S12_EUlS11_E_NS1_11comp_targetILNS1_3genE4ELNS1_11target_archE910ELNS1_3gpuE8ELNS1_3repE0EEENS1_30default_config_static_selectorELNS0_4arch9wavefront6targetE1EEEvT1_,"axG",@progbits,_ZN7rocprim17ROCPRIM_400000_NS6detail17trampoline_kernelINS0_14default_configENS1_25partition_config_selectorILNS1_17partition_subalgoE5ElNS0_10empty_typeEbEEZZNS1_14partition_implILS5_5ELb0ES3_mN6hipcub16HIPCUB_304000_NS21CountingInputIteratorIllEEPS6_NSA_22TransformInputIteratorIb7NonZeroIfEPflEENS0_5tupleIJPlS6_EEENSJ_IJSD_SD_EEES6_SK_JS6_EEE10hipError_tPvRmT3_T4_T5_T6_T7_T9_mT8_P12ihipStream_tbDpT10_ENKUlT_T0_E_clISt17integral_constantIbLb1EES15_IbLb0EEEEDaS11_S12_EUlS11_E_NS1_11comp_targetILNS1_3genE4ELNS1_11target_archE910ELNS1_3gpuE8ELNS1_3repE0EEENS1_30default_config_static_selectorELNS0_4arch9wavefront6targetE1EEEvT1_,comdat
	.protected	_ZN7rocprim17ROCPRIM_400000_NS6detail17trampoline_kernelINS0_14default_configENS1_25partition_config_selectorILNS1_17partition_subalgoE5ElNS0_10empty_typeEbEEZZNS1_14partition_implILS5_5ELb0ES3_mN6hipcub16HIPCUB_304000_NS21CountingInputIteratorIllEEPS6_NSA_22TransformInputIteratorIb7NonZeroIfEPflEENS0_5tupleIJPlS6_EEENSJ_IJSD_SD_EEES6_SK_JS6_EEE10hipError_tPvRmT3_T4_T5_T6_T7_T9_mT8_P12ihipStream_tbDpT10_ENKUlT_T0_E_clISt17integral_constantIbLb1EES15_IbLb0EEEEDaS11_S12_EUlS11_E_NS1_11comp_targetILNS1_3genE4ELNS1_11target_archE910ELNS1_3gpuE8ELNS1_3repE0EEENS1_30default_config_static_selectorELNS0_4arch9wavefront6targetE1EEEvT1_ ; -- Begin function _ZN7rocprim17ROCPRIM_400000_NS6detail17trampoline_kernelINS0_14default_configENS1_25partition_config_selectorILNS1_17partition_subalgoE5ElNS0_10empty_typeEbEEZZNS1_14partition_implILS5_5ELb0ES3_mN6hipcub16HIPCUB_304000_NS21CountingInputIteratorIllEEPS6_NSA_22TransformInputIteratorIb7NonZeroIfEPflEENS0_5tupleIJPlS6_EEENSJ_IJSD_SD_EEES6_SK_JS6_EEE10hipError_tPvRmT3_T4_T5_T6_T7_T9_mT8_P12ihipStream_tbDpT10_ENKUlT_T0_E_clISt17integral_constantIbLb1EES15_IbLb0EEEEDaS11_S12_EUlS11_E_NS1_11comp_targetILNS1_3genE4ELNS1_11target_archE910ELNS1_3gpuE8ELNS1_3repE0EEENS1_30default_config_static_selectorELNS0_4arch9wavefront6targetE1EEEvT1_
	.globl	_ZN7rocprim17ROCPRIM_400000_NS6detail17trampoline_kernelINS0_14default_configENS1_25partition_config_selectorILNS1_17partition_subalgoE5ElNS0_10empty_typeEbEEZZNS1_14partition_implILS5_5ELb0ES3_mN6hipcub16HIPCUB_304000_NS21CountingInputIteratorIllEEPS6_NSA_22TransformInputIteratorIb7NonZeroIfEPflEENS0_5tupleIJPlS6_EEENSJ_IJSD_SD_EEES6_SK_JS6_EEE10hipError_tPvRmT3_T4_T5_T6_T7_T9_mT8_P12ihipStream_tbDpT10_ENKUlT_T0_E_clISt17integral_constantIbLb1EES15_IbLb0EEEEDaS11_S12_EUlS11_E_NS1_11comp_targetILNS1_3genE4ELNS1_11target_archE910ELNS1_3gpuE8ELNS1_3repE0EEENS1_30default_config_static_selectorELNS0_4arch9wavefront6targetE1EEEvT1_
	.p2align	8
	.type	_ZN7rocprim17ROCPRIM_400000_NS6detail17trampoline_kernelINS0_14default_configENS1_25partition_config_selectorILNS1_17partition_subalgoE5ElNS0_10empty_typeEbEEZZNS1_14partition_implILS5_5ELb0ES3_mN6hipcub16HIPCUB_304000_NS21CountingInputIteratorIllEEPS6_NSA_22TransformInputIteratorIb7NonZeroIfEPflEENS0_5tupleIJPlS6_EEENSJ_IJSD_SD_EEES6_SK_JS6_EEE10hipError_tPvRmT3_T4_T5_T6_T7_T9_mT8_P12ihipStream_tbDpT10_ENKUlT_T0_E_clISt17integral_constantIbLb1EES15_IbLb0EEEEDaS11_S12_EUlS11_E_NS1_11comp_targetILNS1_3genE4ELNS1_11target_archE910ELNS1_3gpuE8ELNS1_3repE0EEENS1_30default_config_static_selectorELNS0_4arch9wavefront6targetE1EEEvT1_,@function
_ZN7rocprim17ROCPRIM_400000_NS6detail17trampoline_kernelINS0_14default_configENS1_25partition_config_selectorILNS1_17partition_subalgoE5ElNS0_10empty_typeEbEEZZNS1_14partition_implILS5_5ELb0ES3_mN6hipcub16HIPCUB_304000_NS21CountingInputIteratorIllEEPS6_NSA_22TransformInputIteratorIb7NonZeroIfEPflEENS0_5tupleIJPlS6_EEENSJ_IJSD_SD_EEES6_SK_JS6_EEE10hipError_tPvRmT3_T4_T5_T6_T7_T9_mT8_P12ihipStream_tbDpT10_ENKUlT_T0_E_clISt17integral_constantIbLb1EES15_IbLb0EEEEDaS11_S12_EUlS11_E_NS1_11comp_targetILNS1_3genE4ELNS1_11target_archE910ELNS1_3gpuE8ELNS1_3repE0EEENS1_30default_config_static_selectorELNS0_4arch9wavefront6targetE1EEEvT1_: ; @_ZN7rocprim17ROCPRIM_400000_NS6detail17trampoline_kernelINS0_14default_configENS1_25partition_config_selectorILNS1_17partition_subalgoE5ElNS0_10empty_typeEbEEZZNS1_14partition_implILS5_5ELb0ES3_mN6hipcub16HIPCUB_304000_NS21CountingInputIteratorIllEEPS6_NSA_22TransformInputIteratorIb7NonZeroIfEPflEENS0_5tupleIJPlS6_EEENSJ_IJSD_SD_EEES6_SK_JS6_EEE10hipError_tPvRmT3_T4_T5_T6_T7_T9_mT8_P12ihipStream_tbDpT10_ENKUlT_T0_E_clISt17integral_constantIbLb1EES15_IbLb0EEEEDaS11_S12_EUlS11_E_NS1_11comp_targetILNS1_3genE4ELNS1_11target_archE910ELNS1_3gpuE8ELNS1_3repE0EEENS1_30default_config_static_selectorELNS0_4arch9wavefront6targetE1EEEvT1_
; %bb.0:
	.section	.rodata,"a",@progbits
	.p2align	6, 0x0
	.amdhsa_kernel _ZN7rocprim17ROCPRIM_400000_NS6detail17trampoline_kernelINS0_14default_configENS1_25partition_config_selectorILNS1_17partition_subalgoE5ElNS0_10empty_typeEbEEZZNS1_14partition_implILS5_5ELb0ES3_mN6hipcub16HIPCUB_304000_NS21CountingInputIteratorIllEEPS6_NSA_22TransformInputIteratorIb7NonZeroIfEPflEENS0_5tupleIJPlS6_EEENSJ_IJSD_SD_EEES6_SK_JS6_EEE10hipError_tPvRmT3_T4_T5_T6_T7_T9_mT8_P12ihipStream_tbDpT10_ENKUlT_T0_E_clISt17integral_constantIbLb1EES15_IbLb0EEEEDaS11_S12_EUlS11_E_NS1_11comp_targetILNS1_3genE4ELNS1_11target_archE910ELNS1_3gpuE8ELNS1_3repE0EEENS1_30default_config_static_selectorELNS0_4arch9wavefront6targetE1EEEvT1_
		.amdhsa_group_segment_fixed_size 0
		.amdhsa_private_segment_fixed_size 0
		.amdhsa_kernarg_size 120
		.amdhsa_user_sgpr_count 6
		.amdhsa_user_sgpr_private_segment_buffer 1
		.amdhsa_user_sgpr_dispatch_ptr 0
		.amdhsa_user_sgpr_queue_ptr 0
		.amdhsa_user_sgpr_kernarg_segment_ptr 1
		.amdhsa_user_sgpr_dispatch_id 0
		.amdhsa_user_sgpr_flat_scratch_init 0
		.amdhsa_user_sgpr_private_segment_size 0
		.amdhsa_uses_dynamic_stack 0
		.amdhsa_system_sgpr_private_segment_wavefront_offset 0
		.amdhsa_system_sgpr_workgroup_id_x 1
		.amdhsa_system_sgpr_workgroup_id_y 0
		.amdhsa_system_sgpr_workgroup_id_z 0
		.amdhsa_system_sgpr_workgroup_info 0
		.amdhsa_system_vgpr_workitem_id 0
		.amdhsa_next_free_vgpr 1
		.amdhsa_next_free_sgpr 0
		.amdhsa_reserve_vcc 0
		.amdhsa_reserve_flat_scratch 0
		.amdhsa_float_round_mode_32 0
		.amdhsa_float_round_mode_16_64 0
		.amdhsa_float_denorm_mode_32 3
		.amdhsa_float_denorm_mode_16_64 3
		.amdhsa_dx10_clamp 1
		.amdhsa_ieee_mode 1
		.amdhsa_fp16_overflow 0
		.amdhsa_exception_fp_ieee_invalid_op 0
		.amdhsa_exception_fp_denorm_src 0
		.amdhsa_exception_fp_ieee_div_zero 0
		.amdhsa_exception_fp_ieee_overflow 0
		.amdhsa_exception_fp_ieee_underflow 0
		.amdhsa_exception_fp_ieee_inexact 0
		.amdhsa_exception_int_div_zero 0
	.end_amdhsa_kernel
	.section	.text._ZN7rocprim17ROCPRIM_400000_NS6detail17trampoline_kernelINS0_14default_configENS1_25partition_config_selectorILNS1_17partition_subalgoE5ElNS0_10empty_typeEbEEZZNS1_14partition_implILS5_5ELb0ES3_mN6hipcub16HIPCUB_304000_NS21CountingInputIteratorIllEEPS6_NSA_22TransformInputIteratorIb7NonZeroIfEPflEENS0_5tupleIJPlS6_EEENSJ_IJSD_SD_EEES6_SK_JS6_EEE10hipError_tPvRmT3_T4_T5_T6_T7_T9_mT8_P12ihipStream_tbDpT10_ENKUlT_T0_E_clISt17integral_constantIbLb1EES15_IbLb0EEEEDaS11_S12_EUlS11_E_NS1_11comp_targetILNS1_3genE4ELNS1_11target_archE910ELNS1_3gpuE8ELNS1_3repE0EEENS1_30default_config_static_selectorELNS0_4arch9wavefront6targetE1EEEvT1_,"axG",@progbits,_ZN7rocprim17ROCPRIM_400000_NS6detail17trampoline_kernelINS0_14default_configENS1_25partition_config_selectorILNS1_17partition_subalgoE5ElNS0_10empty_typeEbEEZZNS1_14partition_implILS5_5ELb0ES3_mN6hipcub16HIPCUB_304000_NS21CountingInputIteratorIllEEPS6_NSA_22TransformInputIteratorIb7NonZeroIfEPflEENS0_5tupleIJPlS6_EEENSJ_IJSD_SD_EEES6_SK_JS6_EEE10hipError_tPvRmT3_T4_T5_T6_T7_T9_mT8_P12ihipStream_tbDpT10_ENKUlT_T0_E_clISt17integral_constantIbLb1EES15_IbLb0EEEEDaS11_S12_EUlS11_E_NS1_11comp_targetILNS1_3genE4ELNS1_11target_archE910ELNS1_3gpuE8ELNS1_3repE0EEENS1_30default_config_static_selectorELNS0_4arch9wavefront6targetE1EEEvT1_,comdat
.Lfunc_end271:
	.size	_ZN7rocprim17ROCPRIM_400000_NS6detail17trampoline_kernelINS0_14default_configENS1_25partition_config_selectorILNS1_17partition_subalgoE5ElNS0_10empty_typeEbEEZZNS1_14partition_implILS5_5ELb0ES3_mN6hipcub16HIPCUB_304000_NS21CountingInputIteratorIllEEPS6_NSA_22TransformInputIteratorIb7NonZeroIfEPflEENS0_5tupleIJPlS6_EEENSJ_IJSD_SD_EEES6_SK_JS6_EEE10hipError_tPvRmT3_T4_T5_T6_T7_T9_mT8_P12ihipStream_tbDpT10_ENKUlT_T0_E_clISt17integral_constantIbLb1EES15_IbLb0EEEEDaS11_S12_EUlS11_E_NS1_11comp_targetILNS1_3genE4ELNS1_11target_archE910ELNS1_3gpuE8ELNS1_3repE0EEENS1_30default_config_static_selectorELNS0_4arch9wavefront6targetE1EEEvT1_, .Lfunc_end271-_ZN7rocprim17ROCPRIM_400000_NS6detail17trampoline_kernelINS0_14default_configENS1_25partition_config_selectorILNS1_17partition_subalgoE5ElNS0_10empty_typeEbEEZZNS1_14partition_implILS5_5ELb0ES3_mN6hipcub16HIPCUB_304000_NS21CountingInputIteratorIllEEPS6_NSA_22TransformInputIteratorIb7NonZeroIfEPflEENS0_5tupleIJPlS6_EEENSJ_IJSD_SD_EEES6_SK_JS6_EEE10hipError_tPvRmT3_T4_T5_T6_T7_T9_mT8_P12ihipStream_tbDpT10_ENKUlT_T0_E_clISt17integral_constantIbLb1EES15_IbLb0EEEEDaS11_S12_EUlS11_E_NS1_11comp_targetILNS1_3genE4ELNS1_11target_archE910ELNS1_3gpuE8ELNS1_3repE0EEENS1_30default_config_static_selectorELNS0_4arch9wavefront6targetE1EEEvT1_
                                        ; -- End function
	.set _ZN7rocprim17ROCPRIM_400000_NS6detail17trampoline_kernelINS0_14default_configENS1_25partition_config_selectorILNS1_17partition_subalgoE5ElNS0_10empty_typeEbEEZZNS1_14partition_implILS5_5ELb0ES3_mN6hipcub16HIPCUB_304000_NS21CountingInputIteratorIllEEPS6_NSA_22TransformInputIteratorIb7NonZeroIfEPflEENS0_5tupleIJPlS6_EEENSJ_IJSD_SD_EEES6_SK_JS6_EEE10hipError_tPvRmT3_T4_T5_T6_T7_T9_mT8_P12ihipStream_tbDpT10_ENKUlT_T0_E_clISt17integral_constantIbLb1EES15_IbLb0EEEEDaS11_S12_EUlS11_E_NS1_11comp_targetILNS1_3genE4ELNS1_11target_archE910ELNS1_3gpuE8ELNS1_3repE0EEENS1_30default_config_static_selectorELNS0_4arch9wavefront6targetE1EEEvT1_.num_vgpr, 0
	.set _ZN7rocprim17ROCPRIM_400000_NS6detail17trampoline_kernelINS0_14default_configENS1_25partition_config_selectorILNS1_17partition_subalgoE5ElNS0_10empty_typeEbEEZZNS1_14partition_implILS5_5ELb0ES3_mN6hipcub16HIPCUB_304000_NS21CountingInputIteratorIllEEPS6_NSA_22TransformInputIteratorIb7NonZeroIfEPflEENS0_5tupleIJPlS6_EEENSJ_IJSD_SD_EEES6_SK_JS6_EEE10hipError_tPvRmT3_T4_T5_T6_T7_T9_mT8_P12ihipStream_tbDpT10_ENKUlT_T0_E_clISt17integral_constantIbLb1EES15_IbLb0EEEEDaS11_S12_EUlS11_E_NS1_11comp_targetILNS1_3genE4ELNS1_11target_archE910ELNS1_3gpuE8ELNS1_3repE0EEENS1_30default_config_static_selectorELNS0_4arch9wavefront6targetE1EEEvT1_.num_agpr, 0
	.set _ZN7rocprim17ROCPRIM_400000_NS6detail17trampoline_kernelINS0_14default_configENS1_25partition_config_selectorILNS1_17partition_subalgoE5ElNS0_10empty_typeEbEEZZNS1_14partition_implILS5_5ELb0ES3_mN6hipcub16HIPCUB_304000_NS21CountingInputIteratorIllEEPS6_NSA_22TransformInputIteratorIb7NonZeroIfEPflEENS0_5tupleIJPlS6_EEENSJ_IJSD_SD_EEES6_SK_JS6_EEE10hipError_tPvRmT3_T4_T5_T6_T7_T9_mT8_P12ihipStream_tbDpT10_ENKUlT_T0_E_clISt17integral_constantIbLb1EES15_IbLb0EEEEDaS11_S12_EUlS11_E_NS1_11comp_targetILNS1_3genE4ELNS1_11target_archE910ELNS1_3gpuE8ELNS1_3repE0EEENS1_30default_config_static_selectorELNS0_4arch9wavefront6targetE1EEEvT1_.numbered_sgpr, 0
	.set _ZN7rocprim17ROCPRIM_400000_NS6detail17trampoline_kernelINS0_14default_configENS1_25partition_config_selectorILNS1_17partition_subalgoE5ElNS0_10empty_typeEbEEZZNS1_14partition_implILS5_5ELb0ES3_mN6hipcub16HIPCUB_304000_NS21CountingInputIteratorIllEEPS6_NSA_22TransformInputIteratorIb7NonZeroIfEPflEENS0_5tupleIJPlS6_EEENSJ_IJSD_SD_EEES6_SK_JS6_EEE10hipError_tPvRmT3_T4_T5_T6_T7_T9_mT8_P12ihipStream_tbDpT10_ENKUlT_T0_E_clISt17integral_constantIbLb1EES15_IbLb0EEEEDaS11_S12_EUlS11_E_NS1_11comp_targetILNS1_3genE4ELNS1_11target_archE910ELNS1_3gpuE8ELNS1_3repE0EEENS1_30default_config_static_selectorELNS0_4arch9wavefront6targetE1EEEvT1_.num_named_barrier, 0
	.set _ZN7rocprim17ROCPRIM_400000_NS6detail17trampoline_kernelINS0_14default_configENS1_25partition_config_selectorILNS1_17partition_subalgoE5ElNS0_10empty_typeEbEEZZNS1_14partition_implILS5_5ELb0ES3_mN6hipcub16HIPCUB_304000_NS21CountingInputIteratorIllEEPS6_NSA_22TransformInputIteratorIb7NonZeroIfEPflEENS0_5tupleIJPlS6_EEENSJ_IJSD_SD_EEES6_SK_JS6_EEE10hipError_tPvRmT3_T4_T5_T6_T7_T9_mT8_P12ihipStream_tbDpT10_ENKUlT_T0_E_clISt17integral_constantIbLb1EES15_IbLb0EEEEDaS11_S12_EUlS11_E_NS1_11comp_targetILNS1_3genE4ELNS1_11target_archE910ELNS1_3gpuE8ELNS1_3repE0EEENS1_30default_config_static_selectorELNS0_4arch9wavefront6targetE1EEEvT1_.private_seg_size, 0
	.set _ZN7rocprim17ROCPRIM_400000_NS6detail17trampoline_kernelINS0_14default_configENS1_25partition_config_selectorILNS1_17partition_subalgoE5ElNS0_10empty_typeEbEEZZNS1_14partition_implILS5_5ELb0ES3_mN6hipcub16HIPCUB_304000_NS21CountingInputIteratorIllEEPS6_NSA_22TransformInputIteratorIb7NonZeroIfEPflEENS0_5tupleIJPlS6_EEENSJ_IJSD_SD_EEES6_SK_JS6_EEE10hipError_tPvRmT3_T4_T5_T6_T7_T9_mT8_P12ihipStream_tbDpT10_ENKUlT_T0_E_clISt17integral_constantIbLb1EES15_IbLb0EEEEDaS11_S12_EUlS11_E_NS1_11comp_targetILNS1_3genE4ELNS1_11target_archE910ELNS1_3gpuE8ELNS1_3repE0EEENS1_30default_config_static_selectorELNS0_4arch9wavefront6targetE1EEEvT1_.uses_vcc, 0
	.set _ZN7rocprim17ROCPRIM_400000_NS6detail17trampoline_kernelINS0_14default_configENS1_25partition_config_selectorILNS1_17partition_subalgoE5ElNS0_10empty_typeEbEEZZNS1_14partition_implILS5_5ELb0ES3_mN6hipcub16HIPCUB_304000_NS21CountingInputIteratorIllEEPS6_NSA_22TransformInputIteratorIb7NonZeroIfEPflEENS0_5tupleIJPlS6_EEENSJ_IJSD_SD_EEES6_SK_JS6_EEE10hipError_tPvRmT3_T4_T5_T6_T7_T9_mT8_P12ihipStream_tbDpT10_ENKUlT_T0_E_clISt17integral_constantIbLb1EES15_IbLb0EEEEDaS11_S12_EUlS11_E_NS1_11comp_targetILNS1_3genE4ELNS1_11target_archE910ELNS1_3gpuE8ELNS1_3repE0EEENS1_30default_config_static_selectorELNS0_4arch9wavefront6targetE1EEEvT1_.uses_flat_scratch, 0
	.set _ZN7rocprim17ROCPRIM_400000_NS6detail17trampoline_kernelINS0_14default_configENS1_25partition_config_selectorILNS1_17partition_subalgoE5ElNS0_10empty_typeEbEEZZNS1_14partition_implILS5_5ELb0ES3_mN6hipcub16HIPCUB_304000_NS21CountingInputIteratorIllEEPS6_NSA_22TransformInputIteratorIb7NonZeroIfEPflEENS0_5tupleIJPlS6_EEENSJ_IJSD_SD_EEES6_SK_JS6_EEE10hipError_tPvRmT3_T4_T5_T6_T7_T9_mT8_P12ihipStream_tbDpT10_ENKUlT_T0_E_clISt17integral_constantIbLb1EES15_IbLb0EEEEDaS11_S12_EUlS11_E_NS1_11comp_targetILNS1_3genE4ELNS1_11target_archE910ELNS1_3gpuE8ELNS1_3repE0EEENS1_30default_config_static_selectorELNS0_4arch9wavefront6targetE1EEEvT1_.has_dyn_sized_stack, 0
	.set _ZN7rocprim17ROCPRIM_400000_NS6detail17trampoline_kernelINS0_14default_configENS1_25partition_config_selectorILNS1_17partition_subalgoE5ElNS0_10empty_typeEbEEZZNS1_14partition_implILS5_5ELb0ES3_mN6hipcub16HIPCUB_304000_NS21CountingInputIteratorIllEEPS6_NSA_22TransformInputIteratorIb7NonZeroIfEPflEENS0_5tupleIJPlS6_EEENSJ_IJSD_SD_EEES6_SK_JS6_EEE10hipError_tPvRmT3_T4_T5_T6_T7_T9_mT8_P12ihipStream_tbDpT10_ENKUlT_T0_E_clISt17integral_constantIbLb1EES15_IbLb0EEEEDaS11_S12_EUlS11_E_NS1_11comp_targetILNS1_3genE4ELNS1_11target_archE910ELNS1_3gpuE8ELNS1_3repE0EEENS1_30default_config_static_selectorELNS0_4arch9wavefront6targetE1EEEvT1_.has_recursion, 0
	.set _ZN7rocprim17ROCPRIM_400000_NS6detail17trampoline_kernelINS0_14default_configENS1_25partition_config_selectorILNS1_17partition_subalgoE5ElNS0_10empty_typeEbEEZZNS1_14partition_implILS5_5ELb0ES3_mN6hipcub16HIPCUB_304000_NS21CountingInputIteratorIllEEPS6_NSA_22TransformInputIteratorIb7NonZeroIfEPflEENS0_5tupleIJPlS6_EEENSJ_IJSD_SD_EEES6_SK_JS6_EEE10hipError_tPvRmT3_T4_T5_T6_T7_T9_mT8_P12ihipStream_tbDpT10_ENKUlT_T0_E_clISt17integral_constantIbLb1EES15_IbLb0EEEEDaS11_S12_EUlS11_E_NS1_11comp_targetILNS1_3genE4ELNS1_11target_archE910ELNS1_3gpuE8ELNS1_3repE0EEENS1_30default_config_static_selectorELNS0_4arch9wavefront6targetE1EEEvT1_.has_indirect_call, 0
	.section	.AMDGPU.csdata,"",@progbits
; Kernel info:
; codeLenInByte = 0
; TotalNumSgprs: 4
; NumVgprs: 0
; ScratchSize: 0
; MemoryBound: 0
; FloatMode: 240
; IeeeMode: 1
; LDSByteSize: 0 bytes/workgroup (compile time only)
; SGPRBlocks: 0
; VGPRBlocks: 0
; NumSGPRsForWavesPerEU: 4
; NumVGPRsForWavesPerEU: 1
; Occupancy: 10
; WaveLimiterHint : 0
; COMPUTE_PGM_RSRC2:SCRATCH_EN: 0
; COMPUTE_PGM_RSRC2:USER_SGPR: 6
; COMPUTE_PGM_RSRC2:TRAP_HANDLER: 0
; COMPUTE_PGM_RSRC2:TGID_X_EN: 1
; COMPUTE_PGM_RSRC2:TGID_Y_EN: 0
; COMPUTE_PGM_RSRC2:TGID_Z_EN: 0
; COMPUTE_PGM_RSRC2:TIDIG_COMP_CNT: 0
	.section	.text._ZN7rocprim17ROCPRIM_400000_NS6detail17trampoline_kernelINS0_14default_configENS1_25partition_config_selectorILNS1_17partition_subalgoE5ElNS0_10empty_typeEbEEZZNS1_14partition_implILS5_5ELb0ES3_mN6hipcub16HIPCUB_304000_NS21CountingInputIteratorIllEEPS6_NSA_22TransformInputIteratorIb7NonZeroIfEPflEENS0_5tupleIJPlS6_EEENSJ_IJSD_SD_EEES6_SK_JS6_EEE10hipError_tPvRmT3_T4_T5_T6_T7_T9_mT8_P12ihipStream_tbDpT10_ENKUlT_T0_E_clISt17integral_constantIbLb1EES15_IbLb0EEEEDaS11_S12_EUlS11_E_NS1_11comp_targetILNS1_3genE3ELNS1_11target_archE908ELNS1_3gpuE7ELNS1_3repE0EEENS1_30default_config_static_selectorELNS0_4arch9wavefront6targetE1EEEvT1_,"axG",@progbits,_ZN7rocprim17ROCPRIM_400000_NS6detail17trampoline_kernelINS0_14default_configENS1_25partition_config_selectorILNS1_17partition_subalgoE5ElNS0_10empty_typeEbEEZZNS1_14partition_implILS5_5ELb0ES3_mN6hipcub16HIPCUB_304000_NS21CountingInputIteratorIllEEPS6_NSA_22TransformInputIteratorIb7NonZeroIfEPflEENS0_5tupleIJPlS6_EEENSJ_IJSD_SD_EEES6_SK_JS6_EEE10hipError_tPvRmT3_T4_T5_T6_T7_T9_mT8_P12ihipStream_tbDpT10_ENKUlT_T0_E_clISt17integral_constantIbLb1EES15_IbLb0EEEEDaS11_S12_EUlS11_E_NS1_11comp_targetILNS1_3genE3ELNS1_11target_archE908ELNS1_3gpuE7ELNS1_3repE0EEENS1_30default_config_static_selectorELNS0_4arch9wavefront6targetE1EEEvT1_,comdat
	.protected	_ZN7rocprim17ROCPRIM_400000_NS6detail17trampoline_kernelINS0_14default_configENS1_25partition_config_selectorILNS1_17partition_subalgoE5ElNS0_10empty_typeEbEEZZNS1_14partition_implILS5_5ELb0ES3_mN6hipcub16HIPCUB_304000_NS21CountingInputIteratorIllEEPS6_NSA_22TransformInputIteratorIb7NonZeroIfEPflEENS0_5tupleIJPlS6_EEENSJ_IJSD_SD_EEES6_SK_JS6_EEE10hipError_tPvRmT3_T4_T5_T6_T7_T9_mT8_P12ihipStream_tbDpT10_ENKUlT_T0_E_clISt17integral_constantIbLb1EES15_IbLb0EEEEDaS11_S12_EUlS11_E_NS1_11comp_targetILNS1_3genE3ELNS1_11target_archE908ELNS1_3gpuE7ELNS1_3repE0EEENS1_30default_config_static_selectorELNS0_4arch9wavefront6targetE1EEEvT1_ ; -- Begin function _ZN7rocprim17ROCPRIM_400000_NS6detail17trampoline_kernelINS0_14default_configENS1_25partition_config_selectorILNS1_17partition_subalgoE5ElNS0_10empty_typeEbEEZZNS1_14partition_implILS5_5ELb0ES3_mN6hipcub16HIPCUB_304000_NS21CountingInputIteratorIllEEPS6_NSA_22TransformInputIteratorIb7NonZeroIfEPflEENS0_5tupleIJPlS6_EEENSJ_IJSD_SD_EEES6_SK_JS6_EEE10hipError_tPvRmT3_T4_T5_T6_T7_T9_mT8_P12ihipStream_tbDpT10_ENKUlT_T0_E_clISt17integral_constantIbLb1EES15_IbLb0EEEEDaS11_S12_EUlS11_E_NS1_11comp_targetILNS1_3genE3ELNS1_11target_archE908ELNS1_3gpuE7ELNS1_3repE0EEENS1_30default_config_static_selectorELNS0_4arch9wavefront6targetE1EEEvT1_
	.globl	_ZN7rocprim17ROCPRIM_400000_NS6detail17trampoline_kernelINS0_14default_configENS1_25partition_config_selectorILNS1_17partition_subalgoE5ElNS0_10empty_typeEbEEZZNS1_14partition_implILS5_5ELb0ES3_mN6hipcub16HIPCUB_304000_NS21CountingInputIteratorIllEEPS6_NSA_22TransformInputIteratorIb7NonZeroIfEPflEENS0_5tupleIJPlS6_EEENSJ_IJSD_SD_EEES6_SK_JS6_EEE10hipError_tPvRmT3_T4_T5_T6_T7_T9_mT8_P12ihipStream_tbDpT10_ENKUlT_T0_E_clISt17integral_constantIbLb1EES15_IbLb0EEEEDaS11_S12_EUlS11_E_NS1_11comp_targetILNS1_3genE3ELNS1_11target_archE908ELNS1_3gpuE7ELNS1_3repE0EEENS1_30default_config_static_selectorELNS0_4arch9wavefront6targetE1EEEvT1_
	.p2align	8
	.type	_ZN7rocprim17ROCPRIM_400000_NS6detail17trampoline_kernelINS0_14default_configENS1_25partition_config_selectorILNS1_17partition_subalgoE5ElNS0_10empty_typeEbEEZZNS1_14partition_implILS5_5ELb0ES3_mN6hipcub16HIPCUB_304000_NS21CountingInputIteratorIllEEPS6_NSA_22TransformInputIteratorIb7NonZeroIfEPflEENS0_5tupleIJPlS6_EEENSJ_IJSD_SD_EEES6_SK_JS6_EEE10hipError_tPvRmT3_T4_T5_T6_T7_T9_mT8_P12ihipStream_tbDpT10_ENKUlT_T0_E_clISt17integral_constantIbLb1EES15_IbLb0EEEEDaS11_S12_EUlS11_E_NS1_11comp_targetILNS1_3genE3ELNS1_11target_archE908ELNS1_3gpuE7ELNS1_3repE0EEENS1_30default_config_static_selectorELNS0_4arch9wavefront6targetE1EEEvT1_,@function
_ZN7rocprim17ROCPRIM_400000_NS6detail17trampoline_kernelINS0_14default_configENS1_25partition_config_selectorILNS1_17partition_subalgoE5ElNS0_10empty_typeEbEEZZNS1_14partition_implILS5_5ELb0ES3_mN6hipcub16HIPCUB_304000_NS21CountingInputIteratorIllEEPS6_NSA_22TransformInputIteratorIb7NonZeroIfEPflEENS0_5tupleIJPlS6_EEENSJ_IJSD_SD_EEES6_SK_JS6_EEE10hipError_tPvRmT3_T4_T5_T6_T7_T9_mT8_P12ihipStream_tbDpT10_ENKUlT_T0_E_clISt17integral_constantIbLb1EES15_IbLb0EEEEDaS11_S12_EUlS11_E_NS1_11comp_targetILNS1_3genE3ELNS1_11target_archE908ELNS1_3gpuE7ELNS1_3repE0EEENS1_30default_config_static_selectorELNS0_4arch9wavefront6targetE1EEEvT1_: ; @_ZN7rocprim17ROCPRIM_400000_NS6detail17trampoline_kernelINS0_14default_configENS1_25partition_config_selectorILNS1_17partition_subalgoE5ElNS0_10empty_typeEbEEZZNS1_14partition_implILS5_5ELb0ES3_mN6hipcub16HIPCUB_304000_NS21CountingInputIteratorIllEEPS6_NSA_22TransformInputIteratorIb7NonZeroIfEPflEENS0_5tupleIJPlS6_EEENSJ_IJSD_SD_EEES6_SK_JS6_EEE10hipError_tPvRmT3_T4_T5_T6_T7_T9_mT8_P12ihipStream_tbDpT10_ENKUlT_T0_E_clISt17integral_constantIbLb1EES15_IbLb0EEEEDaS11_S12_EUlS11_E_NS1_11comp_targetILNS1_3genE3ELNS1_11target_archE908ELNS1_3gpuE7ELNS1_3repE0EEENS1_30default_config_static_selectorELNS0_4arch9wavefront6targetE1EEEvT1_
; %bb.0:
	.section	.rodata,"a",@progbits
	.p2align	6, 0x0
	.amdhsa_kernel _ZN7rocprim17ROCPRIM_400000_NS6detail17trampoline_kernelINS0_14default_configENS1_25partition_config_selectorILNS1_17partition_subalgoE5ElNS0_10empty_typeEbEEZZNS1_14partition_implILS5_5ELb0ES3_mN6hipcub16HIPCUB_304000_NS21CountingInputIteratorIllEEPS6_NSA_22TransformInputIteratorIb7NonZeroIfEPflEENS0_5tupleIJPlS6_EEENSJ_IJSD_SD_EEES6_SK_JS6_EEE10hipError_tPvRmT3_T4_T5_T6_T7_T9_mT8_P12ihipStream_tbDpT10_ENKUlT_T0_E_clISt17integral_constantIbLb1EES15_IbLb0EEEEDaS11_S12_EUlS11_E_NS1_11comp_targetILNS1_3genE3ELNS1_11target_archE908ELNS1_3gpuE7ELNS1_3repE0EEENS1_30default_config_static_selectorELNS0_4arch9wavefront6targetE1EEEvT1_
		.amdhsa_group_segment_fixed_size 0
		.amdhsa_private_segment_fixed_size 0
		.amdhsa_kernarg_size 120
		.amdhsa_user_sgpr_count 6
		.amdhsa_user_sgpr_private_segment_buffer 1
		.amdhsa_user_sgpr_dispatch_ptr 0
		.amdhsa_user_sgpr_queue_ptr 0
		.amdhsa_user_sgpr_kernarg_segment_ptr 1
		.amdhsa_user_sgpr_dispatch_id 0
		.amdhsa_user_sgpr_flat_scratch_init 0
		.amdhsa_user_sgpr_private_segment_size 0
		.amdhsa_uses_dynamic_stack 0
		.amdhsa_system_sgpr_private_segment_wavefront_offset 0
		.amdhsa_system_sgpr_workgroup_id_x 1
		.amdhsa_system_sgpr_workgroup_id_y 0
		.amdhsa_system_sgpr_workgroup_id_z 0
		.amdhsa_system_sgpr_workgroup_info 0
		.amdhsa_system_vgpr_workitem_id 0
		.amdhsa_next_free_vgpr 1
		.amdhsa_next_free_sgpr 0
		.amdhsa_reserve_vcc 0
		.amdhsa_reserve_flat_scratch 0
		.amdhsa_float_round_mode_32 0
		.amdhsa_float_round_mode_16_64 0
		.amdhsa_float_denorm_mode_32 3
		.amdhsa_float_denorm_mode_16_64 3
		.amdhsa_dx10_clamp 1
		.amdhsa_ieee_mode 1
		.amdhsa_fp16_overflow 0
		.amdhsa_exception_fp_ieee_invalid_op 0
		.amdhsa_exception_fp_denorm_src 0
		.amdhsa_exception_fp_ieee_div_zero 0
		.amdhsa_exception_fp_ieee_overflow 0
		.amdhsa_exception_fp_ieee_underflow 0
		.amdhsa_exception_fp_ieee_inexact 0
		.amdhsa_exception_int_div_zero 0
	.end_amdhsa_kernel
	.section	.text._ZN7rocprim17ROCPRIM_400000_NS6detail17trampoline_kernelINS0_14default_configENS1_25partition_config_selectorILNS1_17partition_subalgoE5ElNS0_10empty_typeEbEEZZNS1_14partition_implILS5_5ELb0ES3_mN6hipcub16HIPCUB_304000_NS21CountingInputIteratorIllEEPS6_NSA_22TransformInputIteratorIb7NonZeroIfEPflEENS0_5tupleIJPlS6_EEENSJ_IJSD_SD_EEES6_SK_JS6_EEE10hipError_tPvRmT3_T4_T5_T6_T7_T9_mT8_P12ihipStream_tbDpT10_ENKUlT_T0_E_clISt17integral_constantIbLb1EES15_IbLb0EEEEDaS11_S12_EUlS11_E_NS1_11comp_targetILNS1_3genE3ELNS1_11target_archE908ELNS1_3gpuE7ELNS1_3repE0EEENS1_30default_config_static_selectorELNS0_4arch9wavefront6targetE1EEEvT1_,"axG",@progbits,_ZN7rocprim17ROCPRIM_400000_NS6detail17trampoline_kernelINS0_14default_configENS1_25partition_config_selectorILNS1_17partition_subalgoE5ElNS0_10empty_typeEbEEZZNS1_14partition_implILS5_5ELb0ES3_mN6hipcub16HIPCUB_304000_NS21CountingInputIteratorIllEEPS6_NSA_22TransformInputIteratorIb7NonZeroIfEPflEENS0_5tupleIJPlS6_EEENSJ_IJSD_SD_EEES6_SK_JS6_EEE10hipError_tPvRmT3_T4_T5_T6_T7_T9_mT8_P12ihipStream_tbDpT10_ENKUlT_T0_E_clISt17integral_constantIbLb1EES15_IbLb0EEEEDaS11_S12_EUlS11_E_NS1_11comp_targetILNS1_3genE3ELNS1_11target_archE908ELNS1_3gpuE7ELNS1_3repE0EEENS1_30default_config_static_selectorELNS0_4arch9wavefront6targetE1EEEvT1_,comdat
.Lfunc_end272:
	.size	_ZN7rocprim17ROCPRIM_400000_NS6detail17trampoline_kernelINS0_14default_configENS1_25partition_config_selectorILNS1_17partition_subalgoE5ElNS0_10empty_typeEbEEZZNS1_14partition_implILS5_5ELb0ES3_mN6hipcub16HIPCUB_304000_NS21CountingInputIteratorIllEEPS6_NSA_22TransformInputIteratorIb7NonZeroIfEPflEENS0_5tupleIJPlS6_EEENSJ_IJSD_SD_EEES6_SK_JS6_EEE10hipError_tPvRmT3_T4_T5_T6_T7_T9_mT8_P12ihipStream_tbDpT10_ENKUlT_T0_E_clISt17integral_constantIbLb1EES15_IbLb0EEEEDaS11_S12_EUlS11_E_NS1_11comp_targetILNS1_3genE3ELNS1_11target_archE908ELNS1_3gpuE7ELNS1_3repE0EEENS1_30default_config_static_selectorELNS0_4arch9wavefront6targetE1EEEvT1_, .Lfunc_end272-_ZN7rocprim17ROCPRIM_400000_NS6detail17trampoline_kernelINS0_14default_configENS1_25partition_config_selectorILNS1_17partition_subalgoE5ElNS0_10empty_typeEbEEZZNS1_14partition_implILS5_5ELb0ES3_mN6hipcub16HIPCUB_304000_NS21CountingInputIteratorIllEEPS6_NSA_22TransformInputIteratorIb7NonZeroIfEPflEENS0_5tupleIJPlS6_EEENSJ_IJSD_SD_EEES6_SK_JS6_EEE10hipError_tPvRmT3_T4_T5_T6_T7_T9_mT8_P12ihipStream_tbDpT10_ENKUlT_T0_E_clISt17integral_constantIbLb1EES15_IbLb0EEEEDaS11_S12_EUlS11_E_NS1_11comp_targetILNS1_3genE3ELNS1_11target_archE908ELNS1_3gpuE7ELNS1_3repE0EEENS1_30default_config_static_selectorELNS0_4arch9wavefront6targetE1EEEvT1_
                                        ; -- End function
	.set _ZN7rocprim17ROCPRIM_400000_NS6detail17trampoline_kernelINS0_14default_configENS1_25partition_config_selectorILNS1_17partition_subalgoE5ElNS0_10empty_typeEbEEZZNS1_14partition_implILS5_5ELb0ES3_mN6hipcub16HIPCUB_304000_NS21CountingInputIteratorIllEEPS6_NSA_22TransformInputIteratorIb7NonZeroIfEPflEENS0_5tupleIJPlS6_EEENSJ_IJSD_SD_EEES6_SK_JS6_EEE10hipError_tPvRmT3_T4_T5_T6_T7_T9_mT8_P12ihipStream_tbDpT10_ENKUlT_T0_E_clISt17integral_constantIbLb1EES15_IbLb0EEEEDaS11_S12_EUlS11_E_NS1_11comp_targetILNS1_3genE3ELNS1_11target_archE908ELNS1_3gpuE7ELNS1_3repE0EEENS1_30default_config_static_selectorELNS0_4arch9wavefront6targetE1EEEvT1_.num_vgpr, 0
	.set _ZN7rocprim17ROCPRIM_400000_NS6detail17trampoline_kernelINS0_14default_configENS1_25partition_config_selectorILNS1_17partition_subalgoE5ElNS0_10empty_typeEbEEZZNS1_14partition_implILS5_5ELb0ES3_mN6hipcub16HIPCUB_304000_NS21CountingInputIteratorIllEEPS6_NSA_22TransformInputIteratorIb7NonZeroIfEPflEENS0_5tupleIJPlS6_EEENSJ_IJSD_SD_EEES6_SK_JS6_EEE10hipError_tPvRmT3_T4_T5_T6_T7_T9_mT8_P12ihipStream_tbDpT10_ENKUlT_T0_E_clISt17integral_constantIbLb1EES15_IbLb0EEEEDaS11_S12_EUlS11_E_NS1_11comp_targetILNS1_3genE3ELNS1_11target_archE908ELNS1_3gpuE7ELNS1_3repE0EEENS1_30default_config_static_selectorELNS0_4arch9wavefront6targetE1EEEvT1_.num_agpr, 0
	.set _ZN7rocprim17ROCPRIM_400000_NS6detail17trampoline_kernelINS0_14default_configENS1_25partition_config_selectorILNS1_17partition_subalgoE5ElNS0_10empty_typeEbEEZZNS1_14partition_implILS5_5ELb0ES3_mN6hipcub16HIPCUB_304000_NS21CountingInputIteratorIllEEPS6_NSA_22TransformInputIteratorIb7NonZeroIfEPflEENS0_5tupleIJPlS6_EEENSJ_IJSD_SD_EEES6_SK_JS6_EEE10hipError_tPvRmT3_T4_T5_T6_T7_T9_mT8_P12ihipStream_tbDpT10_ENKUlT_T0_E_clISt17integral_constantIbLb1EES15_IbLb0EEEEDaS11_S12_EUlS11_E_NS1_11comp_targetILNS1_3genE3ELNS1_11target_archE908ELNS1_3gpuE7ELNS1_3repE0EEENS1_30default_config_static_selectorELNS0_4arch9wavefront6targetE1EEEvT1_.numbered_sgpr, 0
	.set _ZN7rocprim17ROCPRIM_400000_NS6detail17trampoline_kernelINS0_14default_configENS1_25partition_config_selectorILNS1_17partition_subalgoE5ElNS0_10empty_typeEbEEZZNS1_14partition_implILS5_5ELb0ES3_mN6hipcub16HIPCUB_304000_NS21CountingInputIteratorIllEEPS6_NSA_22TransformInputIteratorIb7NonZeroIfEPflEENS0_5tupleIJPlS6_EEENSJ_IJSD_SD_EEES6_SK_JS6_EEE10hipError_tPvRmT3_T4_T5_T6_T7_T9_mT8_P12ihipStream_tbDpT10_ENKUlT_T0_E_clISt17integral_constantIbLb1EES15_IbLb0EEEEDaS11_S12_EUlS11_E_NS1_11comp_targetILNS1_3genE3ELNS1_11target_archE908ELNS1_3gpuE7ELNS1_3repE0EEENS1_30default_config_static_selectorELNS0_4arch9wavefront6targetE1EEEvT1_.num_named_barrier, 0
	.set _ZN7rocprim17ROCPRIM_400000_NS6detail17trampoline_kernelINS0_14default_configENS1_25partition_config_selectorILNS1_17partition_subalgoE5ElNS0_10empty_typeEbEEZZNS1_14partition_implILS5_5ELb0ES3_mN6hipcub16HIPCUB_304000_NS21CountingInputIteratorIllEEPS6_NSA_22TransformInputIteratorIb7NonZeroIfEPflEENS0_5tupleIJPlS6_EEENSJ_IJSD_SD_EEES6_SK_JS6_EEE10hipError_tPvRmT3_T4_T5_T6_T7_T9_mT8_P12ihipStream_tbDpT10_ENKUlT_T0_E_clISt17integral_constantIbLb1EES15_IbLb0EEEEDaS11_S12_EUlS11_E_NS1_11comp_targetILNS1_3genE3ELNS1_11target_archE908ELNS1_3gpuE7ELNS1_3repE0EEENS1_30default_config_static_selectorELNS0_4arch9wavefront6targetE1EEEvT1_.private_seg_size, 0
	.set _ZN7rocprim17ROCPRIM_400000_NS6detail17trampoline_kernelINS0_14default_configENS1_25partition_config_selectorILNS1_17partition_subalgoE5ElNS0_10empty_typeEbEEZZNS1_14partition_implILS5_5ELb0ES3_mN6hipcub16HIPCUB_304000_NS21CountingInputIteratorIllEEPS6_NSA_22TransformInputIteratorIb7NonZeroIfEPflEENS0_5tupleIJPlS6_EEENSJ_IJSD_SD_EEES6_SK_JS6_EEE10hipError_tPvRmT3_T4_T5_T6_T7_T9_mT8_P12ihipStream_tbDpT10_ENKUlT_T0_E_clISt17integral_constantIbLb1EES15_IbLb0EEEEDaS11_S12_EUlS11_E_NS1_11comp_targetILNS1_3genE3ELNS1_11target_archE908ELNS1_3gpuE7ELNS1_3repE0EEENS1_30default_config_static_selectorELNS0_4arch9wavefront6targetE1EEEvT1_.uses_vcc, 0
	.set _ZN7rocprim17ROCPRIM_400000_NS6detail17trampoline_kernelINS0_14default_configENS1_25partition_config_selectorILNS1_17partition_subalgoE5ElNS0_10empty_typeEbEEZZNS1_14partition_implILS5_5ELb0ES3_mN6hipcub16HIPCUB_304000_NS21CountingInputIteratorIllEEPS6_NSA_22TransformInputIteratorIb7NonZeroIfEPflEENS0_5tupleIJPlS6_EEENSJ_IJSD_SD_EEES6_SK_JS6_EEE10hipError_tPvRmT3_T4_T5_T6_T7_T9_mT8_P12ihipStream_tbDpT10_ENKUlT_T0_E_clISt17integral_constantIbLb1EES15_IbLb0EEEEDaS11_S12_EUlS11_E_NS1_11comp_targetILNS1_3genE3ELNS1_11target_archE908ELNS1_3gpuE7ELNS1_3repE0EEENS1_30default_config_static_selectorELNS0_4arch9wavefront6targetE1EEEvT1_.uses_flat_scratch, 0
	.set _ZN7rocprim17ROCPRIM_400000_NS6detail17trampoline_kernelINS0_14default_configENS1_25partition_config_selectorILNS1_17partition_subalgoE5ElNS0_10empty_typeEbEEZZNS1_14partition_implILS5_5ELb0ES3_mN6hipcub16HIPCUB_304000_NS21CountingInputIteratorIllEEPS6_NSA_22TransformInputIteratorIb7NonZeroIfEPflEENS0_5tupleIJPlS6_EEENSJ_IJSD_SD_EEES6_SK_JS6_EEE10hipError_tPvRmT3_T4_T5_T6_T7_T9_mT8_P12ihipStream_tbDpT10_ENKUlT_T0_E_clISt17integral_constantIbLb1EES15_IbLb0EEEEDaS11_S12_EUlS11_E_NS1_11comp_targetILNS1_3genE3ELNS1_11target_archE908ELNS1_3gpuE7ELNS1_3repE0EEENS1_30default_config_static_selectorELNS0_4arch9wavefront6targetE1EEEvT1_.has_dyn_sized_stack, 0
	.set _ZN7rocprim17ROCPRIM_400000_NS6detail17trampoline_kernelINS0_14default_configENS1_25partition_config_selectorILNS1_17partition_subalgoE5ElNS0_10empty_typeEbEEZZNS1_14partition_implILS5_5ELb0ES3_mN6hipcub16HIPCUB_304000_NS21CountingInputIteratorIllEEPS6_NSA_22TransformInputIteratorIb7NonZeroIfEPflEENS0_5tupleIJPlS6_EEENSJ_IJSD_SD_EEES6_SK_JS6_EEE10hipError_tPvRmT3_T4_T5_T6_T7_T9_mT8_P12ihipStream_tbDpT10_ENKUlT_T0_E_clISt17integral_constantIbLb1EES15_IbLb0EEEEDaS11_S12_EUlS11_E_NS1_11comp_targetILNS1_3genE3ELNS1_11target_archE908ELNS1_3gpuE7ELNS1_3repE0EEENS1_30default_config_static_selectorELNS0_4arch9wavefront6targetE1EEEvT1_.has_recursion, 0
	.set _ZN7rocprim17ROCPRIM_400000_NS6detail17trampoline_kernelINS0_14default_configENS1_25partition_config_selectorILNS1_17partition_subalgoE5ElNS0_10empty_typeEbEEZZNS1_14partition_implILS5_5ELb0ES3_mN6hipcub16HIPCUB_304000_NS21CountingInputIteratorIllEEPS6_NSA_22TransformInputIteratorIb7NonZeroIfEPflEENS0_5tupleIJPlS6_EEENSJ_IJSD_SD_EEES6_SK_JS6_EEE10hipError_tPvRmT3_T4_T5_T6_T7_T9_mT8_P12ihipStream_tbDpT10_ENKUlT_T0_E_clISt17integral_constantIbLb1EES15_IbLb0EEEEDaS11_S12_EUlS11_E_NS1_11comp_targetILNS1_3genE3ELNS1_11target_archE908ELNS1_3gpuE7ELNS1_3repE0EEENS1_30default_config_static_selectorELNS0_4arch9wavefront6targetE1EEEvT1_.has_indirect_call, 0
	.section	.AMDGPU.csdata,"",@progbits
; Kernel info:
; codeLenInByte = 0
; TotalNumSgprs: 4
; NumVgprs: 0
; ScratchSize: 0
; MemoryBound: 0
; FloatMode: 240
; IeeeMode: 1
; LDSByteSize: 0 bytes/workgroup (compile time only)
; SGPRBlocks: 0
; VGPRBlocks: 0
; NumSGPRsForWavesPerEU: 4
; NumVGPRsForWavesPerEU: 1
; Occupancy: 10
; WaveLimiterHint : 0
; COMPUTE_PGM_RSRC2:SCRATCH_EN: 0
; COMPUTE_PGM_RSRC2:USER_SGPR: 6
; COMPUTE_PGM_RSRC2:TRAP_HANDLER: 0
; COMPUTE_PGM_RSRC2:TGID_X_EN: 1
; COMPUTE_PGM_RSRC2:TGID_Y_EN: 0
; COMPUTE_PGM_RSRC2:TGID_Z_EN: 0
; COMPUTE_PGM_RSRC2:TIDIG_COMP_CNT: 0
	.section	.text._ZN7rocprim17ROCPRIM_400000_NS6detail17trampoline_kernelINS0_14default_configENS1_25partition_config_selectorILNS1_17partition_subalgoE5ElNS0_10empty_typeEbEEZZNS1_14partition_implILS5_5ELb0ES3_mN6hipcub16HIPCUB_304000_NS21CountingInputIteratorIllEEPS6_NSA_22TransformInputIteratorIb7NonZeroIfEPflEENS0_5tupleIJPlS6_EEENSJ_IJSD_SD_EEES6_SK_JS6_EEE10hipError_tPvRmT3_T4_T5_T6_T7_T9_mT8_P12ihipStream_tbDpT10_ENKUlT_T0_E_clISt17integral_constantIbLb1EES15_IbLb0EEEEDaS11_S12_EUlS11_E_NS1_11comp_targetILNS1_3genE2ELNS1_11target_archE906ELNS1_3gpuE6ELNS1_3repE0EEENS1_30default_config_static_selectorELNS0_4arch9wavefront6targetE1EEEvT1_,"axG",@progbits,_ZN7rocprim17ROCPRIM_400000_NS6detail17trampoline_kernelINS0_14default_configENS1_25partition_config_selectorILNS1_17partition_subalgoE5ElNS0_10empty_typeEbEEZZNS1_14partition_implILS5_5ELb0ES3_mN6hipcub16HIPCUB_304000_NS21CountingInputIteratorIllEEPS6_NSA_22TransformInputIteratorIb7NonZeroIfEPflEENS0_5tupleIJPlS6_EEENSJ_IJSD_SD_EEES6_SK_JS6_EEE10hipError_tPvRmT3_T4_T5_T6_T7_T9_mT8_P12ihipStream_tbDpT10_ENKUlT_T0_E_clISt17integral_constantIbLb1EES15_IbLb0EEEEDaS11_S12_EUlS11_E_NS1_11comp_targetILNS1_3genE2ELNS1_11target_archE906ELNS1_3gpuE6ELNS1_3repE0EEENS1_30default_config_static_selectorELNS0_4arch9wavefront6targetE1EEEvT1_,comdat
	.protected	_ZN7rocprim17ROCPRIM_400000_NS6detail17trampoline_kernelINS0_14default_configENS1_25partition_config_selectorILNS1_17partition_subalgoE5ElNS0_10empty_typeEbEEZZNS1_14partition_implILS5_5ELb0ES3_mN6hipcub16HIPCUB_304000_NS21CountingInputIteratorIllEEPS6_NSA_22TransformInputIteratorIb7NonZeroIfEPflEENS0_5tupleIJPlS6_EEENSJ_IJSD_SD_EEES6_SK_JS6_EEE10hipError_tPvRmT3_T4_T5_T6_T7_T9_mT8_P12ihipStream_tbDpT10_ENKUlT_T0_E_clISt17integral_constantIbLb1EES15_IbLb0EEEEDaS11_S12_EUlS11_E_NS1_11comp_targetILNS1_3genE2ELNS1_11target_archE906ELNS1_3gpuE6ELNS1_3repE0EEENS1_30default_config_static_selectorELNS0_4arch9wavefront6targetE1EEEvT1_ ; -- Begin function _ZN7rocprim17ROCPRIM_400000_NS6detail17trampoline_kernelINS0_14default_configENS1_25partition_config_selectorILNS1_17partition_subalgoE5ElNS0_10empty_typeEbEEZZNS1_14partition_implILS5_5ELb0ES3_mN6hipcub16HIPCUB_304000_NS21CountingInputIteratorIllEEPS6_NSA_22TransformInputIteratorIb7NonZeroIfEPflEENS0_5tupleIJPlS6_EEENSJ_IJSD_SD_EEES6_SK_JS6_EEE10hipError_tPvRmT3_T4_T5_T6_T7_T9_mT8_P12ihipStream_tbDpT10_ENKUlT_T0_E_clISt17integral_constantIbLb1EES15_IbLb0EEEEDaS11_S12_EUlS11_E_NS1_11comp_targetILNS1_3genE2ELNS1_11target_archE906ELNS1_3gpuE6ELNS1_3repE0EEENS1_30default_config_static_selectorELNS0_4arch9wavefront6targetE1EEEvT1_
	.globl	_ZN7rocprim17ROCPRIM_400000_NS6detail17trampoline_kernelINS0_14default_configENS1_25partition_config_selectorILNS1_17partition_subalgoE5ElNS0_10empty_typeEbEEZZNS1_14partition_implILS5_5ELb0ES3_mN6hipcub16HIPCUB_304000_NS21CountingInputIteratorIllEEPS6_NSA_22TransformInputIteratorIb7NonZeroIfEPflEENS0_5tupleIJPlS6_EEENSJ_IJSD_SD_EEES6_SK_JS6_EEE10hipError_tPvRmT3_T4_T5_T6_T7_T9_mT8_P12ihipStream_tbDpT10_ENKUlT_T0_E_clISt17integral_constantIbLb1EES15_IbLb0EEEEDaS11_S12_EUlS11_E_NS1_11comp_targetILNS1_3genE2ELNS1_11target_archE906ELNS1_3gpuE6ELNS1_3repE0EEENS1_30default_config_static_selectorELNS0_4arch9wavefront6targetE1EEEvT1_
	.p2align	8
	.type	_ZN7rocprim17ROCPRIM_400000_NS6detail17trampoline_kernelINS0_14default_configENS1_25partition_config_selectorILNS1_17partition_subalgoE5ElNS0_10empty_typeEbEEZZNS1_14partition_implILS5_5ELb0ES3_mN6hipcub16HIPCUB_304000_NS21CountingInputIteratorIllEEPS6_NSA_22TransformInputIteratorIb7NonZeroIfEPflEENS0_5tupleIJPlS6_EEENSJ_IJSD_SD_EEES6_SK_JS6_EEE10hipError_tPvRmT3_T4_T5_T6_T7_T9_mT8_P12ihipStream_tbDpT10_ENKUlT_T0_E_clISt17integral_constantIbLb1EES15_IbLb0EEEEDaS11_S12_EUlS11_E_NS1_11comp_targetILNS1_3genE2ELNS1_11target_archE906ELNS1_3gpuE6ELNS1_3repE0EEENS1_30default_config_static_selectorELNS0_4arch9wavefront6targetE1EEEvT1_,@function
_ZN7rocprim17ROCPRIM_400000_NS6detail17trampoline_kernelINS0_14default_configENS1_25partition_config_selectorILNS1_17partition_subalgoE5ElNS0_10empty_typeEbEEZZNS1_14partition_implILS5_5ELb0ES3_mN6hipcub16HIPCUB_304000_NS21CountingInputIteratorIllEEPS6_NSA_22TransformInputIteratorIb7NonZeroIfEPflEENS0_5tupleIJPlS6_EEENSJ_IJSD_SD_EEES6_SK_JS6_EEE10hipError_tPvRmT3_T4_T5_T6_T7_T9_mT8_P12ihipStream_tbDpT10_ENKUlT_T0_E_clISt17integral_constantIbLb1EES15_IbLb0EEEEDaS11_S12_EUlS11_E_NS1_11comp_targetILNS1_3genE2ELNS1_11target_archE906ELNS1_3gpuE6ELNS1_3repE0EEENS1_30default_config_static_selectorELNS0_4arch9wavefront6targetE1EEEvT1_: ; @_ZN7rocprim17ROCPRIM_400000_NS6detail17trampoline_kernelINS0_14default_configENS1_25partition_config_selectorILNS1_17partition_subalgoE5ElNS0_10empty_typeEbEEZZNS1_14partition_implILS5_5ELb0ES3_mN6hipcub16HIPCUB_304000_NS21CountingInputIteratorIllEEPS6_NSA_22TransformInputIteratorIb7NonZeroIfEPflEENS0_5tupleIJPlS6_EEENSJ_IJSD_SD_EEES6_SK_JS6_EEE10hipError_tPvRmT3_T4_T5_T6_T7_T9_mT8_P12ihipStream_tbDpT10_ENKUlT_T0_E_clISt17integral_constantIbLb1EES15_IbLb0EEEEDaS11_S12_EUlS11_E_NS1_11comp_targetILNS1_3genE2ELNS1_11target_archE906ELNS1_3gpuE6ELNS1_3repE0EEENS1_30default_config_static_selectorELNS0_4arch9wavefront6targetE1EEEvT1_
; %bb.0:
	s_endpgm
	.section	.rodata,"a",@progbits
	.p2align	6, 0x0
	.amdhsa_kernel _ZN7rocprim17ROCPRIM_400000_NS6detail17trampoline_kernelINS0_14default_configENS1_25partition_config_selectorILNS1_17partition_subalgoE5ElNS0_10empty_typeEbEEZZNS1_14partition_implILS5_5ELb0ES3_mN6hipcub16HIPCUB_304000_NS21CountingInputIteratorIllEEPS6_NSA_22TransformInputIteratorIb7NonZeroIfEPflEENS0_5tupleIJPlS6_EEENSJ_IJSD_SD_EEES6_SK_JS6_EEE10hipError_tPvRmT3_T4_T5_T6_T7_T9_mT8_P12ihipStream_tbDpT10_ENKUlT_T0_E_clISt17integral_constantIbLb1EES15_IbLb0EEEEDaS11_S12_EUlS11_E_NS1_11comp_targetILNS1_3genE2ELNS1_11target_archE906ELNS1_3gpuE6ELNS1_3repE0EEENS1_30default_config_static_selectorELNS0_4arch9wavefront6targetE1EEEvT1_
		.amdhsa_group_segment_fixed_size 0
		.amdhsa_private_segment_fixed_size 0
		.amdhsa_kernarg_size 120
		.amdhsa_user_sgpr_count 6
		.amdhsa_user_sgpr_private_segment_buffer 1
		.amdhsa_user_sgpr_dispatch_ptr 0
		.amdhsa_user_sgpr_queue_ptr 0
		.amdhsa_user_sgpr_kernarg_segment_ptr 1
		.amdhsa_user_sgpr_dispatch_id 0
		.amdhsa_user_sgpr_flat_scratch_init 0
		.amdhsa_user_sgpr_private_segment_size 0
		.amdhsa_uses_dynamic_stack 0
		.amdhsa_system_sgpr_private_segment_wavefront_offset 0
		.amdhsa_system_sgpr_workgroup_id_x 1
		.amdhsa_system_sgpr_workgroup_id_y 0
		.amdhsa_system_sgpr_workgroup_id_z 0
		.amdhsa_system_sgpr_workgroup_info 0
		.amdhsa_system_vgpr_workitem_id 0
		.amdhsa_next_free_vgpr 1
		.amdhsa_next_free_sgpr 0
		.amdhsa_reserve_vcc 0
		.amdhsa_reserve_flat_scratch 0
		.amdhsa_float_round_mode_32 0
		.amdhsa_float_round_mode_16_64 0
		.amdhsa_float_denorm_mode_32 3
		.amdhsa_float_denorm_mode_16_64 3
		.amdhsa_dx10_clamp 1
		.amdhsa_ieee_mode 1
		.amdhsa_fp16_overflow 0
		.amdhsa_exception_fp_ieee_invalid_op 0
		.amdhsa_exception_fp_denorm_src 0
		.amdhsa_exception_fp_ieee_div_zero 0
		.amdhsa_exception_fp_ieee_overflow 0
		.amdhsa_exception_fp_ieee_underflow 0
		.amdhsa_exception_fp_ieee_inexact 0
		.amdhsa_exception_int_div_zero 0
	.end_amdhsa_kernel
	.section	.text._ZN7rocprim17ROCPRIM_400000_NS6detail17trampoline_kernelINS0_14default_configENS1_25partition_config_selectorILNS1_17partition_subalgoE5ElNS0_10empty_typeEbEEZZNS1_14partition_implILS5_5ELb0ES3_mN6hipcub16HIPCUB_304000_NS21CountingInputIteratorIllEEPS6_NSA_22TransformInputIteratorIb7NonZeroIfEPflEENS0_5tupleIJPlS6_EEENSJ_IJSD_SD_EEES6_SK_JS6_EEE10hipError_tPvRmT3_T4_T5_T6_T7_T9_mT8_P12ihipStream_tbDpT10_ENKUlT_T0_E_clISt17integral_constantIbLb1EES15_IbLb0EEEEDaS11_S12_EUlS11_E_NS1_11comp_targetILNS1_3genE2ELNS1_11target_archE906ELNS1_3gpuE6ELNS1_3repE0EEENS1_30default_config_static_selectorELNS0_4arch9wavefront6targetE1EEEvT1_,"axG",@progbits,_ZN7rocprim17ROCPRIM_400000_NS6detail17trampoline_kernelINS0_14default_configENS1_25partition_config_selectorILNS1_17partition_subalgoE5ElNS0_10empty_typeEbEEZZNS1_14partition_implILS5_5ELb0ES3_mN6hipcub16HIPCUB_304000_NS21CountingInputIteratorIllEEPS6_NSA_22TransformInputIteratorIb7NonZeroIfEPflEENS0_5tupleIJPlS6_EEENSJ_IJSD_SD_EEES6_SK_JS6_EEE10hipError_tPvRmT3_T4_T5_T6_T7_T9_mT8_P12ihipStream_tbDpT10_ENKUlT_T0_E_clISt17integral_constantIbLb1EES15_IbLb0EEEEDaS11_S12_EUlS11_E_NS1_11comp_targetILNS1_3genE2ELNS1_11target_archE906ELNS1_3gpuE6ELNS1_3repE0EEENS1_30default_config_static_selectorELNS0_4arch9wavefront6targetE1EEEvT1_,comdat
.Lfunc_end273:
	.size	_ZN7rocprim17ROCPRIM_400000_NS6detail17trampoline_kernelINS0_14default_configENS1_25partition_config_selectorILNS1_17partition_subalgoE5ElNS0_10empty_typeEbEEZZNS1_14partition_implILS5_5ELb0ES3_mN6hipcub16HIPCUB_304000_NS21CountingInputIteratorIllEEPS6_NSA_22TransformInputIteratorIb7NonZeroIfEPflEENS0_5tupleIJPlS6_EEENSJ_IJSD_SD_EEES6_SK_JS6_EEE10hipError_tPvRmT3_T4_T5_T6_T7_T9_mT8_P12ihipStream_tbDpT10_ENKUlT_T0_E_clISt17integral_constantIbLb1EES15_IbLb0EEEEDaS11_S12_EUlS11_E_NS1_11comp_targetILNS1_3genE2ELNS1_11target_archE906ELNS1_3gpuE6ELNS1_3repE0EEENS1_30default_config_static_selectorELNS0_4arch9wavefront6targetE1EEEvT1_, .Lfunc_end273-_ZN7rocprim17ROCPRIM_400000_NS6detail17trampoline_kernelINS0_14default_configENS1_25partition_config_selectorILNS1_17partition_subalgoE5ElNS0_10empty_typeEbEEZZNS1_14partition_implILS5_5ELb0ES3_mN6hipcub16HIPCUB_304000_NS21CountingInputIteratorIllEEPS6_NSA_22TransformInputIteratorIb7NonZeroIfEPflEENS0_5tupleIJPlS6_EEENSJ_IJSD_SD_EEES6_SK_JS6_EEE10hipError_tPvRmT3_T4_T5_T6_T7_T9_mT8_P12ihipStream_tbDpT10_ENKUlT_T0_E_clISt17integral_constantIbLb1EES15_IbLb0EEEEDaS11_S12_EUlS11_E_NS1_11comp_targetILNS1_3genE2ELNS1_11target_archE906ELNS1_3gpuE6ELNS1_3repE0EEENS1_30default_config_static_selectorELNS0_4arch9wavefront6targetE1EEEvT1_
                                        ; -- End function
	.set _ZN7rocprim17ROCPRIM_400000_NS6detail17trampoline_kernelINS0_14default_configENS1_25partition_config_selectorILNS1_17partition_subalgoE5ElNS0_10empty_typeEbEEZZNS1_14partition_implILS5_5ELb0ES3_mN6hipcub16HIPCUB_304000_NS21CountingInputIteratorIllEEPS6_NSA_22TransformInputIteratorIb7NonZeroIfEPflEENS0_5tupleIJPlS6_EEENSJ_IJSD_SD_EEES6_SK_JS6_EEE10hipError_tPvRmT3_T4_T5_T6_T7_T9_mT8_P12ihipStream_tbDpT10_ENKUlT_T0_E_clISt17integral_constantIbLb1EES15_IbLb0EEEEDaS11_S12_EUlS11_E_NS1_11comp_targetILNS1_3genE2ELNS1_11target_archE906ELNS1_3gpuE6ELNS1_3repE0EEENS1_30default_config_static_selectorELNS0_4arch9wavefront6targetE1EEEvT1_.num_vgpr, 0
	.set _ZN7rocprim17ROCPRIM_400000_NS6detail17trampoline_kernelINS0_14default_configENS1_25partition_config_selectorILNS1_17partition_subalgoE5ElNS0_10empty_typeEbEEZZNS1_14partition_implILS5_5ELb0ES3_mN6hipcub16HIPCUB_304000_NS21CountingInputIteratorIllEEPS6_NSA_22TransformInputIteratorIb7NonZeroIfEPflEENS0_5tupleIJPlS6_EEENSJ_IJSD_SD_EEES6_SK_JS6_EEE10hipError_tPvRmT3_T4_T5_T6_T7_T9_mT8_P12ihipStream_tbDpT10_ENKUlT_T0_E_clISt17integral_constantIbLb1EES15_IbLb0EEEEDaS11_S12_EUlS11_E_NS1_11comp_targetILNS1_3genE2ELNS1_11target_archE906ELNS1_3gpuE6ELNS1_3repE0EEENS1_30default_config_static_selectorELNS0_4arch9wavefront6targetE1EEEvT1_.num_agpr, 0
	.set _ZN7rocprim17ROCPRIM_400000_NS6detail17trampoline_kernelINS0_14default_configENS1_25partition_config_selectorILNS1_17partition_subalgoE5ElNS0_10empty_typeEbEEZZNS1_14partition_implILS5_5ELb0ES3_mN6hipcub16HIPCUB_304000_NS21CountingInputIteratorIllEEPS6_NSA_22TransformInputIteratorIb7NonZeroIfEPflEENS0_5tupleIJPlS6_EEENSJ_IJSD_SD_EEES6_SK_JS6_EEE10hipError_tPvRmT3_T4_T5_T6_T7_T9_mT8_P12ihipStream_tbDpT10_ENKUlT_T0_E_clISt17integral_constantIbLb1EES15_IbLb0EEEEDaS11_S12_EUlS11_E_NS1_11comp_targetILNS1_3genE2ELNS1_11target_archE906ELNS1_3gpuE6ELNS1_3repE0EEENS1_30default_config_static_selectorELNS0_4arch9wavefront6targetE1EEEvT1_.numbered_sgpr, 0
	.set _ZN7rocprim17ROCPRIM_400000_NS6detail17trampoline_kernelINS0_14default_configENS1_25partition_config_selectorILNS1_17partition_subalgoE5ElNS0_10empty_typeEbEEZZNS1_14partition_implILS5_5ELb0ES3_mN6hipcub16HIPCUB_304000_NS21CountingInputIteratorIllEEPS6_NSA_22TransformInputIteratorIb7NonZeroIfEPflEENS0_5tupleIJPlS6_EEENSJ_IJSD_SD_EEES6_SK_JS6_EEE10hipError_tPvRmT3_T4_T5_T6_T7_T9_mT8_P12ihipStream_tbDpT10_ENKUlT_T0_E_clISt17integral_constantIbLb1EES15_IbLb0EEEEDaS11_S12_EUlS11_E_NS1_11comp_targetILNS1_3genE2ELNS1_11target_archE906ELNS1_3gpuE6ELNS1_3repE0EEENS1_30default_config_static_selectorELNS0_4arch9wavefront6targetE1EEEvT1_.num_named_barrier, 0
	.set _ZN7rocprim17ROCPRIM_400000_NS6detail17trampoline_kernelINS0_14default_configENS1_25partition_config_selectorILNS1_17partition_subalgoE5ElNS0_10empty_typeEbEEZZNS1_14partition_implILS5_5ELb0ES3_mN6hipcub16HIPCUB_304000_NS21CountingInputIteratorIllEEPS6_NSA_22TransformInputIteratorIb7NonZeroIfEPflEENS0_5tupleIJPlS6_EEENSJ_IJSD_SD_EEES6_SK_JS6_EEE10hipError_tPvRmT3_T4_T5_T6_T7_T9_mT8_P12ihipStream_tbDpT10_ENKUlT_T0_E_clISt17integral_constantIbLb1EES15_IbLb0EEEEDaS11_S12_EUlS11_E_NS1_11comp_targetILNS1_3genE2ELNS1_11target_archE906ELNS1_3gpuE6ELNS1_3repE0EEENS1_30default_config_static_selectorELNS0_4arch9wavefront6targetE1EEEvT1_.private_seg_size, 0
	.set _ZN7rocprim17ROCPRIM_400000_NS6detail17trampoline_kernelINS0_14default_configENS1_25partition_config_selectorILNS1_17partition_subalgoE5ElNS0_10empty_typeEbEEZZNS1_14partition_implILS5_5ELb0ES3_mN6hipcub16HIPCUB_304000_NS21CountingInputIteratorIllEEPS6_NSA_22TransformInputIteratorIb7NonZeroIfEPflEENS0_5tupleIJPlS6_EEENSJ_IJSD_SD_EEES6_SK_JS6_EEE10hipError_tPvRmT3_T4_T5_T6_T7_T9_mT8_P12ihipStream_tbDpT10_ENKUlT_T0_E_clISt17integral_constantIbLb1EES15_IbLb0EEEEDaS11_S12_EUlS11_E_NS1_11comp_targetILNS1_3genE2ELNS1_11target_archE906ELNS1_3gpuE6ELNS1_3repE0EEENS1_30default_config_static_selectorELNS0_4arch9wavefront6targetE1EEEvT1_.uses_vcc, 0
	.set _ZN7rocprim17ROCPRIM_400000_NS6detail17trampoline_kernelINS0_14default_configENS1_25partition_config_selectorILNS1_17partition_subalgoE5ElNS0_10empty_typeEbEEZZNS1_14partition_implILS5_5ELb0ES3_mN6hipcub16HIPCUB_304000_NS21CountingInputIteratorIllEEPS6_NSA_22TransformInputIteratorIb7NonZeroIfEPflEENS0_5tupleIJPlS6_EEENSJ_IJSD_SD_EEES6_SK_JS6_EEE10hipError_tPvRmT3_T4_T5_T6_T7_T9_mT8_P12ihipStream_tbDpT10_ENKUlT_T0_E_clISt17integral_constantIbLb1EES15_IbLb0EEEEDaS11_S12_EUlS11_E_NS1_11comp_targetILNS1_3genE2ELNS1_11target_archE906ELNS1_3gpuE6ELNS1_3repE0EEENS1_30default_config_static_selectorELNS0_4arch9wavefront6targetE1EEEvT1_.uses_flat_scratch, 0
	.set _ZN7rocprim17ROCPRIM_400000_NS6detail17trampoline_kernelINS0_14default_configENS1_25partition_config_selectorILNS1_17partition_subalgoE5ElNS0_10empty_typeEbEEZZNS1_14partition_implILS5_5ELb0ES3_mN6hipcub16HIPCUB_304000_NS21CountingInputIteratorIllEEPS6_NSA_22TransformInputIteratorIb7NonZeroIfEPflEENS0_5tupleIJPlS6_EEENSJ_IJSD_SD_EEES6_SK_JS6_EEE10hipError_tPvRmT3_T4_T5_T6_T7_T9_mT8_P12ihipStream_tbDpT10_ENKUlT_T0_E_clISt17integral_constantIbLb1EES15_IbLb0EEEEDaS11_S12_EUlS11_E_NS1_11comp_targetILNS1_3genE2ELNS1_11target_archE906ELNS1_3gpuE6ELNS1_3repE0EEENS1_30default_config_static_selectorELNS0_4arch9wavefront6targetE1EEEvT1_.has_dyn_sized_stack, 0
	.set _ZN7rocprim17ROCPRIM_400000_NS6detail17trampoline_kernelINS0_14default_configENS1_25partition_config_selectorILNS1_17partition_subalgoE5ElNS0_10empty_typeEbEEZZNS1_14partition_implILS5_5ELb0ES3_mN6hipcub16HIPCUB_304000_NS21CountingInputIteratorIllEEPS6_NSA_22TransformInputIteratorIb7NonZeroIfEPflEENS0_5tupleIJPlS6_EEENSJ_IJSD_SD_EEES6_SK_JS6_EEE10hipError_tPvRmT3_T4_T5_T6_T7_T9_mT8_P12ihipStream_tbDpT10_ENKUlT_T0_E_clISt17integral_constantIbLb1EES15_IbLb0EEEEDaS11_S12_EUlS11_E_NS1_11comp_targetILNS1_3genE2ELNS1_11target_archE906ELNS1_3gpuE6ELNS1_3repE0EEENS1_30default_config_static_selectorELNS0_4arch9wavefront6targetE1EEEvT1_.has_recursion, 0
	.set _ZN7rocprim17ROCPRIM_400000_NS6detail17trampoline_kernelINS0_14default_configENS1_25partition_config_selectorILNS1_17partition_subalgoE5ElNS0_10empty_typeEbEEZZNS1_14partition_implILS5_5ELb0ES3_mN6hipcub16HIPCUB_304000_NS21CountingInputIteratorIllEEPS6_NSA_22TransformInputIteratorIb7NonZeroIfEPflEENS0_5tupleIJPlS6_EEENSJ_IJSD_SD_EEES6_SK_JS6_EEE10hipError_tPvRmT3_T4_T5_T6_T7_T9_mT8_P12ihipStream_tbDpT10_ENKUlT_T0_E_clISt17integral_constantIbLb1EES15_IbLb0EEEEDaS11_S12_EUlS11_E_NS1_11comp_targetILNS1_3genE2ELNS1_11target_archE906ELNS1_3gpuE6ELNS1_3repE0EEENS1_30default_config_static_selectorELNS0_4arch9wavefront6targetE1EEEvT1_.has_indirect_call, 0
	.section	.AMDGPU.csdata,"",@progbits
; Kernel info:
; codeLenInByte = 4
; TotalNumSgprs: 4
; NumVgprs: 0
; ScratchSize: 0
; MemoryBound: 0
; FloatMode: 240
; IeeeMode: 1
; LDSByteSize: 0 bytes/workgroup (compile time only)
; SGPRBlocks: 0
; VGPRBlocks: 0
; NumSGPRsForWavesPerEU: 4
; NumVGPRsForWavesPerEU: 1
; Occupancy: 10
; WaveLimiterHint : 0
; COMPUTE_PGM_RSRC2:SCRATCH_EN: 0
; COMPUTE_PGM_RSRC2:USER_SGPR: 6
; COMPUTE_PGM_RSRC2:TRAP_HANDLER: 0
; COMPUTE_PGM_RSRC2:TGID_X_EN: 1
; COMPUTE_PGM_RSRC2:TGID_Y_EN: 0
; COMPUTE_PGM_RSRC2:TGID_Z_EN: 0
; COMPUTE_PGM_RSRC2:TIDIG_COMP_CNT: 0
	.section	.text._ZN7rocprim17ROCPRIM_400000_NS6detail17trampoline_kernelINS0_14default_configENS1_25partition_config_selectorILNS1_17partition_subalgoE5ElNS0_10empty_typeEbEEZZNS1_14partition_implILS5_5ELb0ES3_mN6hipcub16HIPCUB_304000_NS21CountingInputIteratorIllEEPS6_NSA_22TransformInputIteratorIb7NonZeroIfEPflEENS0_5tupleIJPlS6_EEENSJ_IJSD_SD_EEES6_SK_JS6_EEE10hipError_tPvRmT3_T4_T5_T6_T7_T9_mT8_P12ihipStream_tbDpT10_ENKUlT_T0_E_clISt17integral_constantIbLb1EES15_IbLb0EEEEDaS11_S12_EUlS11_E_NS1_11comp_targetILNS1_3genE10ELNS1_11target_archE1200ELNS1_3gpuE4ELNS1_3repE0EEENS1_30default_config_static_selectorELNS0_4arch9wavefront6targetE1EEEvT1_,"axG",@progbits,_ZN7rocprim17ROCPRIM_400000_NS6detail17trampoline_kernelINS0_14default_configENS1_25partition_config_selectorILNS1_17partition_subalgoE5ElNS0_10empty_typeEbEEZZNS1_14partition_implILS5_5ELb0ES3_mN6hipcub16HIPCUB_304000_NS21CountingInputIteratorIllEEPS6_NSA_22TransformInputIteratorIb7NonZeroIfEPflEENS0_5tupleIJPlS6_EEENSJ_IJSD_SD_EEES6_SK_JS6_EEE10hipError_tPvRmT3_T4_T5_T6_T7_T9_mT8_P12ihipStream_tbDpT10_ENKUlT_T0_E_clISt17integral_constantIbLb1EES15_IbLb0EEEEDaS11_S12_EUlS11_E_NS1_11comp_targetILNS1_3genE10ELNS1_11target_archE1200ELNS1_3gpuE4ELNS1_3repE0EEENS1_30default_config_static_selectorELNS0_4arch9wavefront6targetE1EEEvT1_,comdat
	.protected	_ZN7rocprim17ROCPRIM_400000_NS6detail17trampoline_kernelINS0_14default_configENS1_25partition_config_selectorILNS1_17partition_subalgoE5ElNS0_10empty_typeEbEEZZNS1_14partition_implILS5_5ELb0ES3_mN6hipcub16HIPCUB_304000_NS21CountingInputIteratorIllEEPS6_NSA_22TransformInputIteratorIb7NonZeroIfEPflEENS0_5tupleIJPlS6_EEENSJ_IJSD_SD_EEES6_SK_JS6_EEE10hipError_tPvRmT3_T4_T5_T6_T7_T9_mT8_P12ihipStream_tbDpT10_ENKUlT_T0_E_clISt17integral_constantIbLb1EES15_IbLb0EEEEDaS11_S12_EUlS11_E_NS1_11comp_targetILNS1_3genE10ELNS1_11target_archE1200ELNS1_3gpuE4ELNS1_3repE0EEENS1_30default_config_static_selectorELNS0_4arch9wavefront6targetE1EEEvT1_ ; -- Begin function _ZN7rocprim17ROCPRIM_400000_NS6detail17trampoline_kernelINS0_14default_configENS1_25partition_config_selectorILNS1_17partition_subalgoE5ElNS0_10empty_typeEbEEZZNS1_14partition_implILS5_5ELb0ES3_mN6hipcub16HIPCUB_304000_NS21CountingInputIteratorIllEEPS6_NSA_22TransformInputIteratorIb7NonZeroIfEPflEENS0_5tupleIJPlS6_EEENSJ_IJSD_SD_EEES6_SK_JS6_EEE10hipError_tPvRmT3_T4_T5_T6_T7_T9_mT8_P12ihipStream_tbDpT10_ENKUlT_T0_E_clISt17integral_constantIbLb1EES15_IbLb0EEEEDaS11_S12_EUlS11_E_NS1_11comp_targetILNS1_3genE10ELNS1_11target_archE1200ELNS1_3gpuE4ELNS1_3repE0EEENS1_30default_config_static_selectorELNS0_4arch9wavefront6targetE1EEEvT1_
	.globl	_ZN7rocprim17ROCPRIM_400000_NS6detail17trampoline_kernelINS0_14default_configENS1_25partition_config_selectorILNS1_17partition_subalgoE5ElNS0_10empty_typeEbEEZZNS1_14partition_implILS5_5ELb0ES3_mN6hipcub16HIPCUB_304000_NS21CountingInputIteratorIllEEPS6_NSA_22TransformInputIteratorIb7NonZeroIfEPflEENS0_5tupleIJPlS6_EEENSJ_IJSD_SD_EEES6_SK_JS6_EEE10hipError_tPvRmT3_T4_T5_T6_T7_T9_mT8_P12ihipStream_tbDpT10_ENKUlT_T0_E_clISt17integral_constantIbLb1EES15_IbLb0EEEEDaS11_S12_EUlS11_E_NS1_11comp_targetILNS1_3genE10ELNS1_11target_archE1200ELNS1_3gpuE4ELNS1_3repE0EEENS1_30default_config_static_selectorELNS0_4arch9wavefront6targetE1EEEvT1_
	.p2align	8
	.type	_ZN7rocprim17ROCPRIM_400000_NS6detail17trampoline_kernelINS0_14default_configENS1_25partition_config_selectorILNS1_17partition_subalgoE5ElNS0_10empty_typeEbEEZZNS1_14partition_implILS5_5ELb0ES3_mN6hipcub16HIPCUB_304000_NS21CountingInputIteratorIllEEPS6_NSA_22TransformInputIteratorIb7NonZeroIfEPflEENS0_5tupleIJPlS6_EEENSJ_IJSD_SD_EEES6_SK_JS6_EEE10hipError_tPvRmT3_T4_T5_T6_T7_T9_mT8_P12ihipStream_tbDpT10_ENKUlT_T0_E_clISt17integral_constantIbLb1EES15_IbLb0EEEEDaS11_S12_EUlS11_E_NS1_11comp_targetILNS1_3genE10ELNS1_11target_archE1200ELNS1_3gpuE4ELNS1_3repE0EEENS1_30default_config_static_selectorELNS0_4arch9wavefront6targetE1EEEvT1_,@function
_ZN7rocprim17ROCPRIM_400000_NS6detail17trampoline_kernelINS0_14default_configENS1_25partition_config_selectorILNS1_17partition_subalgoE5ElNS0_10empty_typeEbEEZZNS1_14partition_implILS5_5ELb0ES3_mN6hipcub16HIPCUB_304000_NS21CountingInputIteratorIllEEPS6_NSA_22TransformInputIteratorIb7NonZeroIfEPflEENS0_5tupleIJPlS6_EEENSJ_IJSD_SD_EEES6_SK_JS6_EEE10hipError_tPvRmT3_T4_T5_T6_T7_T9_mT8_P12ihipStream_tbDpT10_ENKUlT_T0_E_clISt17integral_constantIbLb1EES15_IbLb0EEEEDaS11_S12_EUlS11_E_NS1_11comp_targetILNS1_3genE10ELNS1_11target_archE1200ELNS1_3gpuE4ELNS1_3repE0EEENS1_30default_config_static_selectorELNS0_4arch9wavefront6targetE1EEEvT1_: ; @_ZN7rocprim17ROCPRIM_400000_NS6detail17trampoline_kernelINS0_14default_configENS1_25partition_config_selectorILNS1_17partition_subalgoE5ElNS0_10empty_typeEbEEZZNS1_14partition_implILS5_5ELb0ES3_mN6hipcub16HIPCUB_304000_NS21CountingInputIteratorIllEEPS6_NSA_22TransformInputIteratorIb7NonZeroIfEPflEENS0_5tupleIJPlS6_EEENSJ_IJSD_SD_EEES6_SK_JS6_EEE10hipError_tPvRmT3_T4_T5_T6_T7_T9_mT8_P12ihipStream_tbDpT10_ENKUlT_T0_E_clISt17integral_constantIbLb1EES15_IbLb0EEEEDaS11_S12_EUlS11_E_NS1_11comp_targetILNS1_3genE10ELNS1_11target_archE1200ELNS1_3gpuE4ELNS1_3repE0EEENS1_30default_config_static_selectorELNS0_4arch9wavefront6targetE1EEEvT1_
; %bb.0:
	.section	.rodata,"a",@progbits
	.p2align	6, 0x0
	.amdhsa_kernel _ZN7rocprim17ROCPRIM_400000_NS6detail17trampoline_kernelINS0_14default_configENS1_25partition_config_selectorILNS1_17partition_subalgoE5ElNS0_10empty_typeEbEEZZNS1_14partition_implILS5_5ELb0ES3_mN6hipcub16HIPCUB_304000_NS21CountingInputIteratorIllEEPS6_NSA_22TransformInputIteratorIb7NonZeroIfEPflEENS0_5tupleIJPlS6_EEENSJ_IJSD_SD_EEES6_SK_JS6_EEE10hipError_tPvRmT3_T4_T5_T6_T7_T9_mT8_P12ihipStream_tbDpT10_ENKUlT_T0_E_clISt17integral_constantIbLb1EES15_IbLb0EEEEDaS11_S12_EUlS11_E_NS1_11comp_targetILNS1_3genE10ELNS1_11target_archE1200ELNS1_3gpuE4ELNS1_3repE0EEENS1_30default_config_static_selectorELNS0_4arch9wavefront6targetE1EEEvT1_
		.amdhsa_group_segment_fixed_size 0
		.amdhsa_private_segment_fixed_size 0
		.amdhsa_kernarg_size 120
		.amdhsa_user_sgpr_count 6
		.amdhsa_user_sgpr_private_segment_buffer 1
		.amdhsa_user_sgpr_dispatch_ptr 0
		.amdhsa_user_sgpr_queue_ptr 0
		.amdhsa_user_sgpr_kernarg_segment_ptr 1
		.amdhsa_user_sgpr_dispatch_id 0
		.amdhsa_user_sgpr_flat_scratch_init 0
		.amdhsa_user_sgpr_private_segment_size 0
		.amdhsa_uses_dynamic_stack 0
		.amdhsa_system_sgpr_private_segment_wavefront_offset 0
		.amdhsa_system_sgpr_workgroup_id_x 1
		.amdhsa_system_sgpr_workgroup_id_y 0
		.amdhsa_system_sgpr_workgroup_id_z 0
		.amdhsa_system_sgpr_workgroup_info 0
		.amdhsa_system_vgpr_workitem_id 0
		.amdhsa_next_free_vgpr 1
		.amdhsa_next_free_sgpr 0
		.amdhsa_reserve_vcc 0
		.amdhsa_reserve_flat_scratch 0
		.amdhsa_float_round_mode_32 0
		.amdhsa_float_round_mode_16_64 0
		.amdhsa_float_denorm_mode_32 3
		.amdhsa_float_denorm_mode_16_64 3
		.amdhsa_dx10_clamp 1
		.amdhsa_ieee_mode 1
		.amdhsa_fp16_overflow 0
		.amdhsa_exception_fp_ieee_invalid_op 0
		.amdhsa_exception_fp_denorm_src 0
		.amdhsa_exception_fp_ieee_div_zero 0
		.amdhsa_exception_fp_ieee_overflow 0
		.amdhsa_exception_fp_ieee_underflow 0
		.amdhsa_exception_fp_ieee_inexact 0
		.amdhsa_exception_int_div_zero 0
	.end_amdhsa_kernel
	.section	.text._ZN7rocprim17ROCPRIM_400000_NS6detail17trampoline_kernelINS0_14default_configENS1_25partition_config_selectorILNS1_17partition_subalgoE5ElNS0_10empty_typeEbEEZZNS1_14partition_implILS5_5ELb0ES3_mN6hipcub16HIPCUB_304000_NS21CountingInputIteratorIllEEPS6_NSA_22TransformInputIteratorIb7NonZeroIfEPflEENS0_5tupleIJPlS6_EEENSJ_IJSD_SD_EEES6_SK_JS6_EEE10hipError_tPvRmT3_T4_T5_T6_T7_T9_mT8_P12ihipStream_tbDpT10_ENKUlT_T0_E_clISt17integral_constantIbLb1EES15_IbLb0EEEEDaS11_S12_EUlS11_E_NS1_11comp_targetILNS1_3genE10ELNS1_11target_archE1200ELNS1_3gpuE4ELNS1_3repE0EEENS1_30default_config_static_selectorELNS0_4arch9wavefront6targetE1EEEvT1_,"axG",@progbits,_ZN7rocprim17ROCPRIM_400000_NS6detail17trampoline_kernelINS0_14default_configENS1_25partition_config_selectorILNS1_17partition_subalgoE5ElNS0_10empty_typeEbEEZZNS1_14partition_implILS5_5ELb0ES3_mN6hipcub16HIPCUB_304000_NS21CountingInputIteratorIllEEPS6_NSA_22TransformInputIteratorIb7NonZeroIfEPflEENS0_5tupleIJPlS6_EEENSJ_IJSD_SD_EEES6_SK_JS6_EEE10hipError_tPvRmT3_T4_T5_T6_T7_T9_mT8_P12ihipStream_tbDpT10_ENKUlT_T0_E_clISt17integral_constantIbLb1EES15_IbLb0EEEEDaS11_S12_EUlS11_E_NS1_11comp_targetILNS1_3genE10ELNS1_11target_archE1200ELNS1_3gpuE4ELNS1_3repE0EEENS1_30default_config_static_selectorELNS0_4arch9wavefront6targetE1EEEvT1_,comdat
.Lfunc_end274:
	.size	_ZN7rocprim17ROCPRIM_400000_NS6detail17trampoline_kernelINS0_14default_configENS1_25partition_config_selectorILNS1_17partition_subalgoE5ElNS0_10empty_typeEbEEZZNS1_14partition_implILS5_5ELb0ES3_mN6hipcub16HIPCUB_304000_NS21CountingInputIteratorIllEEPS6_NSA_22TransformInputIteratorIb7NonZeroIfEPflEENS0_5tupleIJPlS6_EEENSJ_IJSD_SD_EEES6_SK_JS6_EEE10hipError_tPvRmT3_T4_T5_T6_T7_T9_mT8_P12ihipStream_tbDpT10_ENKUlT_T0_E_clISt17integral_constantIbLb1EES15_IbLb0EEEEDaS11_S12_EUlS11_E_NS1_11comp_targetILNS1_3genE10ELNS1_11target_archE1200ELNS1_3gpuE4ELNS1_3repE0EEENS1_30default_config_static_selectorELNS0_4arch9wavefront6targetE1EEEvT1_, .Lfunc_end274-_ZN7rocprim17ROCPRIM_400000_NS6detail17trampoline_kernelINS0_14default_configENS1_25partition_config_selectorILNS1_17partition_subalgoE5ElNS0_10empty_typeEbEEZZNS1_14partition_implILS5_5ELb0ES3_mN6hipcub16HIPCUB_304000_NS21CountingInputIteratorIllEEPS6_NSA_22TransformInputIteratorIb7NonZeroIfEPflEENS0_5tupleIJPlS6_EEENSJ_IJSD_SD_EEES6_SK_JS6_EEE10hipError_tPvRmT3_T4_T5_T6_T7_T9_mT8_P12ihipStream_tbDpT10_ENKUlT_T0_E_clISt17integral_constantIbLb1EES15_IbLb0EEEEDaS11_S12_EUlS11_E_NS1_11comp_targetILNS1_3genE10ELNS1_11target_archE1200ELNS1_3gpuE4ELNS1_3repE0EEENS1_30default_config_static_selectorELNS0_4arch9wavefront6targetE1EEEvT1_
                                        ; -- End function
	.set _ZN7rocprim17ROCPRIM_400000_NS6detail17trampoline_kernelINS0_14default_configENS1_25partition_config_selectorILNS1_17partition_subalgoE5ElNS0_10empty_typeEbEEZZNS1_14partition_implILS5_5ELb0ES3_mN6hipcub16HIPCUB_304000_NS21CountingInputIteratorIllEEPS6_NSA_22TransformInputIteratorIb7NonZeroIfEPflEENS0_5tupleIJPlS6_EEENSJ_IJSD_SD_EEES6_SK_JS6_EEE10hipError_tPvRmT3_T4_T5_T6_T7_T9_mT8_P12ihipStream_tbDpT10_ENKUlT_T0_E_clISt17integral_constantIbLb1EES15_IbLb0EEEEDaS11_S12_EUlS11_E_NS1_11comp_targetILNS1_3genE10ELNS1_11target_archE1200ELNS1_3gpuE4ELNS1_3repE0EEENS1_30default_config_static_selectorELNS0_4arch9wavefront6targetE1EEEvT1_.num_vgpr, 0
	.set _ZN7rocprim17ROCPRIM_400000_NS6detail17trampoline_kernelINS0_14default_configENS1_25partition_config_selectorILNS1_17partition_subalgoE5ElNS0_10empty_typeEbEEZZNS1_14partition_implILS5_5ELb0ES3_mN6hipcub16HIPCUB_304000_NS21CountingInputIteratorIllEEPS6_NSA_22TransformInputIteratorIb7NonZeroIfEPflEENS0_5tupleIJPlS6_EEENSJ_IJSD_SD_EEES6_SK_JS6_EEE10hipError_tPvRmT3_T4_T5_T6_T7_T9_mT8_P12ihipStream_tbDpT10_ENKUlT_T0_E_clISt17integral_constantIbLb1EES15_IbLb0EEEEDaS11_S12_EUlS11_E_NS1_11comp_targetILNS1_3genE10ELNS1_11target_archE1200ELNS1_3gpuE4ELNS1_3repE0EEENS1_30default_config_static_selectorELNS0_4arch9wavefront6targetE1EEEvT1_.num_agpr, 0
	.set _ZN7rocprim17ROCPRIM_400000_NS6detail17trampoline_kernelINS0_14default_configENS1_25partition_config_selectorILNS1_17partition_subalgoE5ElNS0_10empty_typeEbEEZZNS1_14partition_implILS5_5ELb0ES3_mN6hipcub16HIPCUB_304000_NS21CountingInputIteratorIllEEPS6_NSA_22TransformInputIteratorIb7NonZeroIfEPflEENS0_5tupleIJPlS6_EEENSJ_IJSD_SD_EEES6_SK_JS6_EEE10hipError_tPvRmT3_T4_T5_T6_T7_T9_mT8_P12ihipStream_tbDpT10_ENKUlT_T0_E_clISt17integral_constantIbLb1EES15_IbLb0EEEEDaS11_S12_EUlS11_E_NS1_11comp_targetILNS1_3genE10ELNS1_11target_archE1200ELNS1_3gpuE4ELNS1_3repE0EEENS1_30default_config_static_selectorELNS0_4arch9wavefront6targetE1EEEvT1_.numbered_sgpr, 0
	.set _ZN7rocprim17ROCPRIM_400000_NS6detail17trampoline_kernelINS0_14default_configENS1_25partition_config_selectorILNS1_17partition_subalgoE5ElNS0_10empty_typeEbEEZZNS1_14partition_implILS5_5ELb0ES3_mN6hipcub16HIPCUB_304000_NS21CountingInputIteratorIllEEPS6_NSA_22TransformInputIteratorIb7NonZeroIfEPflEENS0_5tupleIJPlS6_EEENSJ_IJSD_SD_EEES6_SK_JS6_EEE10hipError_tPvRmT3_T4_T5_T6_T7_T9_mT8_P12ihipStream_tbDpT10_ENKUlT_T0_E_clISt17integral_constantIbLb1EES15_IbLb0EEEEDaS11_S12_EUlS11_E_NS1_11comp_targetILNS1_3genE10ELNS1_11target_archE1200ELNS1_3gpuE4ELNS1_3repE0EEENS1_30default_config_static_selectorELNS0_4arch9wavefront6targetE1EEEvT1_.num_named_barrier, 0
	.set _ZN7rocprim17ROCPRIM_400000_NS6detail17trampoline_kernelINS0_14default_configENS1_25partition_config_selectorILNS1_17partition_subalgoE5ElNS0_10empty_typeEbEEZZNS1_14partition_implILS5_5ELb0ES3_mN6hipcub16HIPCUB_304000_NS21CountingInputIteratorIllEEPS6_NSA_22TransformInputIteratorIb7NonZeroIfEPflEENS0_5tupleIJPlS6_EEENSJ_IJSD_SD_EEES6_SK_JS6_EEE10hipError_tPvRmT3_T4_T5_T6_T7_T9_mT8_P12ihipStream_tbDpT10_ENKUlT_T0_E_clISt17integral_constantIbLb1EES15_IbLb0EEEEDaS11_S12_EUlS11_E_NS1_11comp_targetILNS1_3genE10ELNS1_11target_archE1200ELNS1_3gpuE4ELNS1_3repE0EEENS1_30default_config_static_selectorELNS0_4arch9wavefront6targetE1EEEvT1_.private_seg_size, 0
	.set _ZN7rocprim17ROCPRIM_400000_NS6detail17trampoline_kernelINS0_14default_configENS1_25partition_config_selectorILNS1_17partition_subalgoE5ElNS0_10empty_typeEbEEZZNS1_14partition_implILS5_5ELb0ES3_mN6hipcub16HIPCUB_304000_NS21CountingInputIteratorIllEEPS6_NSA_22TransformInputIteratorIb7NonZeroIfEPflEENS0_5tupleIJPlS6_EEENSJ_IJSD_SD_EEES6_SK_JS6_EEE10hipError_tPvRmT3_T4_T5_T6_T7_T9_mT8_P12ihipStream_tbDpT10_ENKUlT_T0_E_clISt17integral_constantIbLb1EES15_IbLb0EEEEDaS11_S12_EUlS11_E_NS1_11comp_targetILNS1_3genE10ELNS1_11target_archE1200ELNS1_3gpuE4ELNS1_3repE0EEENS1_30default_config_static_selectorELNS0_4arch9wavefront6targetE1EEEvT1_.uses_vcc, 0
	.set _ZN7rocprim17ROCPRIM_400000_NS6detail17trampoline_kernelINS0_14default_configENS1_25partition_config_selectorILNS1_17partition_subalgoE5ElNS0_10empty_typeEbEEZZNS1_14partition_implILS5_5ELb0ES3_mN6hipcub16HIPCUB_304000_NS21CountingInputIteratorIllEEPS6_NSA_22TransformInputIteratorIb7NonZeroIfEPflEENS0_5tupleIJPlS6_EEENSJ_IJSD_SD_EEES6_SK_JS6_EEE10hipError_tPvRmT3_T4_T5_T6_T7_T9_mT8_P12ihipStream_tbDpT10_ENKUlT_T0_E_clISt17integral_constantIbLb1EES15_IbLb0EEEEDaS11_S12_EUlS11_E_NS1_11comp_targetILNS1_3genE10ELNS1_11target_archE1200ELNS1_3gpuE4ELNS1_3repE0EEENS1_30default_config_static_selectorELNS0_4arch9wavefront6targetE1EEEvT1_.uses_flat_scratch, 0
	.set _ZN7rocprim17ROCPRIM_400000_NS6detail17trampoline_kernelINS0_14default_configENS1_25partition_config_selectorILNS1_17partition_subalgoE5ElNS0_10empty_typeEbEEZZNS1_14partition_implILS5_5ELb0ES3_mN6hipcub16HIPCUB_304000_NS21CountingInputIteratorIllEEPS6_NSA_22TransformInputIteratorIb7NonZeroIfEPflEENS0_5tupleIJPlS6_EEENSJ_IJSD_SD_EEES6_SK_JS6_EEE10hipError_tPvRmT3_T4_T5_T6_T7_T9_mT8_P12ihipStream_tbDpT10_ENKUlT_T0_E_clISt17integral_constantIbLb1EES15_IbLb0EEEEDaS11_S12_EUlS11_E_NS1_11comp_targetILNS1_3genE10ELNS1_11target_archE1200ELNS1_3gpuE4ELNS1_3repE0EEENS1_30default_config_static_selectorELNS0_4arch9wavefront6targetE1EEEvT1_.has_dyn_sized_stack, 0
	.set _ZN7rocprim17ROCPRIM_400000_NS6detail17trampoline_kernelINS0_14default_configENS1_25partition_config_selectorILNS1_17partition_subalgoE5ElNS0_10empty_typeEbEEZZNS1_14partition_implILS5_5ELb0ES3_mN6hipcub16HIPCUB_304000_NS21CountingInputIteratorIllEEPS6_NSA_22TransformInputIteratorIb7NonZeroIfEPflEENS0_5tupleIJPlS6_EEENSJ_IJSD_SD_EEES6_SK_JS6_EEE10hipError_tPvRmT3_T4_T5_T6_T7_T9_mT8_P12ihipStream_tbDpT10_ENKUlT_T0_E_clISt17integral_constantIbLb1EES15_IbLb0EEEEDaS11_S12_EUlS11_E_NS1_11comp_targetILNS1_3genE10ELNS1_11target_archE1200ELNS1_3gpuE4ELNS1_3repE0EEENS1_30default_config_static_selectorELNS0_4arch9wavefront6targetE1EEEvT1_.has_recursion, 0
	.set _ZN7rocprim17ROCPRIM_400000_NS6detail17trampoline_kernelINS0_14default_configENS1_25partition_config_selectorILNS1_17partition_subalgoE5ElNS0_10empty_typeEbEEZZNS1_14partition_implILS5_5ELb0ES3_mN6hipcub16HIPCUB_304000_NS21CountingInputIteratorIllEEPS6_NSA_22TransformInputIteratorIb7NonZeroIfEPflEENS0_5tupleIJPlS6_EEENSJ_IJSD_SD_EEES6_SK_JS6_EEE10hipError_tPvRmT3_T4_T5_T6_T7_T9_mT8_P12ihipStream_tbDpT10_ENKUlT_T0_E_clISt17integral_constantIbLb1EES15_IbLb0EEEEDaS11_S12_EUlS11_E_NS1_11comp_targetILNS1_3genE10ELNS1_11target_archE1200ELNS1_3gpuE4ELNS1_3repE0EEENS1_30default_config_static_selectorELNS0_4arch9wavefront6targetE1EEEvT1_.has_indirect_call, 0
	.section	.AMDGPU.csdata,"",@progbits
; Kernel info:
; codeLenInByte = 0
; TotalNumSgprs: 4
; NumVgprs: 0
; ScratchSize: 0
; MemoryBound: 0
; FloatMode: 240
; IeeeMode: 1
; LDSByteSize: 0 bytes/workgroup (compile time only)
; SGPRBlocks: 0
; VGPRBlocks: 0
; NumSGPRsForWavesPerEU: 4
; NumVGPRsForWavesPerEU: 1
; Occupancy: 10
; WaveLimiterHint : 0
; COMPUTE_PGM_RSRC2:SCRATCH_EN: 0
; COMPUTE_PGM_RSRC2:USER_SGPR: 6
; COMPUTE_PGM_RSRC2:TRAP_HANDLER: 0
; COMPUTE_PGM_RSRC2:TGID_X_EN: 1
; COMPUTE_PGM_RSRC2:TGID_Y_EN: 0
; COMPUTE_PGM_RSRC2:TGID_Z_EN: 0
; COMPUTE_PGM_RSRC2:TIDIG_COMP_CNT: 0
	.section	.text._ZN7rocprim17ROCPRIM_400000_NS6detail17trampoline_kernelINS0_14default_configENS1_25partition_config_selectorILNS1_17partition_subalgoE5ElNS0_10empty_typeEbEEZZNS1_14partition_implILS5_5ELb0ES3_mN6hipcub16HIPCUB_304000_NS21CountingInputIteratorIllEEPS6_NSA_22TransformInputIteratorIb7NonZeroIfEPflEENS0_5tupleIJPlS6_EEENSJ_IJSD_SD_EEES6_SK_JS6_EEE10hipError_tPvRmT3_T4_T5_T6_T7_T9_mT8_P12ihipStream_tbDpT10_ENKUlT_T0_E_clISt17integral_constantIbLb1EES15_IbLb0EEEEDaS11_S12_EUlS11_E_NS1_11comp_targetILNS1_3genE9ELNS1_11target_archE1100ELNS1_3gpuE3ELNS1_3repE0EEENS1_30default_config_static_selectorELNS0_4arch9wavefront6targetE1EEEvT1_,"axG",@progbits,_ZN7rocprim17ROCPRIM_400000_NS6detail17trampoline_kernelINS0_14default_configENS1_25partition_config_selectorILNS1_17partition_subalgoE5ElNS0_10empty_typeEbEEZZNS1_14partition_implILS5_5ELb0ES3_mN6hipcub16HIPCUB_304000_NS21CountingInputIteratorIllEEPS6_NSA_22TransformInputIteratorIb7NonZeroIfEPflEENS0_5tupleIJPlS6_EEENSJ_IJSD_SD_EEES6_SK_JS6_EEE10hipError_tPvRmT3_T4_T5_T6_T7_T9_mT8_P12ihipStream_tbDpT10_ENKUlT_T0_E_clISt17integral_constantIbLb1EES15_IbLb0EEEEDaS11_S12_EUlS11_E_NS1_11comp_targetILNS1_3genE9ELNS1_11target_archE1100ELNS1_3gpuE3ELNS1_3repE0EEENS1_30default_config_static_selectorELNS0_4arch9wavefront6targetE1EEEvT1_,comdat
	.protected	_ZN7rocprim17ROCPRIM_400000_NS6detail17trampoline_kernelINS0_14default_configENS1_25partition_config_selectorILNS1_17partition_subalgoE5ElNS0_10empty_typeEbEEZZNS1_14partition_implILS5_5ELb0ES3_mN6hipcub16HIPCUB_304000_NS21CountingInputIteratorIllEEPS6_NSA_22TransformInputIteratorIb7NonZeroIfEPflEENS0_5tupleIJPlS6_EEENSJ_IJSD_SD_EEES6_SK_JS6_EEE10hipError_tPvRmT3_T4_T5_T6_T7_T9_mT8_P12ihipStream_tbDpT10_ENKUlT_T0_E_clISt17integral_constantIbLb1EES15_IbLb0EEEEDaS11_S12_EUlS11_E_NS1_11comp_targetILNS1_3genE9ELNS1_11target_archE1100ELNS1_3gpuE3ELNS1_3repE0EEENS1_30default_config_static_selectorELNS0_4arch9wavefront6targetE1EEEvT1_ ; -- Begin function _ZN7rocprim17ROCPRIM_400000_NS6detail17trampoline_kernelINS0_14default_configENS1_25partition_config_selectorILNS1_17partition_subalgoE5ElNS0_10empty_typeEbEEZZNS1_14partition_implILS5_5ELb0ES3_mN6hipcub16HIPCUB_304000_NS21CountingInputIteratorIllEEPS6_NSA_22TransformInputIteratorIb7NonZeroIfEPflEENS0_5tupleIJPlS6_EEENSJ_IJSD_SD_EEES6_SK_JS6_EEE10hipError_tPvRmT3_T4_T5_T6_T7_T9_mT8_P12ihipStream_tbDpT10_ENKUlT_T0_E_clISt17integral_constantIbLb1EES15_IbLb0EEEEDaS11_S12_EUlS11_E_NS1_11comp_targetILNS1_3genE9ELNS1_11target_archE1100ELNS1_3gpuE3ELNS1_3repE0EEENS1_30default_config_static_selectorELNS0_4arch9wavefront6targetE1EEEvT1_
	.globl	_ZN7rocprim17ROCPRIM_400000_NS6detail17trampoline_kernelINS0_14default_configENS1_25partition_config_selectorILNS1_17partition_subalgoE5ElNS0_10empty_typeEbEEZZNS1_14partition_implILS5_5ELb0ES3_mN6hipcub16HIPCUB_304000_NS21CountingInputIteratorIllEEPS6_NSA_22TransformInputIteratorIb7NonZeroIfEPflEENS0_5tupleIJPlS6_EEENSJ_IJSD_SD_EEES6_SK_JS6_EEE10hipError_tPvRmT3_T4_T5_T6_T7_T9_mT8_P12ihipStream_tbDpT10_ENKUlT_T0_E_clISt17integral_constantIbLb1EES15_IbLb0EEEEDaS11_S12_EUlS11_E_NS1_11comp_targetILNS1_3genE9ELNS1_11target_archE1100ELNS1_3gpuE3ELNS1_3repE0EEENS1_30default_config_static_selectorELNS0_4arch9wavefront6targetE1EEEvT1_
	.p2align	8
	.type	_ZN7rocprim17ROCPRIM_400000_NS6detail17trampoline_kernelINS0_14default_configENS1_25partition_config_selectorILNS1_17partition_subalgoE5ElNS0_10empty_typeEbEEZZNS1_14partition_implILS5_5ELb0ES3_mN6hipcub16HIPCUB_304000_NS21CountingInputIteratorIllEEPS6_NSA_22TransformInputIteratorIb7NonZeroIfEPflEENS0_5tupleIJPlS6_EEENSJ_IJSD_SD_EEES6_SK_JS6_EEE10hipError_tPvRmT3_T4_T5_T6_T7_T9_mT8_P12ihipStream_tbDpT10_ENKUlT_T0_E_clISt17integral_constantIbLb1EES15_IbLb0EEEEDaS11_S12_EUlS11_E_NS1_11comp_targetILNS1_3genE9ELNS1_11target_archE1100ELNS1_3gpuE3ELNS1_3repE0EEENS1_30default_config_static_selectorELNS0_4arch9wavefront6targetE1EEEvT1_,@function
_ZN7rocprim17ROCPRIM_400000_NS6detail17trampoline_kernelINS0_14default_configENS1_25partition_config_selectorILNS1_17partition_subalgoE5ElNS0_10empty_typeEbEEZZNS1_14partition_implILS5_5ELb0ES3_mN6hipcub16HIPCUB_304000_NS21CountingInputIteratorIllEEPS6_NSA_22TransformInputIteratorIb7NonZeroIfEPflEENS0_5tupleIJPlS6_EEENSJ_IJSD_SD_EEES6_SK_JS6_EEE10hipError_tPvRmT3_T4_T5_T6_T7_T9_mT8_P12ihipStream_tbDpT10_ENKUlT_T0_E_clISt17integral_constantIbLb1EES15_IbLb0EEEEDaS11_S12_EUlS11_E_NS1_11comp_targetILNS1_3genE9ELNS1_11target_archE1100ELNS1_3gpuE3ELNS1_3repE0EEENS1_30default_config_static_selectorELNS0_4arch9wavefront6targetE1EEEvT1_: ; @_ZN7rocprim17ROCPRIM_400000_NS6detail17trampoline_kernelINS0_14default_configENS1_25partition_config_selectorILNS1_17partition_subalgoE5ElNS0_10empty_typeEbEEZZNS1_14partition_implILS5_5ELb0ES3_mN6hipcub16HIPCUB_304000_NS21CountingInputIteratorIllEEPS6_NSA_22TransformInputIteratorIb7NonZeroIfEPflEENS0_5tupleIJPlS6_EEENSJ_IJSD_SD_EEES6_SK_JS6_EEE10hipError_tPvRmT3_T4_T5_T6_T7_T9_mT8_P12ihipStream_tbDpT10_ENKUlT_T0_E_clISt17integral_constantIbLb1EES15_IbLb0EEEEDaS11_S12_EUlS11_E_NS1_11comp_targetILNS1_3genE9ELNS1_11target_archE1100ELNS1_3gpuE3ELNS1_3repE0EEENS1_30default_config_static_selectorELNS0_4arch9wavefront6targetE1EEEvT1_
; %bb.0:
	.section	.rodata,"a",@progbits
	.p2align	6, 0x0
	.amdhsa_kernel _ZN7rocprim17ROCPRIM_400000_NS6detail17trampoline_kernelINS0_14default_configENS1_25partition_config_selectorILNS1_17partition_subalgoE5ElNS0_10empty_typeEbEEZZNS1_14partition_implILS5_5ELb0ES3_mN6hipcub16HIPCUB_304000_NS21CountingInputIteratorIllEEPS6_NSA_22TransformInputIteratorIb7NonZeroIfEPflEENS0_5tupleIJPlS6_EEENSJ_IJSD_SD_EEES6_SK_JS6_EEE10hipError_tPvRmT3_T4_T5_T6_T7_T9_mT8_P12ihipStream_tbDpT10_ENKUlT_T0_E_clISt17integral_constantIbLb1EES15_IbLb0EEEEDaS11_S12_EUlS11_E_NS1_11comp_targetILNS1_3genE9ELNS1_11target_archE1100ELNS1_3gpuE3ELNS1_3repE0EEENS1_30default_config_static_selectorELNS0_4arch9wavefront6targetE1EEEvT1_
		.amdhsa_group_segment_fixed_size 0
		.amdhsa_private_segment_fixed_size 0
		.amdhsa_kernarg_size 120
		.amdhsa_user_sgpr_count 6
		.amdhsa_user_sgpr_private_segment_buffer 1
		.amdhsa_user_sgpr_dispatch_ptr 0
		.amdhsa_user_sgpr_queue_ptr 0
		.amdhsa_user_sgpr_kernarg_segment_ptr 1
		.amdhsa_user_sgpr_dispatch_id 0
		.amdhsa_user_sgpr_flat_scratch_init 0
		.amdhsa_user_sgpr_private_segment_size 0
		.amdhsa_uses_dynamic_stack 0
		.amdhsa_system_sgpr_private_segment_wavefront_offset 0
		.amdhsa_system_sgpr_workgroup_id_x 1
		.amdhsa_system_sgpr_workgroup_id_y 0
		.amdhsa_system_sgpr_workgroup_id_z 0
		.amdhsa_system_sgpr_workgroup_info 0
		.amdhsa_system_vgpr_workitem_id 0
		.amdhsa_next_free_vgpr 1
		.amdhsa_next_free_sgpr 0
		.amdhsa_reserve_vcc 0
		.amdhsa_reserve_flat_scratch 0
		.amdhsa_float_round_mode_32 0
		.amdhsa_float_round_mode_16_64 0
		.amdhsa_float_denorm_mode_32 3
		.amdhsa_float_denorm_mode_16_64 3
		.amdhsa_dx10_clamp 1
		.amdhsa_ieee_mode 1
		.amdhsa_fp16_overflow 0
		.amdhsa_exception_fp_ieee_invalid_op 0
		.amdhsa_exception_fp_denorm_src 0
		.amdhsa_exception_fp_ieee_div_zero 0
		.amdhsa_exception_fp_ieee_overflow 0
		.amdhsa_exception_fp_ieee_underflow 0
		.amdhsa_exception_fp_ieee_inexact 0
		.amdhsa_exception_int_div_zero 0
	.end_amdhsa_kernel
	.section	.text._ZN7rocprim17ROCPRIM_400000_NS6detail17trampoline_kernelINS0_14default_configENS1_25partition_config_selectorILNS1_17partition_subalgoE5ElNS0_10empty_typeEbEEZZNS1_14partition_implILS5_5ELb0ES3_mN6hipcub16HIPCUB_304000_NS21CountingInputIteratorIllEEPS6_NSA_22TransformInputIteratorIb7NonZeroIfEPflEENS0_5tupleIJPlS6_EEENSJ_IJSD_SD_EEES6_SK_JS6_EEE10hipError_tPvRmT3_T4_T5_T6_T7_T9_mT8_P12ihipStream_tbDpT10_ENKUlT_T0_E_clISt17integral_constantIbLb1EES15_IbLb0EEEEDaS11_S12_EUlS11_E_NS1_11comp_targetILNS1_3genE9ELNS1_11target_archE1100ELNS1_3gpuE3ELNS1_3repE0EEENS1_30default_config_static_selectorELNS0_4arch9wavefront6targetE1EEEvT1_,"axG",@progbits,_ZN7rocprim17ROCPRIM_400000_NS6detail17trampoline_kernelINS0_14default_configENS1_25partition_config_selectorILNS1_17partition_subalgoE5ElNS0_10empty_typeEbEEZZNS1_14partition_implILS5_5ELb0ES3_mN6hipcub16HIPCUB_304000_NS21CountingInputIteratorIllEEPS6_NSA_22TransformInputIteratorIb7NonZeroIfEPflEENS0_5tupleIJPlS6_EEENSJ_IJSD_SD_EEES6_SK_JS6_EEE10hipError_tPvRmT3_T4_T5_T6_T7_T9_mT8_P12ihipStream_tbDpT10_ENKUlT_T0_E_clISt17integral_constantIbLb1EES15_IbLb0EEEEDaS11_S12_EUlS11_E_NS1_11comp_targetILNS1_3genE9ELNS1_11target_archE1100ELNS1_3gpuE3ELNS1_3repE0EEENS1_30default_config_static_selectorELNS0_4arch9wavefront6targetE1EEEvT1_,comdat
.Lfunc_end275:
	.size	_ZN7rocprim17ROCPRIM_400000_NS6detail17trampoline_kernelINS0_14default_configENS1_25partition_config_selectorILNS1_17partition_subalgoE5ElNS0_10empty_typeEbEEZZNS1_14partition_implILS5_5ELb0ES3_mN6hipcub16HIPCUB_304000_NS21CountingInputIteratorIllEEPS6_NSA_22TransformInputIteratorIb7NonZeroIfEPflEENS0_5tupleIJPlS6_EEENSJ_IJSD_SD_EEES6_SK_JS6_EEE10hipError_tPvRmT3_T4_T5_T6_T7_T9_mT8_P12ihipStream_tbDpT10_ENKUlT_T0_E_clISt17integral_constantIbLb1EES15_IbLb0EEEEDaS11_S12_EUlS11_E_NS1_11comp_targetILNS1_3genE9ELNS1_11target_archE1100ELNS1_3gpuE3ELNS1_3repE0EEENS1_30default_config_static_selectorELNS0_4arch9wavefront6targetE1EEEvT1_, .Lfunc_end275-_ZN7rocprim17ROCPRIM_400000_NS6detail17trampoline_kernelINS0_14default_configENS1_25partition_config_selectorILNS1_17partition_subalgoE5ElNS0_10empty_typeEbEEZZNS1_14partition_implILS5_5ELb0ES3_mN6hipcub16HIPCUB_304000_NS21CountingInputIteratorIllEEPS6_NSA_22TransformInputIteratorIb7NonZeroIfEPflEENS0_5tupleIJPlS6_EEENSJ_IJSD_SD_EEES6_SK_JS6_EEE10hipError_tPvRmT3_T4_T5_T6_T7_T9_mT8_P12ihipStream_tbDpT10_ENKUlT_T0_E_clISt17integral_constantIbLb1EES15_IbLb0EEEEDaS11_S12_EUlS11_E_NS1_11comp_targetILNS1_3genE9ELNS1_11target_archE1100ELNS1_3gpuE3ELNS1_3repE0EEENS1_30default_config_static_selectorELNS0_4arch9wavefront6targetE1EEEvT1_
                                        ; -- End function
	.set _ZN7rocprim17ROCPRIM_400000_NS6detail17trampoline_kernelINS0_14default_configENS1_25partition_config_selectorILNS1_17partition_subalgoE5ElNS0_10empty_typeEbEEZZNS1_14partition_implILS5_5ELb0ES3_mN6hipcub16HIPCUB_304000_NS21CountingInputIteratorIllEEPS6_NSA_22TransformInputIteratorIb7NonZeroIfEPflEENS0_5tupleIJPlS6_EEENSJ_IJSD_SD_EEES6_SK_JS6_EEE10hipError_tPvRmT3_T4_T5_T6_T7_T9_mT8_P12ihipStream_tbDpT10_ENKUlT_T0_E_clISt17integral_constantIbLb1EES15_IbLb0EEEEDaS11_S12_EUlS11_E_NS1_11comp_targetILNS1_3genE9ELNS1_11target_archE1100ELNS1_3gpuE3ELNS1_3repE0EEENS1_30default_config_static_selectorELNS0_4arch9wavefront6targetE1EEEvT1_.num_vgpr, 0
	.set _ZN7rocprim17ROCPRIM_400000_NS6detail17trampoline_kernelINS0_14default_configENS1_25partition_config_selectorILNS1_17partition_subalgoE5ElNS0_10empty_typeEbEEZZNS1_14partition_implILS5_5ELb0ES3_mN6hipcub16HIPCUB_304000_NS21CountingInputIteratorIllEEPS6_NSA_22TransformInputIteratorIb7NonZeroIfEPflEENS0_5tupleIJPlS6_EEENSJ_IJSD_SD_EEES6_SK_JS6_EEE10hipError_tPvRmT3_T4_T5_T6_T7_T9_mT8_P12ihipStream_tbDpT10_ENKUlT_T0_E_clISt17integral_constantIbLb1EES15_IbLb0EEEEDaS11_S12_EUlS11_E_NS1_11comp_targetILNS1_3genE9ELNS1_11target_archE1100ELNS1_3gpuE3ELNS1_3repE0EEENS1_30default_config_static_selectorELNS0_4arch9wavefront6targetE1EEEvT1_.num_agpr, 0
	.set _ZN7rocprim17ROCPRIM_400000_NS6detail17trampoline_kernelINS0_14default_configENS1_25partition_config_selectorILNS1_17partition_subalgoE5ElNS0_10empty_typeEbEEZZNS1_14partition_implILS5_5ELb0ES3_mN6hipcub16HIPCUB_304000_NS21CountingInputIteratorIllEEPS6_NSA_22TransformInputIteratorIb7NonZeroIfEPflEENS0_5tupleIJPlS6_EEENSJ_IJSD_SD_EEES6_SK_JS6_EEE10hipError_tPvRmT3_T4_T5_T6_T7_T9_mT8_P12ihipStream_tbDpT10_ENKUlT_T0_E_clISt17integral_constantIbLb1EES15_IbLb0EEEEDaS11_S12_EUlS11_E_NS1_11comp_targetILNS1_3genE9ELNS1_11target_archE1100ELNS1_3gpuE3ELNS1_3repE0EEENS1_30default_config_static_selectorELNS0_4arch9wavefront6targetE1EEEvT1_.numbered_sgpr, 0
	.set _ZN7rocprim17ROCPRIM_400000_NS6detail17trampoline_kernelINS0_14default_configENS1_25partition_config_selectorILNS1_17partition_subalgoE5ElNS0_10empty_typeEbEEZZNS1_14partition_implILS5_5ELb0ES3_mN6hipcub16HIPCUB_304000_NS21CountingInputIteratorIllEEPS6_NSA_22TransformInputIteratorIb7NonZeroIfEPflEENS0_5tupleIJPlS6_EEENSJ_IJSD_SD_EEES6_SK_JS6_EEE10hipError_tPvRmT3_T4_T5_T6_T7_T9_mT8_P12ihipStream_tbDpT10_ENKUlT_T0_E_clISt17integral_constantIbLb1EES15_IbLb0EEEEDaS11_S12_EUlS11_E_NS1_11comp_targetILNS1_3genE9ELNS1_11target_archE1100ELNS1_3gpuE3ELNS1_3repE0EEENS1_30default_config_static_selectorELNS0_4arch9wavefront6targetE1EEEvT1_.num_named_barrier, 0
	.set _ZN7rocprim17ROCPRIM_400000_NS6detail17trampoline_kernelINS0_14default_configENS1_25partition_config_selectorILNS1_17partition_subalgoE5ElNS0_10empty_typeEbEEZZNS1_14partition_implILS5_5ELb0ES3_mN6hipcub16HIPCUB_304000_NS21CountingInputIteratorIllEEPS6_NSA_22TransformInputIteratorIb7NonZeroIfEPflEENS0_5tupleIJPlS6_EEENSJ_IJSD_SD_EEES6_SK_JS6_EEE10hipError_tPvRmT3_T4_T5_T6_T7_T9_mT8_P12ihipStream_tbDpT10_ENKUlT_T0_E_clISt17integral_constantIbLb1EES15_IbLb0EEEEDaS11_S12_EUlS11_E_NS1_11comp_targetILNS1_3genE9ELNS1_11target_archE1100ELNS1_3gpuE3ELNS1_3repE0EEENS1_30default_config_static_selectorELNS0_4arch9wavefront6targetE1EEEvT1_.private_seg_size, 0
	.set _ZN7rocprim17ROCPRIM_400000_NS6detail17trampoline_kernelINS0_14default_configENS1_25partition_config_selectorILNS1_17partition_subalgoE5ElNS0_10empty_typeEbEEZZNS1_14partition_implILS5_5ELb0ES3_mN6hipcub16HIPCUB_304000_NS21CountingInputIteratorIllEEPS6_NSA_22TransformInputIteratorIb7NonZeroIfEPflEENS0_5tupleIJPlS6_EEENSJ_IJSD_SD_EEES6_SK_JS6_EEE10hipError_tPvRmT3_T4_T5_T6_T7_T9_mT8_P12ihipStream_tbDpT10_ENKUlT_T0_E_clISt17integral_constantIbLb1EES15_IbLb0EEEEDaS11_S12_EUlS11_E_NS1_11comp_targetILNS1_3genE9ELNS1_11target_archE1100ELNS1_3gpuE3ELNS1_3repE0EEENS1_30default_config_static_selectorELNS0_4arch9wavefront6targetE1EEEvT1_.uses_vcc, 0
	.set _ZN7rocprim17ROCPRIM_400000_NS6detail17trampoline_kernelINS0_14default_configENS1_25partition_config_selectorILNS1_17partition_subalgoE5ElNS0_10empty_typeEbEEZZNS1_14partition_implILS5_5ELb0ES3_mN6hipcub16HIPCUB_304000_NS21CountingInputIteratorIllEEPS6_NSA_22TransformInputIteratorIb7NonZeroIfEPflEENS0_5tupleIJPlS6_EEENSJ_IJSD_SD_EEES6_SK_JS6_EEE10hipError_tPvRmT3_T4_T5_T6_T7_T9_mT8_P12ihipStream_tbDpT10_ENKUlT_T0_E_clISt17integral_constantIbLb1EES15_IbLb0EEEEDaS11_S12_EUlS11_E_NS1_11comp_targetILNS1_3genE9ELNS1_11target_archE1100ELNS1_3gpuE3ELNS1_3repE0EEENS1_30default_config_static_selectorELNS0_4arch9wavefront6targetE1EEEvT1_.uses_flat_scratch, 0
	.set _ZN7rocprim17ROCPRIM_400000_NS6detail17trampoline_kernelINS0_14default_configENS1_25partition_config_selectorILNS1_17partition_subalgoE5ElNS0_10empty_typeEbEEZZNS1_14partition_implILS5_5ELb0ES3_mN6hipcub16HIPCUB_304000_NS21CountingInputIteratorIllEEPS6_NSA_22TransformInputIteratorIb7NonZeroIfEPflEENS0_5tupleIJPlS6_EEENSJ_IJSD_SD_EEES6_SK_JS6_EEE10hipError_tPvRmT3_T4_T5_T6_T7_T9_mT8_P12ihipStream_tbDpT10_ENKUlT_T0_E_clISt17integral_constantIbLb1EES15_IbLb0EEEEDaS11_S12_EUlS11_E_NS1_11comp_targetILNS1_3genE9ELNS1_11target_archE1100ELNS1_3gpuE3ELNS1_3repE0EEENS1_30default_config_static_selectorELNS0_4arch9wavefront6targetE1EEEvT1_.has_dyn_sized_stack, 0
	.set _ZN7rocprim17ROCPRIM_400000_NS6detail17trampoline_kernelINS0_14default_configENS1_25partition_config_selectorILNS1_17partition_subalgoE5ElNS0_10empty_typeEbEEZZNS1_14partition_implILS5_5ELb0ES3_mN6hipcub16HIPCUB_304000_NS21CountingInputIteratorIllEEPS6_NSA_22TransformInputIteratorIb7NonZeroIfEPflEENS0_5tupleIJPlS6_EEENSJ_IJSD_SD_EEES6_SK_JS6_EEE10hipError_tPvRmT3_T4_T5_T6_T7_T9_mT8_P12ihipStream_tbDpT10_ENKUlT_T0_E_clISt17integral_constantIbLb1EES15_IbLb0EEEEDaS11_S12_EUlS11_E_NS1_11comp_targetILNS1_3genE9ELNS1_11target_archE1100ELNS1_3gpuE3ELNS1_3repE0EEENS1_30default_config_static_selectorELNS0_4arch9wavefront6targetE1EEEvT1_.has_recursion, 0
	.set _ZN7rocprim17ROCPRIM_400000_NS6detail17trampoline_kernelINS0_14default_configENS1_25partition_config_selectorILNS1_17partition_subalgoE5ElNS0_10empty_typeEbEEZZNS1_14partition_implILS5_5ELb0ES3_mN6hipcub16HIPCUB_304000_NS21CountingInputIteratorIllEEPS6_NSA_22TransformInputIteratorIb7NonZeroIfEPflEENS0_5tupleIJPlS6_EEENSJ_IJSD_SD_EEES6_SK_JS6_EEE10hipError_tPvRmT3_T4_T5_T6_T7_T9_mT8_P12ihipStream_tbDpT10_ENKUlT_T0_E_clISt17integral_constantIbLb1EES15_IbLb0EEEEDaS11_S12_EUlS11_E_NS1_11comp_targetILNS1_3genE9ELNS1_11target_archE1100ELNS1_3gpuE3ELNS1_3repE0EEENS1_30default_config_static_selectorELNS0_4arch9wavefront6targetE1EEEvT1_.has_indirect_call, 0
	.section	.AMDGPU.csdata,"",@progbits
; Kernel info:
; codeLenInByte = 0
; TotalNumSgprs: 4
; NumVgprs: 0
; ScratchSize: 0
; MemoryBound: 0
; FloatMode: 240
; IeeeMode: 1
; LDSByteSize: 0 bytes/workgroup (compile time only)
; SGPRBlocks: 0
; VGPRBlocks: 0
; NumSGPRsForWavesPerEU: 4
; NumVGPRsForWavesPerEU: 1
; Occupancy: 10
; WaveLimiterHint : 0
; COMPUTE_PGM_RSRC2:SCRATCH_EN: 0
; COMPUTE_PGM_RSRC2:USER_SGPR: 6
; COMPUTE_PGM_RSRC2:TRAP_HANDLER: 0
; COMPUTE_PGM_RSRC2:TGID_X_EN: 1
; COMPUTE_PGM_RSRC2:TGID_Y_EN: 0
; COMPUTE_PGM_RSRC2:TGID_Z_EN: 0
; COMPUTE_PGM_RSRC2:TIDIG_COMP_CNT: 0
	.section	.text._ZN7rocprim17ROCPRIM_400000_NS6detail17trampoline_kernelINS0_14default_configENS1_25partition_config_selectorILNS1_17partition_subalgoE5ElNS0_10empty_typeEbEEZZNS1_14partition_implILS5_5ELb0ES3_mN6hipcub16HIPCUB_304000_NS21CountingInputIteratorIllEEPS6_NSA_22TransformInputIteratorIb7NonZeroIfEPflEENS0_5tupleIJPlS6_EEENSJ_IJSD_SD_EEES6_SK_JS6_EEE10hipError_tPvRmT3_T4_T5_T6_T7_T9_mT8_P12ihipStream_tbDpT10_ENKUlT_T0_E_clISt17integral_constantIbLb1EES15_IbLb0EEEEDaS11_S12_EUlS11_E_NS1_11comp_targetILNS1_3genE8ELNS1_11target_archE1030ELNS1_3gpuE2ELNS1_3repE0EEENS1_30default_config_static_selectorELNS0_4arch9wavefront6targetE1EEEvT1_,"axG",@progbits,_ZN7rocprim17ROCPRIM_400000_NS6detail17trampoline_kernelINS0_14default_configENS1_25partition_config_selectorILNS1_17partition_subalgoE5ElNS0_10empty_typeEbEEZZNS1_14partition_implILS5_5ELb0ES3_mN6hipcub16HIPCUB_304000_NS21CountingInputIteratorIllEEPS6_NSA_22TransformInputIteratorIb7NonZeroIfEPflEENS0_5tupleIJPlS6_EEENSJ_IJSD_SD_EEES6_SK_JS6_EEE10hipError_tPvRmT3_T4_T5_T6_T7_T9_mT8_P12ihipStream_tbDpT10_ENKUlT_T0_E_clISt17integral_constantIbLb1EES15_IbLb0EEEEDaS11_S12_EUlS11_E_NS1_11comp_targetILNS1_3genE8ELNS1_11target_archE1030ELNS1_3gpuE2ELNS1_3repE0EEENS1_30default_config_static_selectorELNS0_4arch9wavefront6targetE1EEEvT1_,comdat
	.protected	_ZN7rocprim17ROCPRIM_400000_NS6detail17trampoline_kernelINS0_14default_configENS1_25partition_config_selectorILNS1_17partition_subalgoE5ElNS0_10empty_typeEbEEZZNS1_14partition_implILS5_5ELb0ES3_mN6hipcub16HIPCUB_304000_NS21CountingInputIteratorIllEEPS6_NSA_22TransformInputIteratorIb7NonZeroIfEPflEENS0_5tupleIJPlS6_EEENSJ_IJSD_SD_EEES6_SK_JS6_EEE10hipError_tPvRmT3_T4_T5_T6_T7_T9_mT8_P12ihipStream_tbDpT10_ENKUlT_T0_E_clISt17integral_constantIbLb1EES15_IbLb0EEEEDaS11_S12_EUlS11_E_NS1_11comp_targetILNS1_3genE8ELNS1_11target_archE1030ELNS1_3gpuE2ELNS1_3repE0EEENS1_30default_config_static_selectorELNS0_4arch9wavefront6targetE1EEEvT1_ ; -- Begin function _ZN7rocprim17ROCPRIM_400000_NS6detail17trampoline_kernelINS0_14default_configENS1_25partition_config_selectorILNS1_17partition_subalgoE5ElNS0_10empty_typeEbEEZZNS1_14partition_implILS5_5ELb0ES3_mN6hipcub16HIPCUB_304000_NS21CountingInputIteratorIllEEPS6_NSA_22TransformInputIteratorIb7NonZeroIfEPflEENS0_5tupleIJPlS6_EEENSJ_IJSD_SD_EEES6_SK_JS6_EEE10hipError_tPvRmT3_T4_T5_T6_T7_T9_mT8_P12ihipStream_tbDpT10_ENKUlT_T0_E_clISt17integral_constantIbLb1EES15_IbLb0EEEEDaS11_S12_EUlS11_E_NS1_11comp_targetILNS1_3genE8ELNS1_11target_archE1030ELNS1_3gpuE2ELNS1_3repE0EEENS1_30default_config_static_selectorELNS0_4arch9wavefront6targetE1EEEvT1_
	.globl	_ZN7rocprim17ROCPRIM_400000_NS6detail17trampoline_kernelINS0_14default_configENS1_25partition_config_selectorILNS1_17partition_subalgoE5ElNS0_10empty_typeEbEEZZNS1_14partition_implILS5_5ELb0ES3_mN6hipcub16HIPCUB_304000_NS21CountingInputIteratorIllEEPS6_NSA_22TransformInputIteratorIb7NonZeroIfEPflEENS0_5tupleIJPlS6_EEENSJ_IJSD_SD_EEES6_SK_JS6_EEE10hipError_tPvRmT3_T4_T5_T6_T7_T9_mT8_P12ihipStream_tbDpT10_ENKUlT_T0_E_clISt17integral_constantIbLb1EES15_IbLb0EEEEDaS11_S12_EUlS11_E_NS1_11comp_targetILNS1_3genE8ELNS1_11target_archE1030ELNS1_3gpuE2ELNS1_3repE0EEENS1_30default_config_static_selectorELNS0_4arch9wavefront6targetE1EEEvT1_
	.p2align	8
	.type	_ZN7rocprim17ROCPRIM_400000_NS6detail17trampoline_kernelINS0_14default_configENS1_25partition_config_selectorILNS1_17partition_subalgoE5ElNS0_10empty_typeEbEEZZNS1_14partition_implILS5_5ELb0ES3_mN6hipcub16HIPCUB_304000_NS21CountingInputIteratorIllEEPS6_NSA_22TransformInputIteratorIb7NonZeroIfEPflEENS0_5tupleIJPlS6_EEENSJ_IJSD_SD_EEES6_SK_JS6_EEE10hipError_tPvRmT3_T4_T5_T6_T7_T9_mT8_P12ihipStream_tbDpT10_ENKUlT_T0_E_clISt17integral_constantIbLb1EES15_IbLb0EEEEDaS11_S12_EUlS11_E_NS1_11comp_targetILNS1_3genE8ELNS1_11target_archE1030ELNS1_3gpuE2ELNS1_3repE0EEENS1_30default_config_static_selectorELNS0_4arch9wavefront6targetE1EEEvT1_,@function
_ZN7rocprim17ROCPRIM_400000_NS6detail17trampoline_kernelINS0_14default_configENS1_25partition_config_selectorILNS1_17partition_subalgoE5ElNS0_10empty_typeEbEEZZNS1_14partition_implILS5_5ELb0ES3_mN6hipcub16HIPCUB_304000_NS21CountingInputIteratorIllEEPS6_NSA_22TransformInputIteratorIb7NonZeroIfEPflEENS0_5tupleIJPlS6_EEENSJ_IJSD_SD_EEES6_SK_JS6_EEE10hipError_tPvRmT3_T4_T5_T6_T7_T9_mT8_P12ihipStream_tbDpT10_ENKUlT_T0_E_clISt17integral_constantIbLb1EES15_IbLb0EEEEDaS11_S12_EUlS11_E_NS1_11comp_targetILNS1_3genE8ELNS1_11target_archE1030ELNS1_3gpuE2ELNS1_3repE0EEENS1_30default_config_static_selectorELNS0_4arch9wavefront6targetE1EEEvT1_: ; @_ZN7rocprim17ROCPRIM_400000_NS6detail17trampoline_kernelINS0_14default_configENS1_25partition_config_selectorILNS1_17partition_subalgoE5ElNS0_10empty_typeEbEEZZNS1_14partition_implILS5_5ELb0ES3_mN6hipcub16HIPCUB_304000_NS21CountingInputIteratorIllEEPS6_NSA_22TransformInputIteratorIb7NonZeroIfEPflEENS0_5tupleIJPlS6_EEENSJ_IJSD_SD_EEES6_SK_JS6_EEE10hipError_tPvRmT3_T4_T5_T6_T7_T9_mT8_P12ihipStream_tbDpT10_ENKUlT_T0_E_clISt17integral_constantIbLb1EES15_IbLb0EEEEDaS11_S12_EUlS11_E_NS1_11comp_targetILNS1_3genE8ELNS1_11target_archE1030ELNS1_3gpuE2ELNS1_3repE0EEENS1_30default_config_static_selectorELNS0_4arch9wavefront6targetE1EEEvT1_
; %bb.0:
	.section	.rodata,"a",@progbits
	.p2align	6, 0x0
	.amdhsa_kernel _ZN7rocprim17ROCPRIM_400000_NS6detail17trampoline_kernelINS0_14default_configENS1_25partition_config_selectorILNS1_17partition_subalgoE5ElNS0_10empty_typeEbEEZZNS1_14partition_implILS5_5ELb0ES3_mN6hipcub16HIPCUB_304000_NS21CountingInputIteratorIllEEPS6_NSA_22TransformInputIteratorIb7NonZeroIfEPflEENS0_5tupleIJPlS6_EEENSJ_IJSD_SD_EEES6_SK_JS6_EEE10hipError_tPvRmT3_T4_T5_T6_T7_T9_mT8_P12ihipStream_tbDpT10_ENKUlT_T0_E_clISt17integral_constantIbLb1EES15_IbLb0EEEEDaS11_S12_EUlS11_E_NS1_11comp_targetILNS1_3genE8ELNS1_11target_archE1030ELNS1_3gpuE2ELNS1_3repE0EEENS1_30default_config_static_selectorELNS0_4arch9wavefront6targetE1EEEvT1_
		.amdhsa_group_segment_fixed_size 0
		.amdhsa_private_segment_fixed_size 0
		.amdhsa_kernarg_size 120
		.amdhsa_user_sgpr_count 6
		.amdhsa_user_sgpr_private_segment_buffer 1
		.amdhsa_user_sgpr_dispatch_ptr 0
		.amdhsa_user_sgpr_queue_ptr 0
		.amdhsa_user_sgpr_kernarg_segment_ptr 1
		.amdhsa_user_sgpr_dispatch_id 0
		.amdhsa_user_sgpr_flat_scratch_init 0
		.amdhsa_user_sgpr_private_segment_size 0
		.amdhsa_uses_dynamic_stack 0
		.amdhsa_system_sgpr_private_segment_wavefront_offset 0
		.amdhsa_system_sgpr_workgroup_id_x 1
		.amdhsa_system_sgpr_workgroup_id_y 0
		.amdhsa_system_sgpr_workgroup_id_z 0
		.amdhsa_system_sgpr_workgroup_info 0
		.amdhsa_system_vgpr_workitem_id 0
		.amdhsa_next_free_vgpr 1
		.amdhsa_next_free_sgpr 0
		.amdhsa_reserve_vcc 0
		.amdhsa_reserve_flat_scratch 0
		.amdhsa_float_round_mode_32 0
		.amdhsa_float_round_mode_16_64 0
		.amdhsa_float_denorm_mode_32 3
		.amdhsa_float_denorm_mode_16_64 3
		.amdhsa_dx10_clamp 1
		.amdhsa_ieee_mode 1
		.amdhsa_fp16_overflow 0
		.amdhsa_exception_fp_ieee_invalid_op 0
		.amdhsa_exception_fp_denorm_src 0
		.amdhsa_exception_fp_ieee_div_zero 0
		.amdhsa_exception_fp_ieee_overflow 0
		.amdhsa_exception_fp_ieee_underflow 0
		.amdhsa_exception_fp_ieee_inexact 0
		.amdhsa_exception_int_div_zero 0
	.end_amdhsa_kernel
	.section	.text._ZN7rocprim17ROCPRIM_400000_NS6detail17trampoline_kernelINS0_14default_configENS1_25partition_config_selectorILNS1_17partition_subalgoE5ElNS0_10empty_typeEbEEZZNS1_14partition_implILS5_5ELb0ES3_mN6hipcub16HIPCUB_304000_NS21CountingInputIteratorIllEEPS6_NSA_22TransformInputIteratorIb7NonZeroIfEPflEENS0_5tupleIJPlS6_EEENSJ_IJSD_SD_EEES6_SK_JS6_EEE10hipError_tPvRmT3_T4_T5_T6_T7_T9_mT8_P12ihipStream_tbDpT10_ENKUlT_T0_E_clISt17integral_constantIbLb1EES15_IbLb0EEEEDaS11_S12_EUlS11_E_NS1_11comp_targetILNS1_3genE8ELNS1_11target_archE1030ELNS1_3gpuE2ELNS1_3repE0EEENS1_30default_config_static_selectorELNS0_4arch9wavefront6targetE1EEEvT1_,"axG",@progbits,_ZN7rocprim17ROCPRIM_400000_NS6detail17trampoline_kernelINS0_14default_configENS1_25partition_config_selectorILNS1_17partition_subalgoE5ElNS0_10empty_typeEbEEZZNS1_14partition_implILS5_5ELb0ES3_mN6hipcub16HIPCUB_304000_NS21CountingInputIteratorIllEEPS6_NSA_22TransformInputIteratorIb7NonZeroIfEPflEENS0_5tupleIJPlS6_EEENSJ_IJSD_SD_EEES6_SK_JS6_EEE10hipError_tPvRmT3_T4_T5_T6_T7_T9_mT8_P12ihipStream_tbDpT10_ENKUlT_T0_E_clISt17integral_constantIbLb1EES15_IbLb0EEEEDaS11_S12_EUlS11_E_NS1_11comp_targetILNS1_3genE8ELNS1_11target_archE1030ELNS1_3gpuE2ELNS1_3repE0EEENS1_30default_config_static_selectorELNS0_4arch9wavefront6targetE1EEEvT1_,comdat
.Lfunc_end276:
	.size	_ZN7rocprim17ROCPRIM_400000_NS6detail17trampoline_kernelINS0_14default_configENS1_25partition_config_selectorILNS1_17partition_subalgoE5ElNS0_10empty_typeEbEEZZNS1_14partition_implILS5_5ELb0ES3_mN6hipcub16HIPCUB_304000_NS21CountingInputIteratorIllEEPS6_NSA_22TransformInputIteratorIb7NonZeroIfEPflEENS0_5tupleIJPlS6_EEENSJ_IJSD_SD_EEES6_SK_JS6_EEE10hipError_tPvRmT3_T4_T5_T6_T7_T9_mT8_P12ihipStream_tbDpT10_ENKUlT_T0_E_clISt17integral_constantIbLb1EES15_IbLb0EEEEDaS11_S12_EUlS11_E_NS1_11comp_targetILNS1_3genE8ELNS1_11target_archE1030ELNS1_3gpuE2ELNS1_3repE0EEENS1_30default_config_static_selectorELNS0_4arch9wavefront6targetE1EEEvT1_, .Lfunc_end276-_ZN7rocprim17ROCPRIM_400000_NS6detail17trampoline_kernelINS0_14default_configENS1_25partition_config_selectorILNS1_17partition_subalgoE5ElNS0_10empty_typeEbEEZZNS1_14partition_implILS5_5ELb0ES3_mN6hipcub16HIPCUB_304000_NS21CountingInputIteratorIllEEPS6_NSA_22TransformInputIteratorIb7NonZeroIfEPflEENS0_5tupleIJPlS6_EEENSJ_IJSD_SD_EEES6_SK_JS6_EEE10hipError_tPvRmT3_T4_T5_T6_T7_T9_mT8_P12ihipStream_tbDpT10_ENKUlT_T0_E_clISt17integral_constantIbLb1EES15_IbLb0EEEEDaS11_S12_EUlS11_E_NS1_11comp_targetILNS1_3genE8ELNS1_11target_archE1030ELNS1_3gpuE2ELNS1_3repE0EEENS1_30default_config_static_selectorELNS0_4arch9wavefront6targetE1EEEvT1_
                                        ; -- End function
	.set _ZN7rocprim17ROCPRIM_400000_NS6detail17trampoline_kernelINS0_14default_configENS1_25partition_config_selectorILNS1_17partition_subalgoE5ElNS0_10empty_typeEbEEZZNS1_14partition_implILS5_5ELb0ES3_mN6hipcub16HIPCUB_304000_NS21CountingInputIteratorIllEEPS6_NSA_22TransformInputIteratorIb7NonZeroIfEPflEENS0_5tupleIJPlS6_EEENSJ_IJSD_SD_EEES6_SK_JS6_EEE10hipError_tPvRmT3_T4_T5_T6_T7_T9_mT8_P12ihipStream_tbDpT10_ENKUlT_T0_E_clISt17integral_constantIbLb1EES15_IbLb0EEEEDaS11_S12_EUlS11_E_NS1_11comp_targetILNS1_3genE8ELNS1_11target_archE1030ELNS1_3gpuE2ELNS1_3repE0EEENS1_30default_config_static_selectorELNS0_4arch9wavefront6targetE1EEEvT1_.num_vgpr, 0
	.set _ZN7rocprim17ROCPRIM_400000_NS6detail17trampoline_kernelINS0_14default_configENS1_25partition_config_selectorILNS1_17partition_subalgoE5ElNS0_10empty_typeEbEEZZNS1_14partition_implILS5_5ELb0ES3_mN6hipcub16HIPCUB_304000_NS21CountingInputIteratorIllEEPS6_NSA_22TransformInputIteratorIb7NonZeroIfEPflEENS0_5tupleIJPlS6_EEENSJ_IJSD_SD_EEES6_SK_JS6_EEE10hipError_tPvRmT3_T4_T5_T6_T7_T9_mT8_P12ihipStream_tbDpT10_ENKUlT_T0_E_clISt17integral_constantIbLb1EES15_IbLb0EEEEDaS11_S12_EUlS11_E_NS1_11comp_targetILNS1_3genE8ELNS1_11target_archE1030ELNS1_3gpuE2ELNS1_3repE0EEENS1_30default_config_static_selectorELNS0_4arch9wavefront6targetE1EEEvT1_.num_agpr, 0
	.set _ZN7rocprim17ROCPRIM_400000_NS6detail17trampoline_kernelINS0_14default_configENS1_25partition_config_selectorILNS1_17partition_subalgoE5ElNS0_10empty_typeEbEEZZNS1_14partition_implILS5_5ELb0ES3_mN6hipcub16HIPCUB_304000_NS21CountingInputIteratorIllEEPS6_NSA_22TransformInputIteratorIb7NonZeroIfEPflEENS0_5tupleIJPlS6_EEENSJ_IJSD_SD_EEES6_SK_JS6_EEE10hipError_tPvRmT3_T4_T5_T6_T7_T9_mT8_P12ihipStream_tbDpT10_ENKUlT_T0_E_clISt17integral_constantIbLb1EES15_IbLb0EEEEDaS11_S12_EUlS11_E_NS1_11comp_targetILNS1_3genE8ELNS1_11target_archE1030ELNS1_3gpuE2ELNS1_3repE0EEENS1_30default_config_static_selectorELNS0_4arch9wavefront6targetE1EEEvT1_.numbered_sgpr, 0
	.set _ZN7rocprim17ROCPRIM_400000_NS6detail17trampoline_kernelINS0_14default_configENS1_25partition_config_selectorILNS1_17partition_subalgoE5ElNS0_10empty_typeEbEEZZNS1_14partition_implILS5_5ELb0ES3_mN6hipcub16HIPCUB_304000_NS21CountingInputIteratorIllEEPS6_NSA_22TransformInputIteratorIb7NonZeroIfEPflEENS0_5tupleIJPlS6_EEENSJ_IJSD_SD_EEES6_SK_JS6_EEE10hipError_tPvRmT3_T4_T5_T6_T7_T9_mT8_P12ihipStream_tbDpT10_ENKUlT_T0_E_clISt17integral_constantIbLb1EES15_IbLb0EEEEDaS11_S12_EUlS11_E_NS1_11comp_targetILNS1_3genE8ELNS1_11target_archE1030ELNS1_3gpuE2ELNS1_3repE0EEENS1_30default_config_static_selectorELNS0_4arch9wavefront6targetE1EEEvT1_.num_named_barrier, 0
	.set _ZN7rocprim17ROCPRIM_400000_NS6detail17trampoline_kernelINS0_14default_configENS1_25partition_config_selectorILNS1_17partition_subalgoE5ElNS0_10empty_typeEbEEZZNS1_14partition_implILS5_5ELb0ES3_mN6hipcub16HIPCUB_304000_NS21CountingInputIteratorIllEEPS6_NSA_22TransformInputIteratorIb7NonZeroIfEPflEENS0_5tupleIJPlS6_EEENSJ_IJSD_SD_EEES6_SK_JS6_EEE10hipError_tPvRmT3_T4_T5_T6_T7_T9_mT8_P12ihipStream_tbDpT10_ENKUlT_T0_E_clISt17integral_constantIbLb1EES15_IbLb0EEEEDaS11_S12_EUlS11_E_NS1_11comp_targetILNS1_3genE8ELNS1_11target_archE1030ELNS1_3gpuE2ELNS1_3repE0EEENS1_30default_config_static_selectorELNS0_4arch9wavefront6targetE1EEEvT1_.private_seg_size, 0
	.set _ZN7rocprim17ROCPRIM_400000_NS6detail17trampoline_kernelINS0_14default_configENS1_25partition_config_selectorILNS1_17partition_subalgoE5ElNS0_10empty_typeEbEEZZNS1_14partition_implILS5_5ELb0ES3_mN6hipcub16HIPCUB_304000_NS21CountingInputIteratorIllEEPS6_NSA_22TransformInputIteratorIb7NonZeroIfEPflEENS0_5tupleIJPlS6_EEENSJ_IJSD_SD_EEES6_SK_JS6_EEE10hipError_tPvRmT3_T4_T5_T6_T7_T9_mT8_P12ihipStream_tbDpT10_ENKUlT_T0_E_clISt17integral_constantIbLb1EES15_IbLb0EEEEDaS11_S12_EUlS11_E_NS1_11comp_targetILNS1_3genE8ELNS1_11target_archE1030ELNS1_3gpuE2ELNS1_3repE0EEENS1_30default_config_static_selectorELNS0_4arch9wavefront6targetE1EEEvT1_.uses_vcc, 0
	.set _ZN7rocprim17ROCPRIM_400000_NS6detail17trampoline_kernelINS0_14default_configENS1_25partition_config_selectorILNS1_17partition_subalgoE5ElNS0_10empty_typeEbEEZZNS1_14partition_implILS5_5ELb0ES3_mN6hipcub16HIPCUB_304000_NS21CountingInputIteratorIllEEPS6_NSA_22TransformInputIteratorIb7NonZeroIfEPflEENS0_5tupleIJPlS6_EEENSJ_IJSD_SD_EEES6_SK_JS6_EEE10hipError_tPvRmT3_T4_T5_T6_T7_T9_mT8_P12ihipStream_tbDpT10_ENKUlT_T0_E_clISt17integral_constantIbLb1EES15_IbLb0EEEEDaS11_S12_EUlS11_E_NS1_11comp_targetILNS1_3genE8ELNS1_11target_archE1030ELNS1_3gpuE2ELNS1_3repE0EEENS1_30default_config_static_selectorELNS0_4arch9wavefront6targetE1EEEvT1_.uses_flat_scratch, 0
	.set _ZN7rocprim17ROCPRIM_400000_NS6detail17trampoline_kernelINS0_14default_configENS1_25partition_config_selectorILNS1_17partition_subalgoE5ElNS0_10empty_typeEbEEZZNS1_14partition_implILS5_5ELb0ES3_mN6hipcub16HIPCUB_304000_NS21CountingInputIteratorIllEEPS6_NSA_22TransformInputIteratorIb7NonZeroIfEPflEENS0_5tupleIJPlS6_EEENSJ_IJSD_SD_EEES6_SK_JS6_EEE10hipError_tPvRmT3_T4_T5_T6_T7_T9_mT8_P12ihipStream_tbDpT10_ENKUlT_T0_E_clISt17integral_constantIbLb1EES15_IbLb0EEEEDaS11_S12_EUlS11_E_NS1_11comp_targetILNS1_3genE8ELNS1_11target_archE1030ELNS1_3gpuE2ELNS1_3repE0EEENS1_30default_config_static_selectorELNS0_4arch9wavefront6targetE1EEEvT1_.has_dyn_sized_stack, 0
	.set _ZN7rocprim17ROCPRIM_400000_NS6detail17trampoline_kernelINS0_14default_configENS1_25partition_config_selectorILNS1_17partition_subalgoE5ElNS0_10empty_typeEbEEZZNS1_14partition_implILS5_5ELb0ES3_mN6hipcub16HIPCUB_304000_NS21CountingInputIteratorIllEEPS6_NSA_22TransformInputIteratorIb7NonZeroIfEPflEENS0_5tupleIJPlS6_EEENSJ_IJSD_SD_EEES6_SK_JS6_EEE10hipError_tPvRmT3_T4_T5_T6_T7_T9_mT8_P12ihipStream_tbDpT10_ENKUlT_T0_E_clISt17integral_constantIbLb1EES15_IbLb0EEEEDaS11_S12_EUlS11_E_NS1_11comp_targetILNS1_3genE8ELNS1_11target_archE1030ELNS1_3gpuE2ELNS1_3repE0EEENS1_30default_config_static_selectorELNS0_4arch9wavefront6targetE1EEEvT1_.has_recursion, 0
	.set _ZN7rocprim17ROCPRIM_400000_NS6detail17trampoline_kernelINS0_14default_configENS1_25partition_config_selectorILNS1_17partition_subalgoE5ElNS0_10empty_typeEbEEZZNS1_14partition_implILS5_5ELb0ES3_mN6hipcub16HIPCUB_304000_NS21CountingInputIteratorIllEEPS6_NSA_22TransformInputIteratorIb7NonZeroIfEPflEENS0_5tupleIJPlS6_EEENSJ_IJSD_SD_EEES6_SK_JS6_EEE10hipError_tPvRmT3_T4_T5_T6_T7_T9_mT8_P12ihipStream_tbDpT10_ENKUlT_T0_E_clISt17integral_constantIbLb1EES15_IbLb0EEEEDaS11_S12_EUlS11_E_NS1_11comp_targetILNS1_3genE8ELNS1_11target_archE1030ELNS1_3gpuE2ELNS1_3repE0EEENS1_30default_config_static_selectorELNS0_4arch9wavefront6targetE1EEEvT1_.has_indirect_call, 0
	.section	.AMDGPU.csdata,"",@progbits
; Kernel info:
; codeLenInByte = 0
; TotalNumSgprs: 4
; NumVgprs: 0
; ScratchSize: 0
; MemoryBound: 0
; FloatMode: 240
; IeeeMode: 1
; LDSByteSize: 0 bytes/workgroup (compile time only)
; SGPRBlocks: 0
; VGPRBlocks: 0
; NumSGPRsForWavesPerEU: 4
; NumVGPRsForWavesPerEU: 1
; Occupancy: 10
; WaveLimiterHint : 0
; COMPUTE_PGM_RSRC2:SCRATCH_EN: 0
; COMPUTE_PGM_RSRC2:USER_SGPR: 6
; COMPUTE_PGM_RSRC2:TRAP_HANDLER: 0
; COMPUTE_PGM_RSRC2:TGID_X_EN: 1
; COMPUTE_PGM_RSRC2:TGID_Y_EN: 0
; COMPUTE_PGM_RSRC2:TGID_Z_EN: 0
; COMPUTE_PGM_RSRC2:TIDIG_COMP_CNT: 0
	.section	.text._ZN7rocprim17ROCPRIM_400000_NS6detail17trampoline_kernelINS0_14default_configENS1_25partition_config_selectorILNS1_17partition_subalgoE5ElNS0_10empty_typeEbEEZZNS1_14partition_implILS5_5ELb0ES3_mN6hipcub16HIPCUB_304000_NS21CountingInputIteratorIllEEPS6_NSA_22TransformInputIteratorIb7NonZeroIfEPflEENS0_5tupleIJPlS6_EEENSJ_IJSD_SD_EEES6_SK_JS6_EEE10hipError_tPvRmT3_T4_T5_T6_T7_T9_mT8_P12ihipStream_tbDpT10_ENKUlT_T0_E_clISt17integral_constantIbLb0EES15_IbLb1EEEEDaS11_S12_EUlS11_E_NS1_11comp_targetILNS1_3genE0ELNS1_11target_archE4294967295ELNS1_3gpuE0ELNS1_3repE0EEENS1_30default_config_static_selectorELNS0_4arch9wavefront6targetE1EEEvT1_,"axG",@progbits,_ZN7rocprim17ROCPRIM_400000_NS6detail17trampoline_kernelINS0_14default_configENS1_25partition_config_selectorILNS1_17partition_subalgoE5ElNS0_10empty_typeEbEEZZNS1_14partition_implILS5_5ELb0ES3_mN6hipcub16HIPCUB_304000_NS21CountingInputIteratorIllEEPS6_NSA_22TransformInputIteratorIb7NonZeroIfEPflEENS0_5tupleIJPlS6_EEENSJ_IJSD_SD_EEES6_SK_JS6_EEE10hipError_tPvRmT3_T4_T5_T6_T7_T9_mT8_P12ihipStream_tbDpT10_ENKUlT_T0_E_clISt17integral_constantIbLb0EES15_IbLb1EEEEDaS11_S12_EUlS11_E_NS1_11comp_targetILNS1_3genE0ELNS1_11target_archE4294967295ELNS1_3gpuE0ELNS1_3repE0EEENS1_30default_config_static_selectorELNS0_4arch9wavefront6targetE1EEEvT1_,comdat
	.protected	_ZN7rocprim17ROCPRIM_400000_NS6detail17trampoline_kernelINS0_14default_configENS1_25partition_config_selectorILNS1_17partition_subalgoE5ElNS0_10empty_typeEbEEZZNS1_14partition_implILS5_5ELb0ES3_mN6hipcub16HIPCUB_304000_NS21CountingInputIteratorIllEEPS6_NSA_22TransformInputIteratorIb7NonZeroIfEPflEENS0_5tupleIJPlS6_EEENSJ_IJSD_SD_EEES6_SK_JS6_EEE10hipError_tPvRmT3_T4_T5_T6_T7_T9_mT8_P12ihipStream_tbDpT10_ENKUlT_T0_E_clISt17integral_constantIbLb0EES15_IbLb1EEEEDaS11_S12_EUlS11_E_NS1_11comp_targetILNS1_3genE0ELNS1_11target_archE4294967295ELNS1_3gpuE0ELNS1_3repE0EEENS1_30default_config_static_selectorELNS0_4arch9wavefront6targetE1EEEvT1_ ; -- Begin function _ZN7rocprim17ROCPRIM_400000_NS6detail17trampoline_kernelINS0_14default_configENS1_25partition_config_selectorILNS1_17partition_subalgoE5ElNS0_10empty_typeEbEEZZNS1_14partition_implILS5_5ELb0ES3_mN6hipcub16HIPCUB_304000_NS21CountingInputIteratorIllEEPS6_NSA_22TransformInputIteratorIb7NonZeroIfEPflEENS0_5tupleIJPlS6_EEENSJ_IJSD_SD_EEES6_SK_JS6_EEE10hipError_tPvRmT3_T4_T5_T6_T7_T9_mT8_P12ihipStream_tbDpT10_ENKUlT_T0_E_clISt17integral_constantIbLb0EES15_IbLb1EEEEDaS11_S12_EUlS11_E_NS1_11comp_targetILNS1_3genE0ELNS1_11target_archE4294967295ELNS1_3gpuE0ELNS1_3repE0EEENS1_30default_config_static_selectorELNS0_4arch9wavefront6targetE1EEEvT1_
	.globl	_ZN7rocprim17ROCPRIM_400000_NS6detail17trampoline_kernelINS0_14default_configENS1_25partition_config_selectorILNS1_17partition_subalgoE5ElNS0_10empty_typeEbEEZZNS1_14partition_implILS5_5ELb0ES3_mN6hipcub16HIPCUB_304000_NS21CountingInputIteratorIllEEPS6_NSA_22TransformInputIteratorIb7NonZeroIfEPflEENS0_5tupleIJPlS6_EEENSJ_IJSD_SD_EEES6_SK_JS6_EEE10hipError_tPvRmT3_T4_T5_T6_T7_T9_mT8_P12ihipStream_tbDpT10_ENKUlT_T0_E_clISt17integral_constantIbLb0EES15_IbLb1EEEEDaS11_S12_EUlS11_E_NS1_11comp_targetILNS1_3genE0ELNS1_11target_archE4294967295ELNS1_3gpuE0ELNS1_3repE0EEENS1_30default_config_static_selectorELNS0_4arch9wavefront6targetE1EEEvT1_
	.p2align	8
	.type	_ZN7rocprim17ROCPRIM_400000_NS6detail17trampoline_kernelINS0_14default_configENS1_25partition_config_selectorILNS1_17partition_subalgoE5ElNS0_10empty_typeEbEEZZNS1_14partition_implILS5_5ELb0ES3_mN6hipcub16HIPCUB_304000_NS21CountingInputIteratorIllEEPS6_NSA_22TransformInputIteratorIb7NonZeroIfEPflEENS0_5tupleIJPlS6_EEENSJ_IJSD_SD_EEES6_SK_JS6_EEE10hipError_tPvRmT3_T4_T5_T6_T7_T9_mT8_P12ihipStream_tbDpT10_ENKUlT_T0_E_clISt17integral_constantIbLb0EES15_IbLb1EEEEDaS11_S12_EUlS11_E_NS1_11comp_targetILNS1_3genE0ELNS1_11target_archE4294967295ELNS1_3gpuE0ELNS1_3repE0EEENS1_30default_config_static_selectorELNS0_4arch9wavefront6targetE1EEEvT1_,@function
_ZN7rocprim17ROCPRIM_400000_NS6detail17trampoline_kernelINS0_14default_configENS1_25partition_config_selectorILNS1_17partition_subalgoE5ElNS0_10empty_typeEbEEZZNS1_14partition_implILS5_5ELb0ES3_mN6hipcub16HIPCUB_304000_NS21CountingInputIteratorIllEEPS6_NSA_22TransformInputIteratorIb7NonZeroIfEPflEENS0_5tupleIJPlS6_EEENSJ_IJSD_SD_EEES6_SK_JS6_EEE10hipError_tPvRmT3_T4_T5_T6_T7_T9_mT8_P12ihipStream_tbDpT10_ENKUlT_T0_E_clISt17integral_constantIbLb0EES15_IbLb1EEEEDaS11_S12_EUlS11_E_NS1_11comp_targetILNS1_3genE0ELNS1_11target_archE4294967295ELNS1_3gpuE0ELNS1_3repE0EEENS1_30default_config_static_selectorELNS0_4arch9wavefront6targetE1EEEvT1_: ; @_ZN7rocprim17ROCPRIM_400000_NS6detail17trampoline_kernelINS0_14default_configENS1_25partition_config_selectorILNS1_17partition_subalgoE5ElNS0_10empty_typeEbEEZZNS1_14partition_implILS5_5ELb0ES3_mN6hipcub16HIPCUB_304000_NS21CountingInputIteratorIllEEPS6_NSA_22TransformInputIteratorIb7NonZeroIfEPflEENS0_5tupleIJPlS6_EEENSJ_IJSD_SD_EEES6_SK_JS6_EEE10hipError_tPvRmT3_T4_T5_T6_T7_T9_mT8_P12ihipStream_tbDpT10_ENKUlT_T0_E_clISt17integral_constantIbLb0EES15_IbLb1EEEEDaS11_S12_EUlS11_E_NS1_11comp_targetILNS1_3genE0ELNS1_11target_archE4294967295ELNS1_3gpuE0ELNS1_3repE0EEENS1_30default_config_static_selectorELNS0_4arch9wavefront6targetE1EEEvT1_
; %bb.0:
	.section	.rodata,"a",@progbits
	.p2align	6, 0x0
	.amdhsa_kernel _ZN7rocprim17ROCPRIM_400000_NS6detail17trampoline_kernelINS0_14default_configENS1_25partition_config_selectorILNS1_17partition_subalgoE5ElNS0_10empty_typeEbEEZZNS1_14partition_implILS5_5ELb0ES3_mN6hipcub16HIPCUB_304000_NS21CountingInputIteratorIllEEPS6_NSA_22TransformInputIteratorIb7NonZeroIfEPflEENS0_5tupleIJPlS6_EEENSJ_IJSD_SD_EEES6_SK_JS6_EEE10hipError_tPvRmT3_T4_T5_T6_T7_T9_mT8_P12ihipStream_tbDpT10_ENKUlT_T0_E_clISt17integral_constantIbLb0EES15_IbLb1EEEEDaS11_S12_EUlS11_E_NS1_11comp_targetILNS1_3genE0ELNS1_11target_archE4294967295ELNS1_3gpuE0ELNS1_3repE0EEENS1_30default_config_static_selectorELNS0_4arch9wavefront6targetE1EEEvT1_
		.amdhsa_group_segment_fixed_size 0
		.amdhsa_private_segment_fixed_size 0
		.amdhsa_kernarg_size 136
		.amdhsa_user_sgpr_count 6
		.amdhsa_user_sgpr_private_segment_buffer 1
		.amdhsa_user_sgpr_dispatch_ptr 0
		.amdhsa_user_sgpr_queue_ptr 0
		.amdhsa_user_sgpr_kernarg_segment_ptr 1
		.amdhsa_user_sgpr_dispatch_id 0
		.amdhsa_user_sgpr_flat_scratch_init 0
		.amdhsa_user_sgpr_private_segment_size 0
		.amdhsa_uses_dynamic_stack 0
		.amdhsa_system_sgpr_private_segment_wavefront_offset 0
		.amdhsa_system_sgpr_workgroup_id_x 1
		.amdhsa_system_sgpr_workgroup_id_y 0
		.amdhsa_system_sgpr_workgroup_id_z 0
		.amdhsa_system_sgpr_workgroup_info 0
		.amdhsa_system_vgpr_workitem_id 0
		.amdhsa_next_free_vgpr 1
		.amdhsa_next_free_sgpr 0
		.amdhsa_reserve_vcc 0
		.amdhsa_reserve_flat_scratch 0
		.amdhsa_float_round_mode_32 0
		.amdhsa_float_round_mode_16_64 0
		.amdhsa_float_denorm_mode_32 3
		.amdhsa_float_denorm_mode_16_64 3
		.amdhsa_dx10_clamp 1
		.amdhsa_ieee_mode 1
		.amdhsa_fp16_overflow 0
		.amdhsa_exception_fp_ieee_invalid_op 0
		.amdhsa_exception_fp_denorm_src 0
		.amdhsa_exception_fp_ieee_div_zero 0
		.amdhsa_exception_fp_ieee_overflow 0
		.amdhsa_exception_fp_ieee_underflow 0
		.amdhsa_exception_fp_ieee_inexact 0
		.amdhsa_exception_int_div_zero 0
	.end_amdhsa_kernel
	.section	.text._ZN7rocprim17ROCPRIM_400000_NS6detail17trampoline_kernelINS0_14default_configENS1_25partition_config_selectorILNS1_17partition_subalgoE5ElNS0_10empty_typeEbEEZZNS1_14partition_implILS5_5ELb0ES3_mN6hipcub16HIPCUB_304000_NS21CountingInputIteratorIllEEPS6_NSA_22TransformInputIteratorIb7NonZeroIfEPflEENS0_5tupleIJPlS6_EEENSJ_IJSD_SD_EEES6_SK_JS6_EEE10hipError_tPvRmT3_T4_T5_T6_T7_T9_mT8_P12ihipStream_tbDpT10_ENKUlT_T0_E_clISt17integral_constantIbLb0EES15_IbLb1EEEEDaS11_S12_EUlS11_E_NS1_11comp_targetILNS1_3genE0ELNS1_11target_archE4294967295ELNS1_3gpuE0ELNS1_3repE0EEENS1_30default_config_static_selectorELNS0_4arch9wavefront6targetE1EEEvT1_,"axG",@progbits,_ZN7rocprim17ROCPRIM_400000_NS6detail17trampoline_kernelINS0_14default_configENS1_25partition_config_selectorILNS1_17partition_subalgoE5ElNS0_10empty_typeEbEEZZNS1_14partition_implILS5_5ELb0ES3_mN6hipcub16HIPCUB_304000_NS21CountingInputIteratorIllEEPS6_NSA_22TransformInputIteratorIb7NonZeroIfEPflEENS0_5tupleIJPlS6_EEENSJ_IJSD_SD_EEES6_SK_JS6_EEE10hipError_tPvRmT3_T4_T5_T6_T7_T9_mT8_P12ihipStream_tbDpT10_ENKUlT_T0_E_clISt17integral_constantIbLb0EES15_IbLb1EEEEDaS11_S12_EUlS11_E_NS1_11comp_targetILNS1_3genE0ELNS1_11target_archE4294967295ELNS1_3gpuE0ELNS1_3repE0EEENS1_30default_config_static_selectorELNS0_4arch9wavefront6targetE1EEEvT1_,comdat
.Lfunc_end277:
	.size	_ZN7rocprim17ROCPRIM_400000_NS6detail17trampoline_kernelINS0_14default_configENS1_25partition_config_selectorILNS1_17partition_subalgoE5ElNS0_10empty_typeEbEEZZNS1_14partition_implILS5_5ELb0ES3_mN6hipcub16HIPCUB_304000_NS21CountingInputIteratorIllEEPS6_NSA_22TransformInputIteratorIb7NonZeroIfEPflEENS0_5tupleIJPlS6_EEENSJ_IJSD_SD_EEES6_SK_JS6_EEE10hipError_tPvRmT3_T4_T5_T6_T7_T9_mT8_P12ihipStream_tbDpT10_ENKUlT_T0_E_clISt17integral_constantIbLb0EES15_IbLb1EEEEDaS11_S12_EUlS11_E_NS1_11comp_targetILNS1_3genE0ELNS1_11target_archE4294967295ELNS1_3gpuE0ELNS1_3repE0EEENS1_30default_config_static_selectorELNS0_4arch9wavefront6targetE1EEEvT1_, .Lfunc_end277-_ZN7rocprim17ROCPRIM_400000_NS6detail17trampoline_kernelINS0_14default_configENS1_25partition_config_selectorILNS1_17partition_subalgoE5ElNS0_10empty_typeEbEEZZNS1_14partition_implILS5_5ELb0ES3_mN6hipcub16HIPCUB_304000_NS21CountingInputIteratorIllEEPS6_NSA_22TransformInputIteratorIb7NonZeroIfEPflEENS0_5tupleIJPlS6_EEENSJ_IJSD_SD_EEES6_SK_JS6_EEE10hipError_tPvRmT3_T4_T5_T6_T7_T9_mT8_P12ihipStream_tbDpT10_ENKUlT_T0_E_clISt17integral_constantIbLb0EES15_IbLb1EEEEDaS11_S12_EUlS11_E_NS1_11comp_targetILNS1_3genE0ELNS1_11target_archE4294967295ELNS1_3gpuE0ELNS1_3repE0EEENS1_30default_config_static_selectorELNS0_4arch9wavefront6targetE1EEEvT1_
                                        ; -- End function
	.set _ZN7rocprim17ROCPRIM_400000_NS6detail17trampoline_kernelINS0_14default_configENS1_25partition_config_selectorILNS1_17partition_subalgoE5ElNS0_10empty_typeEbEEZZNS1_14partition_implILS5_5ELb0ES3_mN6hipcub16HIPCUB_304000_NS21CountingInputIteratorIllEEPS6_NSA_22TransformInputIteratorIb7NonZeroIfEPflEENS0_5tupleIJPlS6_EEENSJ_IJSD_SD_EEES6_SK_JS6_EEE10hipError_tPvRmT3_T4_T5_T6_T7_T9_mT8_P12ihipStream_tbDpT10_ENKUlT_T0_E_clISt17integral_constantIbLb0EES15_IbLb1EEEEDaS11_S12_EUlS11_E_NS1_11comp_targetILNS1_3genE0ELNS1_11target_archE4294967295ELNS1_3gpuE0ELNS1_3repE0EEENS1_30default_config_static_selectorELNS0_4arch9wavefront6targetE1EEEvT1_.num_vgpr, 0
	.set _ZN7rocprim17ROCPRIM_400000_NS6detail17trampoline_kernelINS0_14default_configENS1_25partition_config_selectorILNS1_17partition_subalgoE5ElNS0_10empty_typeEbEEZZNS1_14partition_implILS5_5ELb0ES3_mN6hipcub16HIPCUB_304000_NS21CountingInputIteratorIllEEPS6_NSA_22TransformInputIteratorIb7NonZeroIfEPflEENS0_5tupleIJPlS6_EEENSJ_IJSD_SD_EEES6_SK_JS6_EEE10hipError_tPvRmT3_T4_T5_T6_T7_T9_mT8_P12ihipStream_tbDpT10_ENKUlT_T0_E_clISt17integral_constantIbLb0EES15_IbLb1EEEEDaS11_S12_EUlS11_E_NS1_11comp_targetILNS1_3genE0ELNS1_11target_archE4294967295ELNS1_3gpuE0ELNS1_3repE0EEENS1_30default_config_static_selectorELNS0_4arch9wavefront6targetE1EEEvT1_.num_agpr, 0
	.set _ZN7rocprim17ROCPRIM_400000_NS6detail17trampoline_kernelINS0_14default_configENS1_25partition_config_selectorILNS1_17partition_subalgoE5ElNS0_10empty_typeEbEEZZNS1_14partition_implILS5_5ELb0ES3_mN6hipcub16HIPCUB_304000_NS21CountingInputIteratorIllEEPS6_NSA_22TransformInputIteratorIb7NonZeroIfEPflEENS0_5tupleIJPlS6_EEENSJ_IJSD_SD_EEES6_SK_JS6_EEE10hipError_tPvRmT3_T4_T5_T6_T7_T9_mT8_P12ihipStream_tbDpT10_ENKUlT_T0_E_clISt17integral_constantIbLb0EES15_IbLb1EEEEDaS11_S12_EUlS11_E_NS1_11comp_targetILNS1_3genE0ELNS1_11target_archE4294967295ELNS1_3gpuE0ELNS1_3repE0EEENS1_30default_config_static_selectorELNS0_4arch9wavefront6targetE1EEEvT1_.numbered_sgpr, 0
	.set _ZN7rocprim17ROCPRIM_400000_NS6detail17trampoline_kernelINS0_14default_configENS1_25partition_config_selectorILNS1_17partition_subalgoE5ElNS0_10empty_typeEbEEZZNS1_14partition_implILS5_5ELb0ES3_mN6hipcub16HIPCUB_304000_NS21CountingInputIteratorIllEEPS6_NSA_22TransformInputIteratorIb7NonZeroIfEPflEENS0_5tupleIJPlS6_EEENSJ_IJSD_SD_EEES6_SK_JS6_EEE10hipError_tPvRmT3_T4_T5_T6_T7_T9_mT8_P12ihipStream_tbDpT10_ENKUlT_T0_E_clISt17integral_constantIbLb0EES15_IbLb1EEEEDaS11_S12_EUlS11_E_NS1_11comp_targetILNS1_3genE0ELNS1_11target_archE4294967295ELNS1_3gpuE0ELNS1_3repE0EEENS1_30default_config_static_selectorELNS0_4arch9wavefront6targetE1EEEvT1_.num_named_barrier, 0
	.set _ZN7rocprim17ROCPRIM_400000_NS6detail17trampoline_kernelINS0_14default_configENS1_25partition_config_selectorILNS1_17partition_subalgoE5ElNS0_10empty_typeEbEEZZNS1_14partition_implILS5_5ELb0ES3_mN6hipcub16HIPCUB_304000_NS21CountingInputIteratorIllEEPS6_NSA_22TransformInputIteratorIb7NonZeroIfEPflEENS0_5tupleIJPlS6_EEENSJ_IJSD_SD_EEES6_SK_JS6_EEE10hipError_tPvRmT3_T4_T5_T6_T7_T9_mT8_P12ihipStream_tbDpT10_ENKUlT_T0_E_clISt17integral_constantIbLb0EES15_IbLb1EEEEDaS11_S12_EUlS11_E_NS1_11comp_targetILNS1_3genE0ELNS1_11target_archE4294967295ELNS1_3gpuE0ELNS1_3repE0EEENS1_30default_config_static_selectorELNS0_4arch9wavefront6targetE1EEEvT1_.private_seg_size, 0
	.set _ZN7rocprim17ROCPRIM_400000_NS6detail17trampoline_kernelINS0_14default_configENS1_25partition_config_selectorILNS1_17partition_subalgoE5ElNS0_10empty_typeEbEEZZNS1_14partition_implILS5_5ELb0ES3_mN6hipcub16HIPCUB_304000_NS21CountingInputIteratorIllEEPS6_NSA_22TransformInputIteratorIb7NonZeroIfEPflEENS0_5tupleIJPlS6_EEENSJ_IJSD_SD_EEES6_SK_JS6_EEE10hipError_tPvRmT3_T4_T5_T6_T7_T9_mT8_P12ihipStream_tbDpT10_ENKUlT_T0_E_clISt17integral_constantIbLb0EES15_IbLb1EEEEDaS11_S12_EUlS11_E_NS1_11comp_targetILNS1_3genE0ELNS1_11target_archE4294967295ELNS1_3gpuE0ELNS1_3repE0EEENS1_30default_config_static_selectorELNS0_4arch9wavefront6targetE1EEEvT1_.uses_vcc, 0
	.set _ZN7rocprim17ROCPRIM_400000_NS6detail17trampoline_kernelINS0_14default_configENS1_25partition_config_selectorILNS1_17partition_subalgoE5ElNS0_10empty_typeEbEEZZNS1_14partition_implILS5_5ELb0ES3_mN6hipcub16HIPCUB_304000_NS21CountingInputIteratorIllEEPS6_NSA_22TransformInputIteratorIb7NonZeroIfEPflEENS0_5tupleIJPlS6_EEENSJ_IJSD_SD_EEES6_SK_JS6_EEE10hipError_tPvRmT3_T4_T5_T6_T7_T9_mT8_P12ihipStream_tbDpT10_ENKUlT_T0_E_clISt17integral_constantIbLb0EES15_IbLb1EEEEDaS11_S12_EUlS11_E_NS1_11comp_targetILNS1_3genE0ELNS1_11target_archE4294967295ELNS1_3gpuE0ELNS1_3repE0EEENS1_30default_config_static_selectorELNS0_4arch9wavefront6targetE1EEEvT1_.uses_flat_scratch, 0
	.set _ZN7rocprim17ROCPRIM_400000_NS6detail17trampoline_kernelINS0_14default_configENS1_25partition_config_selectorILNS1_17partition_subalgoE5ElNS0_10empty_typeEbEEZZNS1_14partition_implILS5_5ELb0ES3_mN6hipcub16HIPCUB_304000_NS21CountingInputIteratorIllEEPS6_NSA_22TransformInputIteratorIb7NonZeroIfEPflEENS0_5tupleIJPlS6_EEENSJ_IJSD_SD_EEES6_SK_JS6_EEE10hipError_tPvRmT3_T4_T5_T6_T7_T9_mT8_P12ihipStream_tbDpT10_ENKUlT_T0_E_clISt17integral_constantIbLb0EES15_IbLb1EEEEDaS11_S12_EUlS11_E_NS1_11comp_targetILNS1_3genE0ELNS1_11target_archE4294967295ELNS1_3gpuE0ELNS1_3repE0EEENS1_30default_config_static_selectorELNS0_4arch9wavefront6targetE1EEEvT1_.has_dyn_sized_stack, 0
	.set _ZN7rocprim17ROCPRIM_400000_NS6detail17trampoline_kernelINS0_14default_configENS1_25partition_config_selectorILNS1_17partition_subalgoE5ElNS0_10empty_typeEbEEZZNS1_14partition_implILS5_5ELb0ES3_mN6hipcub16HIPCUB_304000_NS21CountingInputIteratorIllEEPS6_NSA_22TransformInputIteratorIb7NonZeroIfEPflEENS0_5tupleIJPlS6_EEENSJ_IJSD_SD_EEES6_SK_JS6_EEE10hipError_tPvRmT3_T4_T5_T6_T7_T9_mT8_P12ihipStream_tbDpT10_ENKUlT_T0_E_clISt17integral_constantIbLb0EES15_IbLb1EEEEDaS11_S12_EUlS11_E_NS1_11comp_targetILNS1_3genE0ELNS1_11target_archE4294967295ELNS1_3gpuE0ELNS1_3repE0EEENS1_30default_config_static_selectorELNS0_4arch9wavefront6targetE1EEEvT1_.has_recursion, 0
	.set _ZN7rocprim17ROCPRIM_400000_NS6detail17trampoline_kernelINS0_14default_configENS1_25partition_config_selectorILNS1_17partition_subalgoE5ElNS0_10empty_typeEbEEZZNS1_14partition_implILS5_5ELb0ES3_mN6hipcub16HIPCUB_304000_NS21CountingInputIteratorIllEEPS6_NSA_22TransformInputIteratorIb7NonZeroIfEPflEENS0_5tupleIJPlS6_EEENSJ_IJSD_SD_EEES6_SK_JS6_EEE10hipError_tPvRmT3_T4_T5_T6_T7_T9_mT8_P12ihipStream_tbDpT10_ENKUlT_T0_E_clISt17integral_constantIbLb0EES15_IbLb1EEEEDaS11_S12_EUlS11_E_NS1_11comp_targetILNS1_3genE0ELNS1_11target_archE4294967295ELNS1_3gpuE0ELNS1_3repE0EEENS1_30default_config_static_selectorELNS0_4arch9wavefront6targetE1EEEvT1_.has_indirect_call, 0
	.section	.AMDGPU.csdata,"",@progbits
; Kernel info:
; codeLenInByte = 0
; TotalNumSgprs: 4
; NumVgprs: 0
; ScratchSize: 0
; MemoryBound: 0
; FloatMode: 240
; IeeeMode: 1
; LDSByteSize: 0 bytes/workgroup (compile time only)
; SGPRBlocks: 0
; VGPRBlocks: 0
; NumSGPRsForWavesPerEU: 4
; NumVGPRsForWavesPerEU: 1
; Occupancy: 10
; WaveLimiterHint : 0
; COMPUTE_PGM_RSRC2:SCRATCH_EN: 0
; COMPUTE_PGM_RSRC2:USER_SGPR: 6
; COMPUTE_PGM_RSRC2:TRAP_HANDLER: 0
; COMPUTE_PGM_RSRC2:TGID_X_EN: 1
; COMPUTE_PGM_RSRC2:TGID_Y_EN: 0
; COMPUTE_PGM_RSRC2:TGID_Z_EN: 0
; COMPUTE_PGM_RSRC2:TIDIG_COMP_CNT: 0
	.section	.text._ZN7rocprim17ROCPRIM_400000_NS6detail17trampoline_kernelINS0_14default_configENS1_25partition_config_selectorILNS1_17partition_subalgoE5ElNS0_10empty_typeEbEEZZNS1_14partition_implILS5_5ELb0ES3_mN6hipcub16HIPCUB_304000_NS21CountingInputIteratorIllEEPS6_NSA_22TransformInputIteratorIb7NonZeroIfEPflEENS0_5tupleIJPlS6_EEENSJ_IJSD_SD_EEES6_SK_JS6_EEE10hipError_tPvRmT3_T4_T5_T6_T7_T9_mT8_P12ihipStream_tbDpT10_ENKUlT_T0_E_clISt17integral_constantIbLb0EES15_IbLb1EEEEDaS11_S12_EUlS11_E_NS1_11comp_targetILNS1_3genE5ELNS1_11target_archE942ELNS1_3gpuE9ELNS1_3repE0EEENS1_30default_config_static_selectorELNS0_4arch9wavefront6targetE1EEEvT1_,"axG",@progbits,_ZN7rocprim17ROCPRIM_400000_NS6detail17trampoline_kernelINS0_14default_configENS1_25partition_config_selectorILNS1_17partition_subalgoE5ElNS0_10empty_typeEbEEZZNS1_14partition_implILS5_5ELb0ES3_mN6hipcub16HIPCUB_304000_NS21CountingInputIteratorIllEEPS6_NSA_22TransformInputIteratorIb7NonZeroIfEPflEENS0_5tupleIJPlS6_EEENSJ_IJSD_SD_EEES6_SK_JS6_EEE10hipError_tPvRmT3_T4_T5_T6_T7_T9_mT8_P12ihipStream_tbDpT10_ENKUlT_T0_E_clISt17integral_constantIbLb0EES15_IbLb1EEEEDaS11_S12_EUlS11_E_NS1_11comp_targetILNS1_3genE5ELNS1_11target_archE942ELNS1_3gpuE9ELNS1_3repE0EEENS1_30default_config_static_selectorELNS0_4arch9wavefront6targetE1EEEvT1_,comdat
	.protected	_ZN7rocprim17ROCPRIM_400000_NS6detail17trampoline_kernelINS0_14default_configENS1_25partition_config_selectorILNS1_17partition_subalgoE5ElNS0_10empty_typeEbEEZZNS1_14partition_implILS5_5ELb0ES3_mN6hipcub16HIPCUB_304000_NS21CountingInputIteratorIllEEPS6_NSA_22TransformInputIteratorIb7NonZeroIfEPflEENS0_5tupleIJPlS6_EEENSJ_IJSD_SD_EEES6_SK_JS6_EEE10hipError_tPvRmT3_T4_T5_T6_T7_T9_mT8_P12ihipStream_tbDpT10_ENKUlT_T0_E_clISt17integral_constantIbLb0EES15_IbLb1EEEEDaS11_S12_EUlS11_E_NS1_11comp_targetILNS1_3genE5ELNS1_11target_archE942ELNS1_3gpuE9ELNS1_3repE0EEENS1_30default_config_static_selectorELNS0_4arch9wavefront6targetE1EEEvT1_ ; -- Begin function _ZN7rocprim17ROCPRIM_400000_NS6detail17trampoline_kernelINS0_14default_configENS1_25partition_config_selectorILNS1_17partition_subalgoE5ElNS0_10empty_typeEbEEZZNS1_14partition_implILS5_5ELb0ES3_mN6hipcub16HIPCUB_304000_NS21CountingInputIteratorIllEEPS6_NSA_22TransformInputIteratorIb7NonZeroIfEPflEENS0_5tupleIJPlS6_EEENSJ_IJSD_SD_EEES6_SK_JS6_EEE10hipError_tPvRmT3_T4_T5_T6_T7_T9_mT8_P12ihipStream_tbDpT10_ENKUlT_T0_E_clISt17integral_constantIbLb0EES15_IbLb1EEEEDaS11_S12_EUlS11_E_NS1_11comp_targetILNS1_3genE5ELNS1_11target_archE942ELNS1_3gpuE9ELNS1_3repE0EEENS1_30default_config_static_selectorELNS0_4arch9wavefront6targetE1EEEvT1_
	.globl	_ZN7rocprim17ROCPRIM_400000_NS6detail17trampoline_kernelINS0_14default_configENS1_25partition_config_selectorILNS1_17partition_subalgoE5ElNS0_10empty_typeEbEEZZNS1_14partition_implILS5_5ELb0ES3_mN6hipcub16HIPCUB_304000_NS21CountingInputIteratorIllEEPS6_NSA_22TransformInputIteratorIb7NonZeroIfEPflEENS0_5tupleIJPlS6_EEENSJ_IJSD_SD_EEES6_SK_JS6_EEE10hipError_tPvRmT3_T4_T5_T6_T7_T9_mT8_P12ihipStream_tbDpT10_ENKUlT_T0_E_clISt17integral_constantIbLb0EES15_IbLb1EEEEDaS11_S12_EUlS11_E_NS1_11comp_targetILNS1_3genE5ELNS1_11target_archE942ELNS1_3gpuE9ELNS1_3repE0EEENS1_30default_config_static_selectorELNS0_4arch9wavefront6targetE1EEEvT1_
	.p2align	8
	.type	_ZN7rocprim17ROCPRIM_400000_NS6detail17trampoline_kernelINS0_14default_configENS1_25partition_config_selectorILNS1_17partition_subalgoE5ElNS0_10empty_typeEbEEZZNS1_14partition_implILS5_5ELb0ES3_mN6hipcub16HIPCUB_304000_NS21CountingInputIteratorIllEEPS6_NSA_22TransformInputIteratorIb7NonZeroIfEPflEENS0_5tupleIJPlS6_EEENSJ_IJSD_SD_EEES6_SK_JS6_EEE10hipError_tPvRmT3_T4_T5_T6_T7_T9_mT8_P12ihipStream_tbDpT10_ENKUlT_T0_E_clISt17integral_constantIbLb0EES15_IbLb1EEEEDaS11_S12_EUlS11_E_NS1_11comp_targetILNS1_3genE5ELNS1_11target_archE942ELNS1_3gpuE9ELNS1_3repE0EEENS1_30default_config_static_selectorELNS0_4arch9wavefront6targetE1EEEvT1_,@function
_ZN7rocprim17ROCPRIM_400000_NS6detail17trampoline_kernelINS0_14default_configENS1_25partition_config_selectorILNS1_17partition_subalgoE5ElNS0_10empty_typeEbEEZZNS1_14partition_implILS5_5ELb0ES3_mN6hipcub16HIPCUB_304000_NS21CountingInputIteratorIllEEPS6_NSA_22TransformInputIteratorIb7NonZeroIfEPflEENS0_5tupleIJPlS6_EEENSJ_IJSD_SD_EEES6_SK_JS6_EEE10hipError_tPvRmT3_T4_T5_T6_T7_T9_mT8_P12ihipStream_tbDpT10_ENKUlT_T0_E_clISt17integral_constantIbLb0EES15_IbLb1EEEEDaS11_S12_EUlS11_E_NS1_11comp_targetILNS1_3genE5ELNS1_11target_archE942ELNS1_3gpuE9ELNS1_3repE0EEENS1_30default_config_static_selectorELNS0_4arch9wavefront6targetE1EEEvT1_: ; @_ZN7rocprim17ROCPRIM_400000_NS6detail17trampoline_kernelINS0_14default_configENS1_25partition_config_selectorILNS1_17partition_subalgoE5ElNS0_10empty_typeEbEEZZNS1_14partition_implILS5_5ELb0ES3_mN6hipcub16HIPCUB_304000_NS21CountingInputIteratorIllEEPS6_NSA_22TransformInputIteratorIb7NonZeroIfEPflEENS0_5tupleIJPlS6_EEENSJ_IJSD_SD_EEES6_SK_JS6_EEE10hipError_tPvRmT3_T4_T5_T6_T7_T9_mT8_P12ihipStream_tbDpT10_ENKUlT_T0_E_clISt17integral_constantIbLb0EES15_IbLb1EEEEDaS11_S12_EUlS11_E_NS1_11comp_targetILNS1_3genE5ELNS1_11target_archE942ELNS1_3gpuE9ELNS1_3repE0EEENS1_30default_config_static_selectorELNS0_4arch9wavefront6targetE1EEEvT1_
; %bb.0:
	.section	.rodata,"a",@progbits
	.p2align	6, 0x0
	.amdhsa_kernel _ZN7rocprim17ROCPRIM_400000_NS6detail17trampoline_kernelINS0_14default_configENS1_25partition_config_selectorILNS1_17partition_subalgoE5ElNS0_10empty_typeEbEEZZNS1_14partition_implILS5_5ELb0ES3_mN6hipcub16HIPCUB_304000_NS21CountingInputIteratorIllEEPS6_NSA_22TransformInputIteratorIb7NonZeroIfEPflEENS0_5tupleIJPlS6_EEENSJ_IJSD_SD_EEES6_SK_JS6_EEE10hipError_tPvRmT3_T4_T5_T6_T7_T9_mT8_P12ihipStream_tbDpT10_ENKUlT_T0_E_clISt17integral_constantIbLb0EES15_IbLb1EEEEDaS11_S12_EUlS11_E_NS1_11comp_targetILNS1_3genE5ELNS1_11target_archE942ELNS1_3gpuE9ELNS1_3repE0EEENS1_30default_config_static_selectorELNS0_4arch9wavefront6targetE1EEEvT1_
		.amdhsa_group_segment_fixed_size 0
		.amdhsa_private_segment_fixed_size 0
		.amdhsa_kernarg_size 136
		.amdhsa_user_sgpr_count 6
		.amdhsa_user_sgpr_private_segment_buffer 1
		.amdhsa_user_sgpr_dispatch_ptr 0
		.amdhsa_user_sgpr_queue_ptr 0
		.amdhsa_user_sgpr_kernarg_segment_ptr 1
		.amdhsa_user_sgpr_dispatch_id 0
		.amdhsa_user_sgpr_flat_scratch_init 0
		.amdhsa_user_sgpr_private_segment_size 0
		.amdhsa_uses_dynamic_stack 0
		.amdhsa_system_sgpr_private_segment_wavefront_offset 0
		.amdhsa_system_sgpr_workgroup_id_x 1
		.amdhsa_system_sgpr_workgroup_id_y 0
		.amdhsa_system_sgpr_workgroup_id_z 0
		.amdhsa_system_sgpr_workgroup_info 0
		.amdhsa_system_vgpr_workitem_id 0
		.amdhsa_next_free_vgpr 1
		.amdhsa_next_free_sgpr 0
		.amdhsa_reserve_vcc 0
		.amdhsa_reserve_flat_scratch 0
		.amdhsa_float_round_mode_32 0
		.amdhsa_float_round_mode_16_64 0
		.amdhsa_float_denorm_mode_32 3
		.amdhsa_float_denorm_mode_16_64 3
		.amdhsa_dx10_clamp 1
		.amdhsa_ieee_mode 1
		.amdhsa_fp16_overflow 0
		.amdhsa_exception_fp_ieee_invalid_op 0
		.amdhsa_exception_fp_denorm_src 0
		.amdhsa_exception_fp_ieee_div_zero 0
		.amdhsa_exception_fp_ieee_overflow 0
		.amdhsa_exception_fp_ieee_underflow 0
		.amdhsa_exception_fp_ieee_inexact 0
		.amdhsa_exception_int_div_zero 0
	.end_amdhsa_kernel
	.section	.text._ZN7rocprim17ROCPRIM_400000_NS6detail17trampoline_kernelINS0_14default_configENS1_25partition_config_selectorILNS1_17partition_subalgoE5ElNS0_10empty_typeEbEEZZNS1_14partition_implILS5_5ELb0ES3_mN6hipcub16HIPCUB_304000_NS21CountingInputIteratorIllEEPS6_NSA_22TransformInputIteratorIb7NonZeroIfEPflEENS0_5tupleIJPlS6_EEENSJ_IJSD_SD_EEES6_SK_JS6_EEE10hipError_tPvRmT3_T4_T5_T6_T7_T9_mT8_P12ihipStream_tbDpT10_ENKUlT_T0_E_clISt17integral_constantIbLb0EES15_IbLb1EEEEDaS11_S12_EUlS11_E_NS1_11comp_targetILNS1_3genE5ELNS1_11target_archE942ELNS1_3gpuE9ELNS1_3repE0EEENS1_30default_config_static_selectorELNS0_4arch9wavefront6targetE1EEEvT1_,"axG",@progbits,_ZN7rocprim17ROCPRIM_400000_NS6detail17trampoline_kernelINS0_14default_configENS1_25partition_config_selectorILNS1_17partition_subalgoE5ElNS0_10empty_typeEbEEZZNS1_14partition_implILS5_5ELb0ES3_mN6hipcub16HIPCUB_304000_NS21CountingInputIteratorIllEEPS6_NSA_22TransformInputIteratorIb7NonZeroIfEPflEENS0_5tupleIJPlS6_EEENSJ_IJSD_SD_EEES6_SK_JS6_EEE10hipError_tPvRmT3_T4_T5_T6_T7_T9_mT8_P12ihipStream_tbDpT10_ENKUlT_T0_E_clISt17integral_constantIbLb0EES15_IbLb1EEEEDaS11_S12_EUlS11_E_NS1_11comp_targetILNS1_3genE5ELNS1_11target_archE942ELNS1_3gpuE9ELNS1_3repE0EEENS1_30default_config_static_selectorELNS0_4arch9wavefront6targetE1EEEvT1_,comdat
.Lfunc_end278:
	.size	_ZN7rocprim17ROCPRIM_400000_NS6detail17trampoline_kernelINS0_14default_configENS1_25partition_config_selectorILNS1_17partition_subalgoE5ElNS0_10empty_typeEbEEZZNS1_14partition_implILS5_5ELb0ES3_mN6hipcub16HIPCUB_304000_NS21CountingInputIteratorIllEEPS6_NSA_22TransformInputIteratorIb7NonZeroIfEPflEENS0_5tupleIJPlS6_EEENSJ_IJSD_SD_EEES6_SK_JS6_EEE10hipError_tPvRmT3_T4_T5_T6_T7_T9_mT8_P12ihipStream_tbDpT10_ENKUlT_T0_E_clISt17integral_constantIbLb0EES15_IbLb1EEEEDaS11_S12_EUlS11_E_NS1_11comp_targetILNS1_3genE5ELNS1_11target_archE942ELNS1_3gpuE9ELNS1_3repE0EEENS1_30default_config_static_selectorELNS0_4arch9wavefront6targetE1EEEvT1_, .Lfunc_end278-_ZN7rocprim17ROCPRIM_400000_NS6detail17trampoline_kernelINS0_14default_configENS1_25partition_config_selectorILNS1_17partition_subalgoE5ElNS0_10empty_typeEbEEZZNS1_14partition_implILS5_5ELb0ES3_mN6hipcub16HIPCUB_304000_NS21CountingInputIteratorIllEEPS6_NSA_22TransformInputIteratorIb7NonZeroIfEPflEENS0_5tupleIJPlS6_EEENSJ_IJSD_SD_EEES6_SK_JS6_EEE10hipError_tPvRmT3_T4_T5_T6_T7_T9_mT8_P12ihipStream_tbDpT10_ENKUlT_T0_E_clISt17integral_constantIbLb0EES15_IbLb1EEEEDaS11_S12_EUlS11_E_NS1_11comp_targetILNS1_3genE5ELNS1_11target_archE942ELNS1_3gpuE9ELNS1_3repE0EEENS1_30default_config_static_selectorELNS0_4arch9wavefront6targetE1EEEvT1_
                                        ; -- End function
	.set _ZN7rocprim17ROCPRIM_400000_NS6detail17trampoline_kernelINS0_14default_configENS1_25partition_config_selectorILNS1_17partition_subalgoE5ElNS0_10empty_typeEbEEZZNS1_14partition_implILS5_5ELb0ES3_mN6hipcub16HIPCUB_304000_NS21CountingInputIteratorIllEEPS6_NSA_22TransformInputIteratorIb7NonZeroIfEPflEENS0_5tupleIJPlS6_EEENSJ_IJSD_SD_EEES6_SK_JS6_EEE10hipError_tPvRmT3_T4_T5_T6_T7_T9_mT8_P12ihipStream_tbDpT10_ENKUlT_T0_E_clISt17integral_constantIbLb0EES15_IbLb1EEEEDaS11_S12_EUlS11_E_NS1_11comp_targetILNS1_3genE5ELNS1_11target_archE942ELNS1_3gpuE9ELNS1_3repE0EEENS1_30default_config_static_selectorELNS0_4arch9wavefront6targetE1EEEvT1_.num_vgpr, 0
	.set _ZN7rocprim17ROCPRIM_400000_NS6detail17trampoline_kernelINS0_14default_configENS1_25partition_config_selectorILNS1_17partition_subalgoE5ElNS0_10empty_typeEbEEZZNS1_14partition_implILS5_5ELb0ES3_mN6hipcub16HIPCUB_304000_NS21CountingInputIteratorIllEEPS6_NSA_22TransformInputIteratorIb7NonZeroIfEPflEENS0_5tupleIJPlS6_EEENSJ_IJSD_SD_EEES6_SK_JS6_EEE10hipError_tPvRmT3_T4_T5_T6_T7_T9_mT8_P12ihipStream_tbDpT10_ENKUlT_T0_E_clISt17integral_constantIbLb0EES15_IbLb1EEEEDaS11_S12_EUlS11_E_NS1_11comp_targetILNS1_3genE5ELNS1_11target_archE942ELNS1_3gpuE9ELNS1_3repE0EEENS1_30default_config_static_selectorELNS0_4arch9wavefront6targetE1EEEvT1_.num_agpr, 0
	.set _ZN7rocprim17ROCPRIM_400000_NS6detail17trampoline_kernelINS0_14default_configENS1_25partition_config_selectorILNS1_17partition_subalgoE5ElNS0_10empty_typeEbEEZZNS1_14partition_implILS5_5ELb0ES3_mN6hipcub16HIPCUB_304000_NS21CountingInputIteratorIllEEPS6_NSA_22TransformInputIteratorIb7NonZeroIfEPflEENS0_5tupleIJPlS6_EEENSJ_IJSD_SD_EEES6_SK_JS6_EEE10hipError_tPvRmT3_T4_T5_T6_T7_T9_mT8_P12ihipStream_tbDpT10_ENKUlT_T0_E_clISt17integral_constantIbLb0EES15_IbLb1EEEEDaS11_S12_EUlS11_E_NS1_11comp_targetILNS1_3genE5ELNS1_11target_archE942ELNS1_3gpuE9ELNS1_3repE0EEENS1_30default_config_static_selectorELNS0_4arch9wavefront6targetE1EEEvT1_.numbered_sgpr, 0
	.set _ZN7rocprim17ROCPRIM_400000_NS6detail17trampoline_kernelINS0_14default_configENS1_25partition_config_selectorILNS1_17partition_subalgoE5ElNS0_10empty_typeEbEEZZNS1_14partition_implILS5_5ELb0ES3_mN6hipcub16HIPCUB_304000_NS21CountingInputIteratorIllEEPS6_NSA_22TransformInputIteratorIb7NonZeroIfEPflEENS0_5tupleIJPlS6_EEENSJ_IJSD_SD_EEES6_SK_JS6_EEE10hipError_tPvRmT3_T4_T5_T6_T7_T9_mT8_P12ihipStream_tbDpT10_ENKUlT_T0_E_clISt17integral_constantIbLb0EES15_IbLb1EEEEDaS11_S12_EUlS11_E_NS1_11comp_targetILNS1_3genE5ELNS1_11target_archE942ELNS1_3gpuE9ELNS1_3repE0EEENS1_30default_config_static_selectorELNS0_4arch9wavefront6targetE1EEEvT1_.num_named_barrier, 0
	.set _ZN7rocprim17ROCPRIM_400000_NS6detail17trampoline_kernelINS0_14default_configENS1_25partition_config_selectorILNS1_17partition_subalgoE5ElNS0_10empty_typeEbEEZZNS1_14partition_implILS5_5ELb0ES3_mN6hipcub16HIPCUB_304000_NS21CountingInputIteratorIllEEPS6_NSA_22TransformInputIteratorIb7NonZeroIfEPflEENS0_5tupleIJPlS6_EEENSJ_IJSD_SD_EEES6_SK_JS6_EEE10hipError_tPvRmT3_T4_T5_T6_T7_T9_mT8_P12ihipStream_tbDpT10_ENKUlT_T0_E_clISt17integral_constantIbLb0EES15_IbLb1EEEEDaS11_S12_EUlS11_E_NS1_11comp_targetILNS1_3genE5ELNS1_11target_archE942ELNS1_3gpuE9ELNS1_3repE0EEENS1_30default_config_static_selectorELNS0_4arch9wavefront6targetE1EEEvT1_.private_seg_size, 0
	.set _ZN7rocprim17ROCPRIM_400000_NS6detail17trampoline_kernelINS0_14default_configENS1_25partition_config_selectorILNS1_17partition_subalgoE5ElNS0_10empty_typeEbEEZZNS1_14partition_implILS5_5ELb0ES3_mN6hipcub16HIPCUB_304000_NS21CountingInputIteratorIllEEPS6_NSA_22TransformInputIteratorIb7NonZeroIfEPflEENS0_5tupleIJPlS6_EEENSJ_IJSD_SD_EEES6_SK_JS6_EEE10hipError_tPvRmT3_T4_T5_T6_T7_T9_mT8_P12ihipStream_tbDpT10_ENKUlT_T0_E_clISt17integral_constantIbLb0EES15_IbLb1EEEEDaS11_S12_EUlS11_E_NS1_11comp_targetILNS1_3genE5ELNS1_11target_archE942ELNS1_3gpuE9ELNS1_3repE0EEENS1_30default_config_static_selectorELNS0_4arch9wavefront6targetE1EEEvT1_.uses_vcc, 0
	.set _ZN7rocprim17ROCPRIM_400000_NS6detail17trampoline_kernelINS0_14default_configENS1_25partition_config_selectorILNS1_17partition_subalgoE5ElNS0_10empty_typeEbEEZZNS1_14partition_implILS5_5ELb0ES3_mN6hipcub16HIPCUB_304000_NS21CountingInputIteratorIllEEPS6_NSA_22TransformInputIteratorIb7NonZeroIfEPflEENS0_5tupleIJPlS6_EEENSJ_IJSD_SD_EEES6_SK_JS6_EEE10hipError_tPvRmT3_T4_T5_T6_T7_T9_mT8_P12ihipStream_tbDpT10_ENKUlT_T0_E_clISt17integral_constantIbLb0EES15_IbLb1EEEEDaS11_S12_EUlS11_E_NS1_11comp_targetILNS1_3genE5ELNS1_11target_archE942ELNS1_3gpuE9ELNS1_3repE0EEENS1_30default_config_static_selectorELNS0_4arch9wavefront6targetE1EEEvT1_.uses_flat_scratch, 0
	.set _ZN7rocprim17ROCPRIM_400000_NS6detail17trampoline_kernelINS0_14default_configENS1_25partition_config_selectorILNS1_17partition_subalgoE5ElNS0_10empty_typeEbEEZZNS1_14partition_implILS5_5ELb0ES3_mN6hipcub16HIPCUB_304000_NS21CountingInputIteratorIllEEPS6_NSA_22TransformInputIteratorIb7NonZeroIfEPflEENS0_5tupleIJPlS6_EEENSJ_IJSD_SD_EEES6_SK_JS6_EEE10hipError_tPvRmT3_T4_T5_T6_T7_T9_mT8_P12ihipStream_tbDpT10_ENKUlT_T0_E_clISt17integral_constantIbLb0EES15_IbLb1EEEEDaS11_S12_EUlS11_E_NS1_11comp_targetILNS1_3genE5ELNS1_11target_archE942ELNS1_3gpuE9ELNS1_3repE0EEENS1_30default_config_static_selectorELNS0_4arch9wavefront6targetE1EEEvT1_.has_dyn_sized_stack, 0
	.set _ZN7rocprim17ROCPRIM_400000_NS6detail17trampoline_kernelINS0_14default_configENS1_25partition_config_selectorILNS1_17partition_subalgoE5ElNS0_10empty_typeEbEEZZNS1_14partition_implILS5_5ELb0ES3_mN6hipcub16HIPCUB_304000_NS21CountingInputIteratorIllEEPS6_NSA_22TransformInputIteratorIb7NonZeroIfEPflEENS0_5tupleIJPlS6_EEENSJ_IJSD_SD_EEES6_SK_JS6_EEE10hipError_tPvRmT3_T4_T5_T6_T7_T9_mT8_P12ihipStream_tbDpT10_ENKUlT_T0_E_clISt17integral_constantIbLb0EES15_IbLb1EEEEDaS11_S12_EUlS11_E_NS1_11comp_targetILNS1_3genE5ELNS1_11target_archE942ELNS1_3gpuE9ELNS1_3repE0EEENS1_30default_config_static_selectorELNS0_4arch9wavefront6targetE1EEEvT1_.has_recursion, 0
	.set _ZN7rocprim17ROCPRIM_400000_NS6detail17trampoline_kernelINS0_14default_configENS1_25partition_config_selectorILNS1_17partition_subalgoE5ElNS0_10empty_typeEbEEZZNS1_14partition_implILS5_5ELb0ES3_mN6hipcub16HIPCUB_304000_NS21CountingInputIteratorIllEEPS6_NSA_22TransformInputIteratorIb7NonZeroIfEPflEENS0_5tupleIJPlS6_EEENSJ_IJSD_SD_EEES6_SK_JS6_EEE10hipError_tPvRmT3_T4_T5_T6_T7_T9_mT8_P12ihipStream_tbDpT10_ENKUlT_T0_E_clISt17integral_constantIbLb0EES15_IbLb1EEEEDaS11_S12_EUlS11_E_NS1_11comp_targetILNS1_3genE5ELNS1_11target_archE942ELNS1_3gpuE9ELNS1_3repE0EEENS1_30default_config_static_selectorELNS0_4arch9wavefront6targetE1EEEvT1_.has_indirect_call, 0
	.section	.AMDGPU.csdata,"",@progbits
; Kernel info:
; codeLenInByte = 0
; TotalNumSgprs: 4
; NumVgprs: 0
; ScratchSize: 0
; MemoryBound: 0
; FloatMode: 240
; IeeeMode: 1
; LDSByteSize: 0 bytes/workgroup (compile time only)
; SGPRBlocks: 0
; VGPRBlocks: 0
; NumSGPRsForWavesPerEU: 4
; NumVGPRsForWavesPerEU: 1
; Occupancy: 10
; WaveLimiterHint : 0
; COMPUTE_PGM_RSRC2:SCRATCH_EN: 0
; COMPUTE_PGM_RSRC2:USER_SGPR: 6
; COMPUTE_PGM_RSRC2:TRAP_HANDLER: 0
; COMPUTE_PGM_RSRC2:TGID_X_EN: 1
; COMPUTE_PGM_RSRC2:TGID_Y_EN: 0
; COMPUTE_PGM_RSRC2:TGID_Z_EN: 0
; COMPUTE_PGM_RSRC2:TIDIG_COMP_CNT: 0
	.section	.text._ZN7rocprim17ROCPRIM_400000_NS6detail17trampoline_kernelINS0_14default_configENS1_25partition_config_selectorILNS1_17partition_subalgoE5ElNS0_10empty_typeEbEEZZNS1_14partition_implILS5_5ELb0ES3_mN6hipcub16HIPCUB_304000_NS21CountingInputIteratorIllEEPS6_NSA_22TransformInputIteratorIb7NonZeroIfEPflEENS0_5tupleIJPlS6_EEENSJ_IJSD_SD_EEES6_SK_JS6_EEE10hipError_tPvRmT3_T4_T5_T6_T7_T9_mT8_P12ihipStream_tbDpT10_ENKUlT_T0_E_clISt17integral_constantIbLb0EES15_IbLb1EEEEDaS11_S12_EUlS11_E_NS1_11comp_targetILNS1_3genE4ELNS1_11target_archE910ELNS1_3gpuE8ELNS1_3repE0EEENS1_30default_config_static_selectorELNS0_4arch9wavefront6targetE1EEEvT1_,"axG",@progbits,_ZN7rocprim17ROCPRIM_400000_NS6detail17trampoline_kernelINS0_14default_configENS1_25partition_config_selectorILNS1_17partition_subalgoE5ElNS0_10empty_typeEbEEZZNS1_14partition_implILS5_5ELb0ES3_mN6hipcub16HIPCUB_304000_NS21CountingInputIteratorIllEEPS6_NSA_22TransformInputIteratorIb7NonZeroIfEPflEENS0_5tupleIJPlS6_EEENSJ_IJSD_SD_EEES6_SK_JS6_EEE10hipError_tPvRmT3_T4_T5_T6_T7_T9_mT8_P12ihipStream_tbDpT10_ENKUlT_T0_E_clISt17integral_constantIbLb0EES15_IbLb1EEEEDaS11_S12_EUlS11_E_NS1_11comp_targetILNS1_3genE4ELNS1_11target_archE910ELNS1_3gpuE8ELNS1_3repE0EEENS1_30default_config_static_selectorELNS0_4arch9wavefront6targetE1EEEvT1_,comdat
	.protected	_ZN7rocprim17ROCPRIM_400000_NS6detail17trampoline_kernelINS0_14default_configENS1_25partition_config_selectorILNS1_17partition_subalgoE5ElNS0_10empty_typeEbEEZZNS1_14partition_implILS5_5ELb0ES3_mN6hipcub16HIPCUB_304000_NS21CountingInputIteratorIllEEPS6_NSA_22TransformInputIteratorIb7NonZeroIfEPflEENS0_5tupleIJPlS6_EEENSJ_IJSD_SD_EEES6_SK_JS6_EEE10hipError_tPvRmT3_T4_T5_T6_T7_T9_mT8_P12ihipStream_tbDpT10_ENKUlT_T0_E_clISt17integral_constantIbLb0EES15_IbLb1EEEEDaS11_S12_EUlS11_E_NS1_11comp_targetILNS1_3genE4ELNS1_11target_archE910ELNS1_3gpuE8ELNS1_3repE0EEENS1_30default_config_static_selectorELNS0_4arch9wavefront6targetE1EEEvT1_ ; -- Begin function _ZN7rocprim17ROCPRIM_400000_NS6detail17trampoline_kernelINS0_14default_configENS1_25partition_config_selectorILNS1_17partition_subalgoE5ElNS0_10empty_typeEbEEZZNS1_14partition_implILS5_5ELb0ES3_mN6hipcub16HIPCUB_304000_NS21CountingInputIteratorIllEEPS6_NSA_22TransformInputIteratorIb7NonZeroIfEPflEENS0_5tupleIJPlS6_EEENSJ_IJSD_SD_EEES6_SK_JS6_EEE10hipError_tPvRmT3_T4_T5_T6_T7_T9_mT8_P12ihipStream_tbDpT10_ENKUlT_T0_E_clISt17integral_constantIbLb0EES15_IbLb1EEEEDaS11_S12_EUlS11_E_NS1_11comp_targetILNS1_3genE4ELNS1_11target_archE910ELNS1_3gpuE8ELNS1_3repE0EEENS1_30default_config_static_selectorELNS0_4arch9wavefront6targetE1EEEvT1_
	.globl	_ZN7rocprim17ROCPRIM_400000_NS6detail17trampoline_kernelINS0_14default_configENS1_25partition_config_selectorILNS1_17partition_subalgoE5ElNS0_10empty_typeEbEEZZNS1_14partition_implILS5_5ELb0ES3_mN6hipcub16HIPCUB_304000_NS21CountingInputIteratorIllEEPS6_NSA_22TransformInputIteratorIb7NonZeroIfEPflEENS0_5tupleIJPlS6_EEENSJ_IJSD_SD_EEES6_SK_JS6_EEE10hipError_tPvRmT3_T4_T5_T6_T7_T9_mT8_P12ihipStream_tbDpT10_ENKUlT_T0_E_clISt17integral_constantIbLb0EES15_IbLb1EEEEDaS11_S12_EUlS11_E_NS1_11comp_targetILNS1_3genE4ELNS1_11target_archE910ELNS1_3gpuE8ELNS1_3repE0EEENS1_30default_config_static_selectorELNS0_4arch9wavefront6targetE1EEEvT1_
	.p2align	8
	.type	_ZN7rocprim17ROCPRIM_400000_NS6detail17trampoline_kernelINS0_14default_configENS1_25partition_config_selectorILNS1_17partition_subalgoE5ElNS0_10empty_typeEbEEZZNS1_14partition_implILS5_5ELb0ES3_mN6hipcub16HIPCUB_304000_NS21CountingInputIteratorIllEEPS6_NSA_22TransformInputIteratorIb7NonZeroIfEPflEENS0_5tupleIJPlS6_EEENSJ_IJSD_SD_EEES6_SK_JS6_EEE10hipError_tPvRmT3_T4_T5_T6_T7_T9_mT8_P12ihipStream_tbDpT10_ENKUlT_T0_E_clISt17integral_constantIbLb0EES15_IbLb1EEEEDaS11_S12_EUlS11_E_NS1_11comp_targetILNS1_3genE4ELNS1_11target_archE910ELNS1_3gpuE8ELNS1_3repE0EEENS1_30default_config_static_selectorELNS0_4arch9wavefront6targetE1EEEvT1_,@function
_ZN7rocprim17ROCPRIM_400000_NS6detail17trampoline_kernelINS0_14default_configENS1_25partition_config_selectorILNS1_17partition_subalgoE5ElNS0_10empty_typeEbEEZZNS1_14partition_implILS5_5ELb0ES3_mN6hipcub16HIPCUB_304000_NS21CountingInputIteratorIllEEPS6_NSA_22TransformInputIteratorIb7NonZeroIfEPflEENS0_5tupleIJPlS6_EEENSJ_IJSD_SD_EEES6_SK_JS6_EEE10hipError_tPvRmT3_T4_T5_T6_T7_T9_mT8_P12ihipStream_tbDpT10_ENKUlT_T0_E_clISt17integral_constantIbLb0EES15_IbLb1EEEEDaS11_S12_EUlS11_E_NS1_11comp_targetILNS1_3genE4ELNS1_11target_archE910ELNS1_3gpuE8ELNS1_3repE0EEENS1_30default_config_static_selectorELNS0_4arch9wavefront6targetE1EEEvT1_: ; @_ZN7rocprim17ROCPRIM_400000_NS6detail17trampoline_kernelINS0_14default_configENS1_25partition_config_selectorILNS1_17partition_subalgoE5ElNS0_10empty_typeEbEEZZNS1_14partition_implILS5_5ELb0ES3_mN6hipcub16HIPCUB_304000_NS21CountingInputIteratorIllEEPS6_NSA_22TransformInputIteratorIb7NonZeroIfEPflEENS0_5tupleIJPlS6_EEENSJ_IJSD_SD_EEES6_SK_JS6_EEE10hipError_tPvRmT3_T4_T5_T6_T7_T9_mT8_P12ihipStream_tbDpT10_ENKUlT_T0_E_clISt17integral_constantIbLb0EES15_IbLb1EEEEDaS11_S12_EUlS11_E_NS1_11comp_targetILNS1_3genE4ELNS1_11target_archE910ELNS1_3gpuE8ELNS1_3repE0EEENS1_30default_config_static_selectorELNS0_4arch9wavefront6targetE1EEEvT1_
; %bb.0:
	.section	.rodata,"a",@progbits
	.p2align	6, 0x0
	.amdhsa_kernel _ZN7rocprim17ROCPRIM_400000_NS6detail17trampoline_kernelINS0_14default_configENS1_25partition_config_selectorILNS1_17partition_subalgoE5ElNS0_10empty_typeEbEEZZNS1_14partition_implILS5_5ELb0ES3_mN6hipcub16HIPCUB_304000_NS21CountingInputIteratorIllEEPS6_NSA_22TransformInputIteratorIb7NonZeroIfEPflEENS0_5tupleIJPlS6_EEENSJ_IJSD_SD_EEES6_SK_JS6_EEE10hipError_tPvRmT3_T4_T5_T6_T7_T9_mT8_P12ihipStream_tbDpT10_ENKUlT_T0_E_clISt17integral_constantIbLb0EES15_IbLb1EEEEDaS11_S12_EUlS11_E_NS1_11comp_targetILNS1_3genE4ELNS1_11target_archE910ELNS1_3gpuE8ELNS1_3repE0EEENS1_30default_config_static_selectorELNS0_4arch9wavefront6targetE1EEEvT1_
		.amdhsa_group_segment_fixed_size 0
		.amdhsa_private_segment_fixed_size 0
		.amdhsa_kernarg_size 136
		.amdhsa_user_sgpr_count 6
		.amdhsa_user_sgpr_private_segment_buffer 1
		.amdhsa_user_sgpr_dispatch_ptr 0
		.amdhsa_user_sgpr_queue_ptr 0
		.amdhsa_user_sgpr_kernarg_segment_ptr 1
		.amdhsa_user_sgpr_dispatch_id 0
		.amdhsa_user_sgpr_flat_scratch_init 0
		.amdhsa_user_sgpr_private_segment_size 0
		.amdhsa_uses_dynamic_stack 0
		.amdhsa_system_sgpr_private_segment_wavefront_offset 0
		.amdhsa_system_sgpr_workgroup_id_x 1
		.amdhsa_system_sgpr_workgroup_id_y 0
		.amdhsa_system_sgpr_workgroup_id_z 0
		.amdhsa_system_sgpr_workgroup_info 0
		.amdhsa_system_vgpr_workitem_id 0
		.amdhsa_next_free_vgpr 1
		.amdhsa_next_free_sgpr 0
		.amdhsa_reserve_vcc 0
		.amdhsa_reserve_flat_scratch 0
		.amdhsa_float_round_mode_32 0
		.amdhsa_float_round_mode_16_64 0
		.amdhsa_float_denorm_mode_32 3
		.amdhsa_float_denorm_mode_16_64 3
		.amdhsa_dx10_clamp 1
		.amdhsa_ieee_mode 1
		.amdhsa_fp16_overflow 0
		.amdhsa_exception_fp_ieee_invalid_op 0
		.amdhsa_exception_fp_denorm_src 0
		.amdhsa_exception_fp_ieee_div_zero 0
		.amdhsa_exception_fp_ieee_overflow 0
		.amdhsa_exception_fp_ieee_underflow 0
		.amdhsa_exception_fp_ieee_inexact 0
		.amdhsa_exception_int_div_zero 0
	.end_amdhsa_kernel
	.section	.text._ZN7rocprim17ROCPRIM_400000_NS6detail17trampoline_kernelINS0_14default_configENS1_25partition_config_selectorILNS1_17partition_subalgoE5ElNS0_10empty_typeEbEEZZNS1_14partition_implILS5_5ELb0ES3_mN6hipcub16HIPCUB_304000_NS21CountingInputIteratorIllEEPS6_NSA_22TransformInputIteratorIb7NonZeroIfEPflEENS0_5tupleIJPlS6_EEENSJ_IJSD_SD_EEES6_SK_JS6_EEE10hipError_tPvRmT3_T4_T5_T6_T7_T9_mT8_P12ihipStream_tbDpT10_ENKUlT_T0_E_clISt17integral_constantIbLb0EES15_IbLb1EEEEDaS11_S12_EUlS11_E_NS1_11comp_targetILNS1_3genE4ELNS1_11target_archE910ELNS1_3gpuE8ELNS1_3repE0EEENS1_30default_config_static_selectorELNS0_4arch9wavefront6targetE1EEEvT1_,"axG",@progbits,_ZN7rocprim17ROCPRIM_400000_NS6detail17trampoline_kernelINS0_14default_configENS1_25partition_config_selectorILNS1_17partition_subalgoE5ElNS0_10empty_typeEbEEZZNS1_14partition_implILS5_5ELb0ES3_mN6hipcub16HIPCUB_304000_NS21CountingInputIteratorIllEEPS6_NSA_22TransformInputIteratorIb7NonZeroIfEPflEENS0_5tupleIJPlS6_EEENSJ_IJSD_SD_EEES6_SK_JS6_EEE10hipError_tPvRmT3_T4_T5_T6_T7_T9_mT8_P12ihipStream_tbDpT10_ENKUlT_T0_E_clISt17integral_constantIbLb0EES15_IbLb1EEEEDaS11_S12_EUlS11_E_NS1_11comp_targetILNS1_3genE4ELNS1_11target_archE910ELNS1_3gpuE8ELNS1_3repE0EEENS1_30default_config_static_selectorELNS0_4arch9wavefront6targetE1EEEvT1_,comdat
.Lfunc_end279:
	.size	_ZN7rocprim17ROCPRIM_400000_NS6detail17trampoline_kernelINS0_14default_configENS1_25partition_config_selectorILNS1_17partition_subalgoE5ElNS0_10empty_typeEbEEZZNS1_14partition_implILS5_5ELb0ES3_mN6hipcub16HIPCUB_304000_NS21CountingInputIteratorIllEEPS6_NSA_22TransformInputIteratorIb7NonZeroIfEPflEENS0_5tupleIJPlS6_EEENSJ_IJSD_SD_EEES6_SK_JS6_EEE10hipError_tPvRmT3_T4_T5_T6_T7_T9_mT8_P12ihipStream_tbDpT10_ENKUlT_T0_E_clISt17integral_constantIbLb0EES15_IbLb1EEEEDaS11_S12_EUlS11_E_NS1_11comp_targetILNS1_3genE4ELNS1_11target_archE910ELNS1_3gpuE8ELNS1_3repE0EEENS1_30default_config_static_selectorELNS0_4arch9wavefront6targetE1EEEvT1_, .Lfunc_end279-_ZN7rocprim17ROCPRIM_400000_NS6detail17trampoline_kernelINS0_14default_configENS1_25partition_config_selectorILNS1_17partition_subalgoE5ElNS0_10empty_typeEbEEZZNS1_14partition_implILS5_5ELb0ES3_mN6hipcub16HIPCUB_304000_NS21CountingInputIteratorIllEEPS6_NSA_22TransformInputIteratorIb7NonZeroIfEPflEENS0_5tupleIJPlS6_EEENSJ_IJSD_SD_EEES6_SK_JS6_EEE10hipError_tPvRmT3_T4_T5_T6_T7_T9_mT8_P12ihipStream_tbDpT10_ENKUlT_T0_E_clISt17integral_constantIbLb0EES15_IbLb1EEEEDaS11_S12_EUlS11_E_NS1_11comp_targetILNS1_3genE4ELNS1_11target_archE910ELNS1_3gpuE8ELNS1_3repE0EEENS1_30default_config_static_selectorELNS0_4arch9wavefront6targetE1EEEvT1_
                                        ; -- End function
	.set _ZN7rocprim17ROCPRIM_400000_NS6detail17trampoline_kernelINS0_14default_configENS1_25partition_config_selectorILNS1_17partition_subalgoE5ElNS0_10empty_typeEbEEZZNS1_14partition_implILS5_5ELb0ES3_mN6hipcub16HIPCUB_304000_NS21CountingInputIteratorIllEEPS6_NSA_22TransformInputIteratorIb7NonZeroIfEPflEENS0_5tupleIJPlS6_EEENSJ_IJSD_SD_EEES6_SK_JS6_EEE10hipError_tPvRmT3_T4_T5_T6_T7_T9_mT8_P12ihipStream_tbDpT10_ENKUlT_T0_E_clISt17integral_constantIbLb0EES15_IbLb1EEEEDaS11_S12_EUlS11_E_NS1_11comp_targetILNS1_3genE4ELNS1_11target_archE910ELNS1_3gpuE8ELNS1_3repE0EEENS1_30default_config_static_selectorELNS0_4arch9wavefront6targetE1EEEvT1_.num_vgpr, 0
	.set _ZN7rocprim17ROCPRIM_400000_NS6detail17trampoline_kernelINS0_14default_configENS1_25partition_config_selectorILNS1_17partition_subalgoE5ElNS0_10empty_typeEbEEZZNS1_14partition_implILS5_5ELb0ES3_mN6hipcub16HIPCUB_304000_NS21CountingInputIteratorIllEEPS6_NSA_22TransformInputIteratorIb7NonZeroIfEPflEENS0_5tupleIJPlS6_EEENSJ_IJSD_SD_EEES6_SK_JS6_EEE10hipError_tPvRmT3_T4_T5_T6_T7_T9_mT8_P12ihipStream_tbDpT10_ENKUlT_T0_E_clISt17integral_constantIbLb0EES15_IbLb1EEEEDaS11_S12_EUlS11_E_NS1_11comp_targetILNS1_3genE4ELNS1_11target_archE910ELNS1_3gpuE8ELNS1_3repE0EEENS1_30default_config_static_selectorELNS0_4arch9wavefront6targetE1EEEvT1_.num_agpr, 0
	.set _ZN7rocprim17ROCPRIM_400000_NS6detail17trampoline_kernelINS0_14default_configENS1_25partition_config_selectorILNS1_17partition_subalgoE5ElNS0_10empty_typeEbEEZZNS1_14partition_implILS5_5ELb0ES3_mN6hipcub16HIPCUB_304000_NS21CountingInputIteratorIllEEPS6_NSA_22TransformInputIteratorIb7NonZeroIfEPflEENS0_5tupleIJPlS6_EEENSJ_IJSD_SD_EEES6_SK_JS6_EEE10hipError_tPvRmT3_T4_T5_T6_T7_T9_mT8_P12ihipStream_tbDpT10_ENKUlT_T0_E_clISt17integral_constantIbLb0EES15_IbLb1EEEEDaS11_S12_EUlS11_E_NS1_11comp_targetILNS1_3genE4ELNS1_11target_archE910ELNS1_3gpuE8ELNS1_3repE0EEENS1_30default_config_static_selectorELNS0_4arch9wavefront6targetE1EEEvT1_.numbered_sgpr, 0
	.set _ZN7rocprim17ROCPRIM_400000_NS6detail17trampoline_kernelINS0_14default_configENS1_25partition_config_selectorILNS1_17partition_subalgoE5ElNS0_10empty_typeEbEEZZNS1_14partition_implILS5_5ELb0ES3_mN6hipcub16HIPCUB_304000_NS21CountingInputIteratorIllEEPS6_NSA_22TransformInputIteratorIb7NonZeroIfEPflEENS0_5tupleIJPlS6_EEENSJ_IJSD_SD_EEES6_SK_JS6_EEE10hipError_tPvRmT3_T4_T5_T6_T7_T9_mT8_P12ihipStream_tbDpT10_ENKUlT_T0_E_clISt17integral_constantIbLb0EES15_IbLb1EEEEDaS11_S12_EUlS11_E_NS1_11comp_targetILNS1_3genE4ELNS1_11target_archE910ELNS1_3gpuE8ELNS1_3repE0EEENS1_30default_config_static_selectorELNS0_4arch9wavefront6targetE1EEEvT1_.num_named_barrier, 0
	.set _ZN7rocprim17ROCPRIM_400000_NS6detail17trampoline_kernelINS0_14default_configENS1_25partition_config_selectorILNS1_17partition_subalgoE5ElNS0_10empty_typeEbEEZZNS1_14partition_implILS5_5ELb0ES3_mN6hipcub16HIPCUB_304000_NS21CountingInputIteratorIllEEPS6_NSA_22TransformInputIteratorIb7NonZeroIfEPflEENS0_5tupleIJPlS6_EEENSJ_IJSD_SD_EEES6_SK_JS6_EEE10hipError_tPvRmT3_T4_T5_T6_T7_T9_mT8_P12ihipStream_tbDpT10_ENKUlT_T0_E_clISt17integral_constantIbLb0EES15_IbLb1EEEEDaS11_S12_EUlS11_E_NS1_11comp_targetILNS1_3genE4ELNS1_11target_archE910ELNS1_3gpuE8ELNS1_3repE0EEENS1_30default_config_static_selectorELNS0_4arch9wavefront6targetE1EEEvT1_.private_seg_size, 0
	.set _ZN7rocprim17ROCPRIM_400000_NS6detail17trampoline_kernelINS0_14default_configENS1_25partition_config_selectorILNS1_17partition_subalgoE5ElNS0_10empty_typeEbEEZZNS1_14partition_implILS5_5ELb0ES3_mN6hipcub16HIPCUB_304000_NS21CountingInputIteratorIllEEPS6_NSA_22TransformInputIteratorIb7NonZeroIfEPflEENS0_5tupleIJPlS6_EEENSJ_IJSD_SD_EEES6_SK_JS6_EEE10hipError_tPvRmT3_T4_T5_T6_T7_T9_mT8_P12ihipStream_tbDpT10_ENKUlT_T0_E_clISt17integral_constantIbLb0EES15_IbLb1EEEEDaS11_S12_EUlS11_E_NS1_11comp_targetILNS1_3genE4ELNS1_11target_archE910ELNS1_3gpuE8ELNS1_3repE0EEENS1_30default_config_static_selectorELNS0_4arch9wavefront6targetE1EEEvT1_.uses_vcc, 0
	.set _ZN7rocprim17ROCPRIM_400000_NS6detail17trampoline_kernelINS0_14default_configENS1_25partition_config_selectorILNS1_17partition_subalgoE5ElNS0_10empty_typeEbEEZZNS1_14partition_implILS5_5ELb0ES3_mN6hipcub16HIPCUB_304000_NS21CountingInputIteratorIllEEPS6_NSA_22TransformInputIteratorIb7NonZeroIfEPflEENS0_5tupleIJPlS6_EEENSJ_IJSD_SD_EEES6_SK_JS6_EEE10hipError_tPvRmT3_T4_T5_T6_T7_T9_mT8_P12ihipStream_tbDpT10_ENKUlT_T0_E_clISt17integral_constantIbLb0EES15_IbLb1EEEEDaS11_S12_EUlS11_E_NS1_11comp_targetILNS1_3genE4ELNS1_11target_archE910ELNS1_3gpuE8ELNS1_3repE0EEENS1_30default_config_static_selectorELNS0_4arch9wavefront6targetE1EEEvT1_.uses_flat_scratch, 0
	.set _ZN7rocprim17ROCPRIM_400000_NS6detail17trampoline_kernelINS0_14default_configENS1_25partition_config_selectorILNS1_17partition_subalgoE5ElNS0_10empty_typeEbEEZZNS1_14partition_implILS5_5ELb0ES3_mN6hipcub16HIPCUB_304000_NS21CountingInputIteratorIllEEPS6_NSA_22TransformInputIteratorIb7NonZeroIfEPflEENS0_5tupleIJPlS6_EEENSJ_IJSD_SD_EEES6_SK_JS6_EEE10hipError_tPvRmT3_T4_T5_T6_T7_T9_mT8_P12ihipStream_tbDpT10_ENKUlT_T0_E_clISt17integral_constantIbLb0EES15_IbLb1EEEEDaS11_S12_EUlS11_E_NS1_11comp_targetILNS1_3genE4ELNS1_11target_archE910ELNS1_3gpuE8ELNS1_3repE0EEENS1_30default_config_static_selectorELNS0_4arch9wavefront6targetE1EEEvT1_.has_dyn_sized_stack, 0
	.set _ZN7rocprim17ROCPRIM_400000_NS6detail17trampoline_kernelINS0_14default_configENS1_25partition_config_selectorILNS1_17partition_subalgoE5ElNS0_10empty_typeEbEEZZNS1_14partition_implILS5_5ELb0ES3_mN6hipcub16HIPCUB_304000_NS21CountingInputIteratorIllEEPS6_NSA_22TransformInputIteratorIb7NonZeroIfEPflEENS0_5tupleIJPlS6_EEENSJ_IJSD_SD_EEES6_SK_JS6_EEE10hipError_tPvRmT3_T4_T5_T6_T7_T9_mT8_P12ihipStream_tbDpT10_ENKUlT_T0_E_clISt17integral_constantIbLb0EES15_IbLb1EEEEDaS11_S12_EUlS11_E_NS1_11comp_targetILNS1_3genE4ELNS1_11target_archE910ELNS1_3gpuE8ELNS1_3repE0EEENS1_30default_config_static_selectorELNS0_4arch9wavefront6targetE1EEEvT1_.has_recursion, 0
	.set _ZN7rocprim17ROCPRIM_400000_NS6detail17trampoline_kernelINS0_14default_configENS1_25partition_config_selectorILNS1_17partition_subalgoE5ElNS0_10empty_typeEbEEZZNS1_14partition_implILS5_5ELb0ES3_mN6hipcub16HIPCUB_304000_NS21CountingInputIteratorIllEEPS6_NSA_22TransformInputIteratorIb7NonZeroIfEPflEENS0_5tupleIJPlS6_EEENSJ_IJSD_SD_EEES6_SK_JS6_EEE10hipError_tPvRmT3_T4_T5_T6_T7_T9_mT8_P12ihipStream_tbDpT10_ENKUlT_T0_E_clISt17integral_constantIbLb0EES15_IbLb1EEEEDaS11_S12_EUlS11_E_NS1_11comp_targetILNS1_3genE4ELNS1_11target_archE910ELNS1_3gpuE8ELNS1_3repE0EEENS1_30default_config_static_selectorELNS0_4arch9wavefront6targetE1EEEvT1_.has_indirect_call, 0
	.section	.AMDGPU.csdata,"",@progbits
; Kernel info:
; codeLenInByte = 0
; TotalNumSgprs: 4
; NumVgprs: 0
; ScratchSize: 0
; MemoryBound: 0
; FloatMode: 240
; IeeeMode: 1
; LDSByteSize: 0 bytes/workgroup (compile time only)
; SGPRBlocks: 0
; VGPRBlocks: 0
; NumSGPRsForWavesPerEU: 4
; NumVGPRsForWavesPerEU: 1
; Occupancy: 10
; WaveLimiterHint : 0
; COMPUTE_PGM_RSRC2:SCRATCH_EN: 0
; COMPUTE_PGM_RSRC2:USER_SGPR: 6
; COMPUTE_PGM_RSRC2:TRAP_HANDLER: 0
; COMPUTE_PGM_RSRC2:TGID_X_EN: 1
; COMPUTE_PGM_RSRC2:TGID_Y_EN: 0
; COMPUTE_PGM_RSRC2:TGID_Z_EN: 0
; COMPUTE_PGM_RSRC2:TIDIG_COMP_CNT: 0
	.section	.text._ZN7rocprim17ROCPRIM_400000_NS6detail17trampoline_kernelINS0_14default_configENS1_25partition_config_selectorILNS1_17partition_subalgoE5ElNS0_10empty_typeEbEEZZNS1_14partition_implILS5_5ELb0ES3_mN6hipcub16HIPCUB_304000_NS21CountingInputIteratorIllEEPS6_NSA_22TransformInputIteratorIb7NonZeroIfEPflEENS0_5tupleIJPlS6_EEENSJ_IJSD_SD_EEES6_SK_JS6_EEE10hipError_tPvRmT3_T4_T5_T6_T7_T9_mT8_P12ihipStream_tbDpT10_ENKUlT_T0_E_clISt17integral_constantIbLb0EES15_IbLb1EEEEDaS11_S12_EUlS11_E_NS1_11comp_targetILNS1_3genE3ELNS1_11target_archE908ELNS1_3gpuE7ELNS1_3repE0EEENS1_30default_config_static_selectorELNS0_4arch9wavefront6targetE1EEEvT1_,"axG",@progbits,_ZN7rocprim17ROCPRIM_400000_NS6detail17trampoline_kernelINS0_14default_configENS1_25partition_config_selectorILNS1_17partition_subalgoE5ElNS0_10empty_typeEbEEZZNS1_14partition_implILS5_5ELb0ES3_mN6hipcub16HIPCUB_304000_NS21CountingInputIteratorIllEEPS6_NSA_22TransformInputIteratorIb7NonZeroIfEPflEENS0_5tupleIJPlS6_EEENSJ_IJSD_SD_EEES6_SK_JS6_EEE10hipError_tPvRmT3_T4_T5_T6_T7_T9_mT8_P12ihipStream_tbDpT10_ENKUlT_T0_E_clISt17integral_constantIbLb0EES15_IbLb1EEEEDaS11_S12_EUlS11_E_NS1_11comp_targetILNS1_3genE3ELNS1_11target_archE908ELNS1_3gpuE7ELNS1_3repE0EEENS1_30default_config_static_selectorELNS0_4arch9wavefront6targetE1EEEvT1_,comdat
	.protected	_ZN7rocprim17ROCPRIM_400000_NS6detail17trampoline_kernelINS0_14default_configENS1_25partition_config_selectorILNS1_17partition_subalgoE5ElNS0_10empty_typeEbEEZZNS1_14partition_implILS5_5ELb0ES3_mN6hipcub16HIPCUB_304000_NS21CountingInputIteratorIllEEPS6_NSA_22TransformInputIteratorIb7NonZeroIfEPflEENS0_5tupleIJPlS6_EEENSJ_IJSD_SD_EEES6_SK_JS6_EEE10hipError_tPvRmT3_T4_T5_T6_T7_T9_mT8_P12ihipStream_tbDpT10_ENKUlT_T0_E_clISt17integral_constantIbLb0EES15_IbLb1EEEEDaS11_S12_EUlS11_E_NS1_11comp_targetILNS1_3genE3ELNS1_11target_archE908ELNS1_3gpuE7ELNS1_3repE0EEENS1_30default_config_static_selectorELNS0_4arch9wavefront6targetE1EEEvT1_ ; -- Begin function _ZN7rocprim17ROCPRIM_400000_NS6detail17trampoline_kernelINS0_14default_configENS1_25partition_config_selectorILNS1_17partition_subalgoE5ElNS0_10empty_typeEbEEZZNS1_14partition_implILS5_5ELb0ES3_mN6hipcub16HIPCUB_304000_NS21CountingInputIteratorIllEEPS6_NSA_22TransformInputIteratorIb7NonZeroIfEPflEENS0_5tupleIJPlS6_EEENSJ_IJSD_SD_EEES6_SK_JS6_EEE10hipError_tPvRmT3_T4_T5_T6_T7_T9_mT8_P12ihipStream_tbDpT10_ENKUlT_T0_E_clISt17integral_constantIbLb0EES15_IbLb1EEEEDaS11_S12_EUlS11_E_NS1_11comp_targetILNS1_3genE3ELNS1_11target_archE908ELNS1_3gpuE7ELNS1_3repE0EEENS1_30default_config_static_selectorELNS0_4arch9wavefront6targetE1EEEvT1_
	.globl	_ZN7rocprim17ROCPRIM_400000_NS6detail17trampoline_kernelINS0_14default_configENS1_25partition_config_selectorILNS1_17partition_subalgoE5ElNS0_10empty_typeEbEEZZNS1_14partition_implILS5_5ELb0ES3_mN6hipcub16HIPCUB_304000_NS21CountingInputIteratorIllEEPS6_NSA_22TransformInputIteratorIb7NonZeroIfEPflEENS0_5tupleIJPlS6_EEENSJ_IJSD_SD_EEES6_SK_JS6_EEE10hipError_tPvRmT3_T4_T5_T6_T7_T9_mT8_P12ihipStream_tbDpT10_ENKUlT_T0_E_clISt17integral_constantIbLb0EES15_IbLb1EEEEDaS11_S12_EUlS11_E_NS1_11comp_targetILNS1_3genE3ELNS1_11target_archE908ELNS1_3gpuE7ELNS1_3repE0EEENS1_30default_config_static_selectorELNS0_4arch9wavefront6targetE1EEEvT1_
	.p2align	8
	.type	_ZN7rocprim17ROCPRIM_400000_NS6detail17trampoline_kernelINS0_14default_configENS1_25partition_config_selectorILNS1_17partition_subalgoE5ElNS0_10empty_typeEbEEZZNS1_14partition_implILS5_5ELb0ES3_mN6hipcub16HIPCUB_304000_NS21CountingInputIteratorIllEEPS6_NSA_22TransformInputIteratorIb7NonZeroIfEPflEENS0_5tupleIJPlS6_EEENSJ_IJSD_SD_EEES6_SK_JS6_EEE10hipError_tPvRmT3_T4_T5_T6_T7_T9_mT8_P12ihipStream_tbDpT10_ENKUlT_T0_E_clISt17integral_constantIbLb0EES15_IbLb1EEEEDaS11_S12_EUlS11_E_NS1_11comp_targetILNS1_3genE3ELNS1_11target_archE908ELNS1_3gpuE7ELNS1_3repE0EEENS1_30default_config_static_selectorELNS0_4arch9wavefront6targetE1EEEvT1_,@function
_ZN7rocprim17ROCPRIM_400000_NS6detail17trampoline_kernelINS0_14default_configENS1_25partition_config_selectorILNS1_17partition_subalgoE5ElNS0_10empty_typeEbEEZZNS1_14partition_implILS5_5ELb0ES3_mN6hipcub16HIPCUB_304000_NS21CountingInputIteratorIllEEPS6_NSA_22TransformInputIteratorIb7NonZeroIfEPflEENS0_5tupleIJPlS6_EEENSJ_IJSD_SD_EEES6_SK_JS6_EEE10hipError_tPvRmT3_T4_T5_T6_T7_T9_mT8_P12ihipStream_tbDpT10_ENKUlT_T0_E_clISt17integral_constantIbLb0EES15_IbLb1EEEEDaS11_S12_EUlS11_E_NS1_11comp_targetILNS1_3genE3ELNS1_11target_archE908ELNS1_3gpuE7ELNS1_3repE0EEENS1_30default_config_static_selectorELNS0_4arch9wavefront6targetE1EEEvT1_: ; @_ZN7rocprim17ROCPRIM_400000_NS6detail17trampoline_kernelINS0_14default_configENS1_25partition_config_selectorILNS1_17partition_subalgoE5ElNS0_10empty_typeEbEEZZNS1_14partition_implILS5_5ELb0ES3_mN6hipcub16HIPCUB_304000_NS21CountingInputIteratorIllEEPS6_NSA_22TransformInputIteratorIb7NonZeroIfEPflEENS0_5tupleIJPlS6_EEENSJ_IJSD_SD_EEES6_SK_JS6_EEE10hipError_tPvRmT3_T4_T5_T6_T7_T9_mT8_P12ihipStream_tbDpT10_ENKUlT_T0_E_clISt17integral_constantIbLb0EES15_IbLb1EEEEDaS11_S12_EUlS11_E_NS1_11comp_targetILNS1_3genE3ELNS1_11target_archE908ELNS1_3gpuE7ELNS1_3repE0EEENS1_30default_config_static_selectorELNS0_4arch9wavefront6targetE1EEEvT1_
; %bb.0:
	.section	.rodata,"a",@progbits
	.p2align	6, 0x0
	.amdhsa_kernel _ZN7rocprim17ROCPRIM_400000_NS6detail17trampoline_kernelINS0_14default_configENS1_25partition_config_selectorILNS1_17partition_subalgoE5ElNS0_10empty_typeEbEEZZNS1_14partition_implILS5_5ELb0ES3_mN6hipcub16HIPCUB_304000_NS21CountingInputIteratorIllEEPS6_NSA_22TransformInputIteratorIb7NonZeroIfEPflEENS0_5tupleIJPlS6_EEENSJ_IJSD_SD_EEES6_SK_JS6_EEE10hipError_tPvRmT3_T4_T5_T6_T7_T9_mT8_P12ihipStream_tbDpT10_ENKUlT_T0_E_clISt17integral_constantIbLb0EES15_IbLb1EEEEDaS11_S12_EUlS11_E_NS1_11comp_targetILNS1_3genE3ELNS1_11target_archE908ELNS1_3gpuE7ELNS1_3repE0EEENS1_30default_config_static_selectorELNS0_4arch9wavefront6targetE1EEEvT1_
		.amdhsa_group_segment_fixed_size 0
		.amdhsa_private_segment_fixed_size 0
		.amdhsa_kernarg_size 136
		.amdhsa_user_sgpr_count 6
		.amdhsa_user_sgpr_private_segment_buffer 1
		.amdhsa_user_sgpr_dispatch_ptr 0
		.amdhsa_user_sgpr_queue_ptr 0
		.amdhsa_user_sgpr_kernarg_segment_ptr 1
		.amdhsa_user_sgpr_dispatch_id 0
		.amdhsa_user_sgpr_flat_scratch_init 0
		.amdhsa_user_sgpr_private_segment_size 0
		.amdhsa_uses_dynamic_stack 0
		.amdhsa_system_sgpr_private_segment_wavefront_offset 0
		.amdhsa_system_sgpr_workgroup_id_x 1
		.amdhsa_system_sgpr_workgroup_id_y 0
		.amdhsa_system_sgpr_workgroup_id_z 0
		.amdhsa_system_sgpr_workgroup_info 0
		.amdhsa_system_vgpr_workitem_id 0
		.amdhsa_next_free_vgpr 1
		.amdhsa_next_free_sgpr 0
		.amdhsa_reserve_vcc 0
		.amdhsa_reserve_flat_scratch 0
		.amdhsa_float_round_mode_32 0
		.amdhsa_float_round_mode_16_64 0
		.amdhsa_float_denorm_mode_32 3
		.amdhsa_float_denorm_mode_16_64 3
		.amdhsa_dx10_clamp 1
		.amdhsa_ieee_mode 1
		.amdhsa_fp16_overflow 0
		.amdhsa_exception_fp_ieee_invalid_op 0
		.amdhsa_exception_fp_denorm_src 0
		.amdhsa_exception_fp_ieee_div_zero 0
		.amdhsa_exception_fp_ieee_overflow 0
		.amdhsa_exception_fp_ieee_underflow 0
		.amdhsa_exception_fp_ieee_inexact 0
		.amdhsa_exception_int_div_zero 0
	.end_amdhsa_kernel
	.section	.text._ZN7rocprim17ROCPRIM_400000_NS6detail17trampoline_kernelINS0_14default_configENS1_25partition_config_selectorILNS1_17partition_subalgoE5ElNS0_10empty_typeEbEEZZNS1_14partition_implILS5_5ELb0ES3_mN6hipcub16HIPCUB_304000_NS21CountingInputIteratorIllEEPS6_NSA_22TransformInputIteratorIb7NonZeroIfEPflEENS0_5tupleIJPlS6_EEENSJ_IJSD_SD_EEES6_SK_JS6_EEE10hipError_tPvRmT3_T4_T5_T6_T7_T9_mT8_P12ihipStream_tbDpT10_ENKUlT_T0_E_clISt17integral_constantIbLb0EES15_IbLb1EEEEDaS11_S12_EUlS11_E_NS1_11comp_targetILNS1_3genE3ELNS1_11target_archE908ELNS1_3gpuE7ELNS1_3repE0EEENS1_30default_config_static_selectorELNS0_4arch9wavefront6targetE1EEEvT1_,"axG",@progbits,_ZN7rocprim17ROCPRIM_400000_NS6detail17trampoline_kernelINS0_14default_configENS1_25partition_config_selectorILNS1_17partition_subalgoE5ElNS0_10empty_typeEbEEZZNS1_14partition_implILS5_5ELb0ES3_mN6hipcub16HIPCUB_304000_NS21CountingInputIteratorIllEEPS6_NSA_22TransformInputIteratorIb7NonZeroIfEPflEENS0_5tupleIJPlS6_EEENSJ_IJSD_SD_EEES6_SK_JS6_EEE10hipError_tPvRmT3_T4_T5_T6_T7_T9_mT8_P12ihipStream_tbDpT10_ENKUlT_T0_E_clISt17integral_constantIbLb0EES15_IbLb1EEEEDaS11_S12_EUlS11_E_NS1_11comp_targetILNS1_3genE3ELNS1_11target_archE908ELNS1_3gpuE7ELNS1_3repE0EEENS1_30default_config_static_selectorELNS0_4arch9wavefront6targetE1EEEvT1_,comdat
.Lfunc_end280:
	.size	_ZN7rocprim17ROCPRIM_400000_NS6detail17trampoline_kernelINS0_14default_configENS1_25partition_config_selectorILNS1_17partition_subalgoE5ElNS0_10empty_typeEbEEZZNS1_14partition_implILS5_5ELb0ES3_mN6hipcub16HIPCUB_304000_NS21CountingInputIteratorIllEEPS6_NSA_22TransformInputIteratorIb7NonZeroIfEPflEENS0_5tupleIJPlS6_EEENSJ_IJSD_SD_EEES6_SK_JS6_EEE10hipError_tPvRmT3_T4_T5_T6_T7_T9_mT8_P12ihipStream_tbDpT10_ENKUlT_T0_E_clISt17integral_constantIbLb0EES15_IbLb1EEEEDaS11_S12_EUlS11_E_NS1_11comp_targetILNS1_3genE3ELNS1_11target_archE908ELNS1_3gpuE7ELNS1_3repE0EEENS1_30default_config_static_selectorELNS0_4arch9wavefront6targetE1EEEvT1_, .Lfunc_end280-_ZN7rocprim17ROCPRIM_400000_NS6detail17trampoline_kernelINS0_14default_configENS1_25partition_config_selectorILNS1_17partition_subalgoE5ElNS0_10empty_typeEbEEZZNS1_14partition_implILS5_5ELb0ES3_mN6hipcub16HIPCUB_304000_NS21CountingInputIteratorIllEEPS6_NSA_22TransformInputIteratorIb7NonZeroIfEPflEENS0_5tupleIJPlS6_EEENSJ_IJSD_SD_EEES6_SK_JS6_EEE10hipError_tPvRmT3_T4_T5_T6_T7_T9_mT8_P12ihipStream_tbDpT10_ENKUlT_T0_E_clISt17integral_constantIbLb0EES15_IbLb1EEEEDaS11_S12_EUlS11_E_NS1_11comp_targetILNS1_3genE3ELNS1_11target_archE908ELNS1_3gpuE7ELNS1_3repE0EEENS1_30default_config_static_selectorELNS0_4arch9wavefront6targetE1EEEvT1_
                                        ; -- End function
	.set _ZN7rocprim17ROCPRIM_400000_NS6detail17trampoline_kernelINS0_14default_configENS1_25partition_config_selectorILNS1_17partition_subalgoE5ElNS0_10empty_typeEbEEZZNS1_14partition_implILS5_5ELb0ES3_mN6hipcub16HIPCUB_304000_NS21CountingInputIteratorIllEEPS6_NSA_22TransformInputIteratorIb7NonZeroIfEPflEENS0_5tupleIJPlS6_EEENSJ_IJSD_SD_EEES6_SK_JS6_EEE10hipError_tPvRmT3_T4_T5_T6_T7_T9_mT8_P12ihipStream_tbDpT10_ENKUlT_T0_E_clISt17integral_constantIbLb0EES15_IbLb1EEEEDaS11_S12_EUlS11_E_NS1_11comp_targetILNS1_3genE3ELNS1_11target_archE908ELNS1_3gpuE7ELNS1_3repE0EEENS1_30default_config_static_selectorELNS0_4arch9wavefront6targetE1EEEvT1_.num_vgpr, 0
	.set _ZN7rocprim17ROCPRIM_400000_NS6detail17trampoline_kernelINS0_14default_configENS1_25partition_config_selectorILNS1_17partition_subalgoE5ElNS0_10empty_typeEbEEZZNS1_14partition_implILS5_5ELb0ES3_mN6hipcub16HIPCUB_304000_NS21CountingInputIteratorIllEEPS6_NSA_22TransformInputIteratorIb7NonZeroIfEPflEENS0_5tupleIJPlS6_EEENSJ_IJSD_SD_EEES6_SK_JS6_EEE10hipError_tPvRmT3_T4_T5_T6_T7_T9_mT8_P12ihipStream_tbDpT10_ENKUlT_T0_E_clISt17integral_constantIbLb0EES15_IbLb1EEEEDaS11_S12_EUlS11_E_NS1_11comp_targetILNS1_3genE3ELNS1_11target_archE908ELNS1_3gpuE7ELNS1_3repE0EEENS1_30default_config_static_selectorELNS0_4arch9wavefront6targetE1EEEvT1_.num_agpr, 0
	.set _ZN7rocprim17ROCPRIM_400000_NS6detail17trampoline_kernelINS0_14default_configENS1_25partition_config_selectorILNS1_17partition_subalgoE5ElNS0_10empty_typeEbEEZZNS1_14partition_implILS5_5ELb0ES3_mN6hipcub16HIPCUB_304000_NS21CountingInputIteratorIllEEPS6_NSA_22TransformInputIteratorIb7NonZeroIfEPflEENS0_5tupleIJPlS6_EEENSJ_IJSD_SD_EEES6_SK_JS6_EEE10hipError_tPvRmT3_T4_T5_T6_T7_T9_mT8_P12ihipStream_tbDpT10_ENKUlT_T0_E_clISt17integral_constantIbLb0EES15_IbLb1EEEEDaS11_S12_EUlS11_E_NS1_11comp_targetILNS1_3genE3ELNS1_11target_archE908ELNS1_3gpuE7ELNS1_3repE0EEENS1_30default_config_static_selectorELNS0_4arch9wavefront6targetE1EEEvT1_.numbered_sgpr, 0
	.set _ZN7rocprim17ROCPRIM_400000_NS6detail17trampoline_kernelINS0_14default_configENS1_25partition_config_selectorILNS1_17partition_subalgoE5ElNS0_10empty_typeEbEEZZNS1_14partition_implILS5_5ELb0ES3_mN6hipcub16HIPCUB_304000_NS21CountingInputIteratorIllEEPS6_NSA_22TransformInputIteratorIb7NonZeroIfEPflEENS0_5tupleIJPlS6_EEENSJ_IJSD_SD_EEES6_SK_JS6_EEE10hipError_tPvRmT3_T4_T5_T6_T7_T9_mT8_P12ihipStream_tbDpT10_ENKUlT_T0_E_clISt17integral_constantIbLb0EES15_IbLb1EEEEDaS11_S12_EUlS11_E_NS1_11comp_targetILNS1_3genE3ELNS1_11target_archE908ELNS1_3gpuE7ELNS1_3repE0EEENS1_30default_config_static_selectorELNS0_4arch9wavefront6targetE1EEEvT1_.num_named_barrier, 0
	.set _ZN7rocprim17ROCPRIM_400000_NS6detail17trampoline_kernelINS0_14default_configENS1_25partition_config_selectorILNS1_17partition_subalgoE5ElNS0_10empty_typeEbEEZZNS1_14partition_implILS5_5ELb0ES3_mN6hipcub16HIPCUB_304000_NS21CountingInputIteratorIllEEPS6_NSA_22TransformInputIteratorIb7NonZeroIfEPflEENS0_5tupleIJPlS6_EEENSJ_IJSD_SD_EEES6_SK_JS6_EEE10hipError_tPvRmT3_T4_T5_T6_T7_T9_mT8_P12ihipStream_tbDpT10_ENKUlT_T0_E_clISt17integral_constantIbLb0EES15_IbLb1EEEEDaS11_S12_EUlS11_E_NS1_11comp_targetILNS1_3genE3ELNS1_11target_archE908ELNS1_3gpuE7ELNS1_3repE0EEENS1_30default_config_static_selectorELNS0_4arch9wavefront6targetE1EEEvT1_.private_seg_size, 0
	.set _ZN7rocprim17ROCPRIM_400000_NS6detail17trampoline_kernelINS0_14default_configENS1_25partition_config_selectorILNS1_17partition_subalgoE5ElNS0_10empty_typeEbEEZZNS1_14partition_implILS5_5ELb0ES3_mN6hipcub16HIPCUB_304000_NS21CountingInputIteratorIllEEPS6_NSA_22TransformInputIteratorIb7NonZeroIfEPflEENS0_5tupleIJPlS6_EEENSJ_IJSD_SD_EEES6_SK_JS6_EEE10hipError_tPvRmT3_T4_T5_T6_T7_T9_mT8_P12ihipStream_tbDpT10_ENKUlT_T0_E_clISt17integral_constantIbLb0EES15_IbLb1EEEEDaS11_S12_EUlS11_E_NS1_11comp_targetILNS1_3genE3ELNS1_11target_archE908ELNS1_3gpuE7ELNS1_3repE0EEENS1_30default_config_static_selectorELNS0_4arch9wavefront6targetE1EEEvT1_.uses_vcc, 0
	.set _ZN7rocprim17ROCPRIM_400000_NS6detail17trampoline_kernelINS0_14default_configENS1_25partition_config_selectorILNS1_17partition_subalgoE5ElNS0_10empty_typeEbEEZZNS1_14partition_implILS5_5ELb0ES3_mN6hipcub16HIPCUB_304000_NS21CountingInputIteratorIllEEPS6_NSA_22TransformInputIteratorIb7NonZeroIfEPflEENS0_5tupleIJPlS6_EEENSJ_IJSD_SD_EEES6_SK_JS6_EEE10hipError_tPvRmT3_T4_T5_T6_T7_T9_mT8_P12ihipStream_tbDpT10_ENKUlT_T0_E_clISt17integral_constantIbLb0EES15_IbLb1EEEEDaS11_S12_EUlS11_E_NS1_11comp_targetILNS1_3genE3ELNS1_11target_archE908ELNS1_3gpuE7ELNS1_3repE0EEENS1_30default_config_static_selectorELNS0_4arch9wavefront6targetE1EEEvT1_.uses_flat_scratch, 0
	.set _ZN7rocprim17ROCPRIM_400000_NS6detail17trampoline_kernelINS0_14default_configENS1_25partition_config_selectorILNS1_17partition_subalgoE5ElNS0_10empty_typeEbEEZZNS1_14partition_implILS5_5ELb0ES3_mN6hipcub16HIPCUB_304000_NS21CountingInputIteratorIllEEPS6_NSA_22TransformInputIteratorIb7NonZeroIfEPflEENS0_5tupleIJPlS6_EEENSJ_IJSD_SD_EEES6_SK_JS6_EEE10hipError_tPvRmT3_T4_T5_T6_T7_T9_mT8_P12ihipStream_tbDpT10_ENKUlT_T0_E_clISt17integral_constantIbLb0EES15_IbLb1EEEEDaS11_S12_EUlS11_E_NS1_11comp_targetILNS1_3genE3ELNS1_11target_archE908ELNS1_3gpuE7ELNS1_3repE0EEENS1_30default_config_static_selectorELNS0_4arch9wavefront6targetE1EEEvT1_.has_dyn_sized_stack, 0
	.set _ZN7rocprim17ROCPRIM_400000_NS6detail17trampoline_kernelINS0_14default_configENS1_25partition_config_selectorILNS1_17partition_subalgoE5ElNS0_10empty_typeEbEEZZNS1_14partition_implILS5_5ELb0ES3_mN6hipcub16HIPCUB_304000_NS21CountingInputIteratorIllEEPS6_NSA_22TransformInputIteratorIb7NonZeroIfEPflEENS0_5tupleIJPlS6_EEENSJ_IJSD_SD_EEES6_SK_JS6_EEE10hipError_tPvRmT3_T4_T5_T6_T7_T9_mT8_P12ihipStream_tbDpT10_ENKUlT_T0_E_clISt17integral_constantIbLb0EES15_IbLb1EEEEDaS11_S12_EUlS11_E_NS1_11comp_targetILNS1_3genE3ELNS1_11target_archE908ELNS1_3gpuE7ELNS1_3repE0EEENS1_30default_config_static_selectorELNS0_4arch9wavefront6targetE1EEEvT1_.has_recursion, 0
	.set _ZN7rocprim17ROCPRIM_400000_NS6detail17trampoline_kernelINS0_14default_configENS1_25partition_config_selectorILNS1_17partition_subalgoE5ElNS0_10empty_typeEbEEZZNS1_14partition_implILS5_5ELb0ES3_mN6hipcub16HIPCUB_304000_NS21CountingInputIteratorIllEEPS6_NSA_22TransformInputIteratorIb7NonZeroIfEPflEENS0_5tupleIJPlS6_EEENSJ_IJSD_SD_EEES6_SK_JS6_EEE10hipError_tPvRmT3_T4_T5_T6_T7_T9_mT8_P12ihipStream_tbDpT10_ENKUlT_T0_E_clISt17integral_constantIbLb0EES15_IbLb1EEEEDaS11_S12_EUlS11_E_NS1_11comp_targetILNS1_3genE3ELNS1_11target_archE908ELNS1_3gpuE7ELNS1_3repE0EEENS1_30default_config_static_selectorELNS0_4arch9wavefront6targetE1EEEvT1_.has_indirect_call, 0
	.section	.AMDGPU.csdata,"",@progbits
; Kernel info:
; codeLenInByte = 0
; TotalNumSgprs: 4
; NumVgprs: 0
; ScratchSize: 0
; MemoryBound: 0
; FloatMode: 240
; IeeeMode: 1
; LDSByteSize: 0 bytes/workgroup (compile time only)
; SGPRBlocks: 0
; VGPRBlocks: 0
; NumSGPRsForWavesPerEU: 4
; NumVGPRsForWavesPerEU: 1
; Occupancy: 10
; WaveLimiterHint : 0
; COMPUTE_PGM_RSRC2:SCRATCH_EN: 0
; COMPUTE_PGM_RSRC2:USER_SGPR: 6
; COMPUTE_PGM_RSRC2:TRAP_HANDLER: 0
; COMPUTE_PGM_RSRC2:TGID_X_EN: 1
; COMPUTE_PGM_RSRC2:TGID_Y_EN: 0
; COMPUTE_PGM_RSRC2:TGID_Z_EN: 0
; COMPUTE_PGM_RSRC2:TIDIG_COMP_CNT: 0
	.section	.text._ZN7rocprim17ROCPRIM_400000_NS6detail17trampoline_kernelINS0_14default_configENS1_25partition_config_selectorILNS1_17partition_subalgoE5ElNS0_10empty_typeEbEEZZNS1_14partition_implILS5_5ELb0ES3_mN6hipcub16HIPCUB_304000_NS21CountingInputIteratorIllEEPS6_NSA_22TransformInputIteratorIb7NonZeroIfEPflEENS0_5tupleIJPlS6_EEENSJ_IJSD_SD_EEES6_SK_JS6_EEE10hipError_tPvRmT3_T4_T5_T6_T7_T9_mT8_P12ihipStream_tbDpT10_ENKUlT_T0_E_clISt17integral_constantIbLb0EES15_IbLb1EEEEDaS11_S12_EUlS11_E_NS1_11comp_targetILNS1_3genE2ELNS1_11target_archE906ELNS1_3gpuE6ELNS1_3repE0EEENS1_30default_config_static_selectorELNS0_4arch9wavefront6targetE1EEEvT1_,"axG",@progbits,_ZN7rocprim17ROCPRIM_400000_NS6detail17trampoline_kernelINS0_14default_configENS1_25partition_config_selectorILNS1_17partition_subalgoE5ElNS0_10empty_typeEbEEZZNS1_14partition_implILS5_5ELb0ES3_mN6hipcub16HIPCUB_304000_NS21CountingInputIteratorIllEEPS6_NSA_22TransformInputIteratorIb7NonZeroIfEPflEENS0_5tupleIJPlS6_EEENSJ_IJSD_SD_EEES6_SK_JS6_EEE10hipError_tPvRmT3_T4_T5_T6_T7_T9_mT8_P12ihipStream_tbDpT10_ENKUlT_T0_E_clISt17integral_constantIbLb0EES15_IbLb1EEEEDaS11_S12_EUlS11_E_NS1_11comp_targetILNS1_3genE2ELNS1_11target_archE906ELNS1_3gpuE6ELNS1_3repE0EEENS1_30default_config_static_selectorELNS0_4arch9wavefront6targetE1EEEvT1_,comdat
	.protected	_ZN7rocprim17ROCPRIM_400000_NS6detail17trampoline_kernelINS0_14default_configENS1_25partition_config_selectorILNS1_17partition_subalgoE5ElNS0_10empty_typeEbEEZZNS1_14partition_implILS5_5ELb0ES3_mN6hipcub16HIPCUB_304000_NS21CountingInputIteratorIllEEPS6_NSA_22TransformInputIteratorIb7NonZeroIfEPflEENS0_5tupleIJPlS6_EEENSJ_IJSD_SD_EEES6_SK_JS6_EEE10hipError_tPvRmT3_T4_T5_T6_T7_T9_mT8_P12ihipStream_tbDpT10_ENKUlT_T0_E_clISt17integral_constantIbLb0EES15_IbLb1EEEEDaS11_S12_EUlS11_E_NS1_11comp_targetILNS1_3genE2ELNS1_11target_archE906ELNS1_3gpuE6ELNS1_3repE0EEENS1_30default_config_static_selectorELNS0_4arch9wavefront6targetE1EEEvT1_ ; -- Begin function _ZN7rocprim17ROCPRIM_400000_NS6detail17trampoline_kernelINS0_14default_configENS1_25partition_config_selectorILNS1_17partition_subalgoE5ElNS0_10empty_typeEbEEZZNS1_14partition_implILS5_5ELb0ES3_mN6hipcub16HIPCUB_304000_NS21CountingInputIteratorIllEEPS6_NSA_22TransformInputIteratorIb7NonZeroIfEPflEENS0_5tupleIJPlS6_EEENSJ_IJSD_SD_EEES6_SK_JS6_EEE10hipError_tPvRmT3_T4_T5_T6_T7_T9_mT8_P12ihipStream_tbDpT10_ENKUlT_T0_E_clISt17integral_constantIbLb0EES15_IbLb1EEEEDaS11_S12_EUlS11_E_NS1_11comp_targetILNS1_3genE2ELNS1_11target_archE906ELNS1_3gpuE6ELNS1_3repE0EEENS1_30default_config_static_selectorELNS0_4arch9wavefront6targetE1EEEvT1_
	.globl	_ZN7rocprim17ROCPRIM_400000_NS6detail17trampoline_kernelINS0_14default_configENS1_25partition_config_selectorILNS1_17partition_subalgoE5ElNS0_10empty_typeEbEEZZNS1_14partition_implILS5_5ELb0ES3_mN6hipcub16HIPCUB_304000_NS21CountingInputIteratorIllEEPS6_NSA_22TransformInputIteratorIb7NonZeroIfEPflEENS0_5tupleIJPlS6_EEENSJ_IJSD_SD_EEES6_SK_JS6_EEE10hipError_tPvRmT3_T4_T5_T6_T7_T9_mT8_P12ihipStream_tbDpT10_ENKUlT_T0_E_clISt17integral_constantIbLb0EES15_IbLb1EEEEDaS11_S12_EUlS11_E_NS1_11comp_targetILNS1_3genE2ELNS1_11target_archE906ELNS1_3gpuE6ELNS1_3repE0EEENS1_30default_config_static_selectorELNS0_4arch9wavefront6targetE1EEEvT1_
	.p2align	8
	.type	_ZN7rocprim17ROCPRIM_400000_NS6detail17trampoline_kernelINS0_14default_configENS1_25partition_config_selectorILNS1_17partition_subalgoE5ElNS0_10empty_typeEbEEZZNS1_14partition_implILS5_5ELb0ES3_mN6hipcub16HIPCUB_304000_NS21CountingInputIteratorIllEEPS6_NSA_22TransformInputIteratorIb7NonZeroIfEPflEENS0_5tupleIJPlS6_EEENSJ_IJSD_SD_EEES6_SK_JS6_EEE10hipError_tPvRmT3_T4_T5_T6_T7_T9_mT8_P12ihipStream_tbDpT10_ENKUlT_T0_E_clISt17integral_constantIbLb0EES15_IbLb1EEEEDaS11_S12_EUlS11_E_NS1_11comp_targetILNS1_3genE2ELNS1_11target_archE906ELNS1_3gpuE6ELNS1_3repE0EEENS1_30default_config_static_selectorELNS0_4arch9wavefront6targetE1EEEvT1_,@function
_ZN7rocprim17ROCPRIM_400000_NS6detail17trampoline_kernelINS0_14default_configENS1_25partition_config_selectorILNS1_17partition_subalgoE5ElNS0_10empty_typeEbEEZZNS1_14partition_implILS5_5ELb0ES3_mN6hipcub16HIPCUB_304000_NS21CountingInputIteratorIllEEPS6_NSA_22TransformInputIteratorIb7NonZeroIfEPflEENS0_5tupleIJPlS6_EEENSJ_IJSD_SD_EEES6_SK_JS6_EEE10hipError_tPvRmT3_T4_T5_T6_T7_T9_mT8_P12ihipStream_tbDpT10_ENKUlT_T0_E_clISt17integral_constantIbLb0EES15_IbLb1EEEEDaS11_S12_EUlS11_E_NS1_11comp_targetILNS1_3genE2ELNS1_11target_archE906ELNS1_3gpuE6ELNS1_3repE0EEENS1_30default_config_static_selectorELNS0_4arch9wavefront6targetE1EEEvT1_: ; @_ZN7rocprim17ROCPRIM_400000_NS6detail17trampoline_kernelINS0_14default_configENS1_25partition_config_selectorILNS1_17partition_subalgoE5ElNS0_10empty_typeEbEEZZNS1_14partition_implILS5_5ELb0ES3_mN6hipcub16HIPCUB_304000_NS21CountingInputIteratorIllEEPS6_NSA_22TransformInputIteratorIb7NonZeroIfEPflEENS0_5tupleIJPlS6_EEENSJ_IJSD_SD_EEES6_SK_JS6_EEE10hipError_tPvRmT3_T4_T5_T6_T7_T9_mT8_P12ihipStream_tbDpT10_ENKUlT_T0_E_clISt17integral_constantIbLb0EES15_IbLb1EEEEDaS11_S12_EUlS11_E_NS1_11comp_targetILNS1_3genE2ELNS1_11target_archE906ELNS1_3gpuE6ELNS1_3repE0EEENS1_30default_config_static_selectorELNS0_4arch9wavefront6targetE1EEEvT1_
; %bb.0:
	s_load_dwordx2 s[6:7], s[4:5], 0x20
	s_load_dwordx2 s[16:17], s[4:5], 0x30
	;; [unrolled: 1-line block ×3, first 2 shown]
	s_load_dwordx4 s[8:11], s[4:5], 0x48
	s_load_dwordx2 s[20:21], s[4:5], 0x68
	v_cmp_eq_u32_e64 s[0:1], 0, v0
	s_and_saveexec_b64 s[12:13], s[0:1]
	s_cbranch_execz .LBB281_4
; %bb.1:
	s_mov_b64 s[18:19], exec
	v_mbcnt_lo_u32_b32 v1, s18, 0
	v_mbcnt_hi_u32_b32 v1, s19, v1
	v_cmp_eq_u32_e32 vcc, 0, v1
                                        ; implicit-def: $vgpr2
	s_and_saveexec_b64 s[14:15], vcc
	s_cbranch_execz .LBB281_3
; %bb.2:
	s_load_dwordx2 s[22:23], s[4:5], 0x78
	s_bcnt1_i32_b64 s18, s[18:19]
	v_mov_b32_e32 v2, 0
	v_mov_b32_e32 v3, s18
	s_waitcnt lgkmcnt(0)
	global_atomic_add v2, v2, v3, s[22:23] glc
.LBB281_3:
	s_or_b64 exec, exec, s[14:15]
	s_waitcnt vmcnt(0)
	v_readfirstlane_b32 s14, v2
	v_add_u32_e32 v1, s14, v1
	v_mov_b32_e32 v2, 0
	ds_write_b32 v2, v1
.LBB281_4:
	s_or_b64 exec, exec, s[12:13]
	v_mov_b32_e32 v1, 0
	s_load_dwordx4 s[12:15], s[4:5], 0x8
	s_load_dword s18, s[4:5], 0x70
	s_waitcnt lgkmcnt(0)
	s_barrier
	ds_read_b32 v5, v1
	s_waitcnt lgkmcnt(0)
	s_barrier
	global_load_dwordx2 v[1:2], v1, s[10:11]
	s_add_u32 s26, s14, s12
	s_mul_i32 s25, s18, 0x700
	s_addc_u32 s27, s15, s13
	s_add_i32 s18, s18, -1
	s_add_u32 s10, s14, s25
	s_addc_u32 s11, s15, 0
	v_mov_b32_e32 v3, s10
	v_mov_b32_e32 v4, s11
	v_readfirstlane_b32 s24, v5
	v_cmp_le_u64_e32 vcc, s[2:3], v[3:4]
	s_cmp_eq_u32 s24, s18
	s_cselect_b64 s[12:13], -1, 0
	s_and_b64 s[10:11], vcc, s[12:13]
	s_xor_b64 s[18:19], s[10:11], -1
	s_mov_b32 s5, 0
	s_mov_b64 s[22:23], -1
	s_mul_i32 s4, s24, 0x700
	s_and_b64 vcc, exec, s[18:19]
	s_waitcnt vmcnt(0)
	v_readfirstlane_b32 s10, v1
	v_readfirstlane_b32 s11, v2
	s_cbranch_vccz .LBB281_6
; %bb.5:
	s_add_u32 s3, s4, s26
	s_addc_u32 s22, 0, s27
	v_mov_b32_e32 v2, s22
	v_add_co_u32_e32 v1, vcc, s3, v0
	v_addc_co_u32_e32 v2, vcc, 0, v2, vcc
	v_add_co_u32_e32 v3, vcc, 0x100, v1
	v_addc_co_u32_e32 v4, vcc, 0, v2, vcc
	;; [unrolled: 2-line block ×6, first 2 shown]
	v_add_co_u32_e32 v13, vcc, 0x600, v1
	v_lshlrev_b32_e32 v15, 3, v0
	v_addc_co_u32_e32 v14, vcc, 0, v2, vcc
	ds_write2st64_b64 v15, v[1:2], v[3:4] offset1:4
	ds_write2st64_b64 v15, v[5:6], v[7:8] offset0:8 offset1:12
	ds_write2st64_b64 v15, v[9:10], v[11:12] offset0:16 offset1:20
	ds_write_b64 v15, v[13:14] offset:12288
	s_waitcnt lgkmcnt(0)
	s_barrier
	s_mov_b64 s[22:23], 0
.LBB281_6:
	s_andn2_b64 vcc, exec, s[22:23]
	s_cbranch_vccnz .LBB281_8
; %bb.7:
	s_add_u32 s3, s26, s4
	s_addc_u32 s22, s27, 0
	v_mov_b32_e32 v2, s22
	v_add_co_u32_e32 v1, vcc, s3, v0
	v_addc_co_u32_e32 v2, vcc, 0, v2, vcc
	v_or_b32_e32 v3, 0x100, v0
	v_mov_b32_e32 v4, s22
	v_add_co_u32_e32 v3, vcc, s3, v3
	v_addc_co_u32_e32 v4, vcc, 0, v4, vcc
	v_or_b32_e32 v5, 0x200, v0
	;; [unrolled: 4-line block ×6, first 2 shown]
	v_mov_b32_e32 v14, s22
	v_add_co_u32_e32 v13, vcc, s3, v13
	v_lshlrev_b32_e32 v15, 3, v0
	v_addc_co_u32_e32 v14, vcc, 0, v14, vcc
	ds_write2st64_b64 v15, v[1:2], v[3:4] offset1:4
	ds_write2st64_b64 v15, v[5:6], v[7:8] offset0:8 offset1:12
	ds_write2st64_b64 v15, v[9:10], v[11:12] offset0:16 offset1:20
	ds_write_b64 v15, v[13:14] offset:12288
	s_waitcnt lgkmcnt(0)
	s_barrier
.LBB281_8:
	v_mul_u32_u24_e32 v1, 7, v0
	v_lshlrev_b32_e32 v13, 3, v1
	ds_read_b64 v[21:22], v13 offset:48
	ds_read2_b64 v[1:4], v13 offset0:4 offset1:5
	ds_read2_b64 v[5:8], v13 offset0:2 offset1:3
	ds_read2_b64 v[9:12], v13 offset1:1
	s_lshl_b64 s[22:23], s[14:15], 2
	s_add_u32 s3, s6, s22
	s_addc_u32 s6, s7, s23
	s_lshl_b64 s[4:5], s[4:5], 2
	s_add_u32 s4, s3, s4
	s_addc_u32 s5, s6, s5
	s_mov_b64 s[6:7], -1
	s_and_b64 vcc, exec, s[18:19]
	v_lshlrev_b32_e32 v17, 2, v0
	s_waitcnt lgkmcnt(0)
	s_barrier
	s_cbranch_vccz .LBB281_10
; %bb.9:
	global_load_dword v16, v17, s[4:5]
	global_load_dword v18, v17, s[4:5] offset:1024
	v_mov_b32_e32 v14, s5
	v_add_co_u32_e32 v15, vcc, s4, v17
	v_addc_co_u32_e32 v19, vcc, 0, v14, vcc
	global_load_dword v20, v17, s[4:5] offset:2048
	global_load_dword v23, v17, s[4:5] offset:3072
	s_movk_i32 s3, 0x1000
	v_add_co_u32_e32 v14, vcc, s3, v15
	v_addc_co_u32_e32 v15, vcc, 0, v19, vcc
	global_load_dword v19, v[14:15], off
	global_load_dword v24, v[14:15], off offset:1024
	global_load_dword v25, v[14:15], off offset:2048
	s_mov_b64 s[6:7], 0
	s_waitcnt vmcnt(6)
	v_cmp_neq_f32_e32 vcc, 0, v16
	v_cndmask_b32_e64 v14, 0, 1, vcc
	s_waitcnt vmcnt(5)
	v_cmp_neq_f32_e32 vcc, 0, v18
	v_cndmask_b32_e64 v15, 0, 1, vcc
	;; [unrolled: 3-line block ×4, first 2 shown]
	ds_write_b8 v0, v14
	ds_write_b8 v0, v15 offset:256
	ds_write_b8 v0, v16 offset:512
	;; [unrolled: 1-line block ×3, first 2 shown]
	s_waitcnt vmcnt(2)
	v_cmp_neq_f32_e32 vcc, 0, v19
	v_cndmask_b32_e64 v14, 0, 1, vcc
	s_waitcnt vmcnt(1)
	v_cmp_neq_f32_e32 vcc, 0, v24
	v_cndmask_b32_e64 v15, 0, 1, vcc
	;; [unrolled: 3-line block ×3, first 2 shown]
	ds_write_b8 v0, v14 offset:1024
	ds_write_b8 v0, v15 offset:1280
	;; [unrolled: 1-line block ×3, first 2 shown]
	s_waitcnt lgkmcnt(0)
	s_barrier
.LBB281_10:
	s_andn2_b64 vcc, exec, s[6:7]
	s_cbranch_vccnz .LBB281_26
; %bb.11:
	s_add_i32 s25, s25, s14
	s_sub_i32 s6, s2, s25
	s_addk_i32 s6, 0x700
	v_mov_b32_e32 v14, 0
	v_cmp_gt_u32_e32 vcc, s6, v0
	s_mov_b32 s7, 0
	v_mov_b32_e32 v16, v14
	v_mov_b32_e32 v15, v14
	s_and_saveexec_b64 s[2:3], vcc
	s_cbranch_execz .LBB281_13
; %bb.12:
	global_load_dword v14, v17, s[4:5]
	v_mov_b32_e32 v16, s7
	s_waitcnt vmcnt(0)
	v_cmp_neq_f32_e32 vcc, 0, v14
	v_cndmask_b32_e64 v14, 0, 1, vcc
	v_mov_b32_e32 v15, v14
.LBB281_13:
	s_or_b64 exec, exec, s[2:3]
	v_or_b32_e32 v18, 0x100, v0
	v_cmp_gt_u32_e32 vcc, s6, v18
	s_and_saveexec_b64 s[2:3], vcc
	s_cbranch_execz .LBB281_15
; %bb.14:
	global_load_dword v18, v17, s[4:5] offset:1024
	v_mov_b32_e32 v19, 8
	v_lshrrev_b32_sdwa v19, v19, v16 dst_sel:BYTE_1 dst_unused:UNUSED_PAD src0_sel:DWORD src1_sel:DWORD
	v_bfe_u32 v20, v16, 16, 8
	v_lshrrev_b32_e32 v23, 16, v14
	s_mov_b32 s7, 0xc0c0304
	v_or_b32_sdwa v16, v16, v19 dst_sel:DWORD dst_unused:UNUSED_PAD src0_sel:BYTE_0 src1_sel:DWORD
	v_and_b32_e32 v16, 0xffff, v16
	v_lshl_or_b32 v16, v20, 16, v16
	s_waitcnt vmcnt(0)
	v_cmp_neq_f32_e32 vcc, 0, v18
	v_cndmask_b32_e64 v18, 0, 1, vcc
	v_lshlrev_b16_e32 v18, 8, v18
	v_or_b32_sdwa v18, v14, v18 dst_sel:DWORD dst_unused:UNUSED_PAD src0_sel:BYTE_0 src1_sel:DWORD
	v_and_b32_e32 v18, 0xffff, v18
	v_perm_b32 v14, v23, v14, s7
	v_lshl_or_b32 v14, v14, 16, v18
.LBB281_15:
	s_or_b64 exec, exec, s[2:3]
	v_or_b32_e32 v18, 0x200, v0
	v_cmp_gt_u32_e32 vcc, s6, v18
	s_and_saveexec_b64 s[2:3], vcc
	s_cbranch_execz .LBB281_17
; %bb.16:
	global_load_dword v18, v17, s[4:5] offset:2048
	v_mov_b32_e32 v19, 8
	v_lshrrev_b32_e32 v23, 24, v14
	v_lshrrev_b32_sdwa v19, v19, v16 dst_sel:BYTE_1 dst_unused:UNUSED_PAD src0_sel:DWORD src1_sel:DWORD
	v_bfe_u32 v20, v16, 16, 8
	s_mov_b32 s7, 0xc0c0104
	v_lshlrev_b16_e32 v23, 8, v23
	v_or_b32_sdwa v16, v16, v19 dst_sel:DWORD dst_unused:UNUSED_PAD src0_sel:BYTE_0 src1_sel:DWORD
	v_and_b32_e32 v16, 0xffff, v16
	v_perm_b32 v14, v14, v14, s7
	v_lshl_or_b32 v16, v20, 16, v16
	s_waitcnt vmcnt(0)
	v_cmp_neq_f32_e32 vcc, 0, v18
	v_cndmask_b32_e64 v18, 0, 1, vcc
	v_or_b32_sdwa v18, v18, v23 dst_sel:WORD_1 dst_unused:UNUSED_PAD src0_sel:DWORD src1_sel:DWORD
	v_or_b32_e32 v14, v14, v18
.LBB281_17:
	s_or_b64 exec, exec, s[2:3]
	v_or_b32_e32 v18, 0x300, v0
	v_cmp_gt_u32_e32 vcc, s6, v18
	s_and_saveexec_b64 s[2:3], vcc
	s_cbranch_execz .LBB281_19
; %bb.18:
	global_load_dword v17, v17, s[4:5] offset:3072
	v_mov_b32_e32 v18, 8
	s_movk_i32 s7, 0xff
	v_lshrrev_b32_sdwa v18, v18, v16 dst_sel:BYTE_1 dst_unused:UNUSED_PAD src0_sel:DWORD src1_sel:DWORD
	v_bfe_u32 v19, v16, 16, 8
	s_mov_b32 s14, 0xc0c0104
	v_and_b32_sdwa v20, v14, s7 dst_sel:DWORD dst_unused:UNUSED_PAD src0_sel:WORD_1 src1_sel:DWORD
	v_or_b32_sdwa v16, v16, v18 dst_sel:DWORD dst_unused:UNUSED_PAD src0_sel:BYTE_0 src1_sel:DWORD
	v_and_b32_e32 v16, 0xffff, v16
	v_perm_b32 v14, v14, v14, s14
	v_lshl_or_b32 v16, v19, 16, v16
	s_waitcnt vmcnt(0)
	v_cmp_neq_f32_e32 vcc, 0, v17
	v_cndmask_b32_e64 v17, 0, 1, vcc
	v_lshlrev_b16_e32 v17, 8, v17
	v_or_b32_sdwa v17, v20, v17 dst_sel:WORD_1 dst_unused:UNUSED_PAD src0_sel:DWORD src1_sel:DWORD
	v_or_b32_e32 v14, v14, v17
.LBB281_19:
	s_or_b64 exec, exec, s[2:3]
	v_or_b32_e32 v17, 0x400, v0
	v_cmp_gt_u32_e32 vcc, s6, v17
	s_and_saveexec_b64 s[2:3], vcc
	s_cbranch_execz .LBB281_21
; %bb.20:
	v_lshlrev_b32_e32 v17, 2, v17
	global_load_dword v17, v17, s[4:5]
	v_mov_b32_e32 v18, 8
	v_bfe_u32 v19, v16, 16, 8
	v_lshrrev_b32_sdwa v16, v18, v16 dst_sel:BYTE_1 dst_unused:UNUSED_PAD src0_sel:DWORD src1_sel:DWORD
	s_mov_b32 s7, 0x3020104
	v_perm_b32 v14, v14, v14, s7
	s_waitcnt vmcnt(0)
	v_cmp_neq_f32_e32 vcc, 0, v17
	v_cndmask_b32_e64 v17, 0, 1, vcc
	v_or_b32_e32 v16, v17, v16
	v_and_b32_e32 v16, 0xffff, v16
	v_lshl_or_b32 v16, v19, 16, v16
.LBB281_21:
	s_or_b64 exec, exec, s[2:3]
	v_or_b32_e32 v17, 0x500, v0
	v_cmp_gt_u32_e32 vcc, s6, v17
	s_and_saveexec_b64 s[2:3], vcc
	s_cbranch_execz .LBB281_23
; %bb.22:
	v_lshlrev_b32_e32 v17, 2, v17
	global_load_dword v17, v17, s[4:5]
	v_bfe_u32 v18, v16, 16, 8
	s_mov_b32 s7, 0x3020104
	v_perm_b32 v14, v14, v14, s7
	s_waitcnt vmcnt(0)
	v_cmp_neq_f32_e32 vcc, 0, v17
	v_cndmask_b32_e64 v17, 0, 1, vcc
	v_lshlrev_b16_e32 v17, 8, v17
	v_or_b32_sdwa v16, v16, v17 dst_sel:DWORD dst_unused:UNUSED_PAD src0_sel:BYTE_0 src1_sel:DWORD
	v_and_b32_e32 v16, 0xffff, v16
	v_lshl_or_b32 v16, v18, 16, v16
.LBB281_23:
	s_or_b64 exec, exec, s[2:3]
	v_or_b32_e32 v17, 0x600, v0
	v_cmp_gt_u32_e32 vcc, s6, v17
	s_and_saveexec_b64 s[2:3], vcc
	s_cbranch_execz .LBB281_25
; %bb.24:
	v_lshlrev_b32_e32 v17, 2, v17
	global_load_dword v17, v17, s[4:5]
	v_mov_b32_e32 v18, 8
	v_lshrrev_b32_sdwa v18, v18, v16 dst_sel:BYTE_1 dst_unused:UNUSED_PAD src0_sel:DWORD src1_sel:DWORD
	v_or_b32_sdwa v16, v16, v18 dst_sel:DWORD dst_unused:UNUSED_PAD src0_sel:BYTE_0 src1_sel:DWORD
	s_mov_b32 s4, 0x3020104
	v_and_b32_e32 v16, 0xffff, v16
	v_perm_b32 v14, v14, v14, s4
	s_waitcnt vmcnt(0)
	v_cmp_neq_f32_e32 vcc, 0, v17
	v_cndmask_b32_e64 v17, 0, 1, vcc
	v_lshl_or_b32 v16, v17, 16, v16
.LBB281_25:
	s_or_b64 exec, exec, s[2:3]
	ds_write_b8 v0, v15
	v_lshrrev_b32_e32 v15, 8, v14
	ds_write_b8 v0, v15 offset:256
	ds_write_b8_d16_hi v0, v14 offset:512
	v_lshrrev_b32_e32 v14, 24, v14
	ds_write_b8 v0, v14 offset:768
	ds_write_b8 v0, v16 offset:1024
	v_lshrrev_b32_e32 v14, 8, v16
	ds_write_b8 v0, v14 offset:1280
	ds_write_b8_d16_hi v0, v16 offset:1536
	s_waitcnt lgkmcnt(0)
	s_barrier
.LBB281_26:
	s_movk_i32 s2, 0xffcf
	v_mad_i32_i24 v43, v0, s2, v13
	ds_read_u8 v13, v43
	ds_read_u8 v15, v43 offset:1
	ds_read_u8 v16, v43 offset:2
	;; [unrolled: 1-line block ×6, first 2 shown]
	s_waitcnt lgkmcnt(6)
	v_and_b32_e32 v41, 1, v13
	s_waitcnt lgkmcnt(5)
	v_and_b32_e32 v40, 1, v15
	;; [unrolled: 2-line block ×4, first 2 shown]
	v_add3_u32 v13, v40, v41, v39
	s_waitcnt lgkmcnt(2)
	v_and_b32_e32 v37, 1, v18
	v_add_co_u32_e32 v13, vcc, v13, v38
	v_addc_co_u32_e64 v15, s[2:3], 0, 0, vcc
	v_add_co_u32_e32 v13, vcc, v13, v37
	s_waitcnt lgkmcnt(1)
	v_and_b32_e32 v36, 1, v19
	v_addc_co_u32_e32 v15, vcc, 0, v15, vcc
	v_add_co_u32_e32 v13, vcc, v13, v36
	s_waitcnt lgkmcnt(0)
	v_and_b32_e32 v35, 1, v20
	v_addc_co_u32_e32 v15, vcc, 0, v15, vcc
	v_add_co_u32_e32 v23, vcc, v13, v35
	v_mbcnt_lo_u32_b32 v13, -1, 0
	v_mbcnt_hi_u32_b32 v42, -1, v13
	v_and_b32_e32 v44, 15, v42
	s_cmp_lg_u32 s24, 0
	v_mov_b32_e32 v14, 0
	v_addc_co_u32_e32 v24, vcc, 0, v15, vcc
	v_cmp_ne_u32_e64 s[2:3], 0, v44
	s_barrier
	s_cbranch_scc0 .LBB281_82
; %bb.27:
	v_mov_b32_e32 v15, v23
	v_mov_b32_dpp v13, v23 row_shr:1 row_mask:0xf bank_mask:0xf
	v_mov_b32_dpp v18, v14 row_shr:1 row_mask:0xf bank_mask:0xf
	v_mov_b32_e32 v17, v23
	v_mov_b32_e32 v16, v24
	s_and_saveexec_b64 s[4:5], s[2:3]
; %bb.28:
	v_add_co_u32_e32 v17, vcc, v23, v13
	v_addc_co_u32_e32 v14, vcc, 0, v24, vcc
	v_add_co_u32_e32 v13, vcc, 0, v17
	v_addc_co_u32_e32 v14, vcc, v18, v14, vcc
	v_mov_b32_e32 v16, v14
	v_mov_b32_e32 v15, v13
; %bb.29:
	s_or_b64 exec, exec, s[4:5]
	v_mov_b32_dpp v13, v17 row_shr:2 row_mask:0xf bank_mask:0xf
	v_mov_b32_dpp v18, v14 row_shr:2 row_mask:0xf bank_mask:0xf
	v_cmp_lt_u32_e32 vcc, 1, v44
	s_and_saveexec_b64 s[4:5], vcc
; %bb.30:
	v_add_co_u32_e32 v17, vcc, v15, v13
	v_addc_co_u32_e32 v14, vcc, 0, v16, vcc
	v_add_co_u32_e32 v13, vcc, 0, v17
	v_addc_co_u32_e32 v14, vcc, v18, v14, vcc
	v_mov_b32_e32 v16, v14
	v_mov_b32_e32 v15, v13
; %bb.31:
	s_or_b64 exec, exec, s[4:5]
	v_mov_b32_dpp v13, v17 row_shr:4 row_mask:0xf bank_mask:0xf
	v_mov_b32_dpp v18, v14 row_shr:4 row_mask:0xf bank_mask:0xf
	v_cmp_lt_u32_e32 vcc, 3, v44
	s_and_saveexec_b64 s[4:5], vcc
; %bb.32:
	v_add_co_u32_e32 v17, vcc, v15, v13
	v_addc_co_u32_e32 v14, vcc, 0, v16, vcc
	v_add_co_u32_e32 v13, vcc, 0, v17
	v_addc_co_u32_e32 v14, vcc, v18, v14, vcc
	v_mov_b32_e32 v16, v14
	v_mov_b32_e32 v15, v13
; %bb.33:
	s_or_b64 exec, exec, s[4:5]
	v_mov_b32_dpp v13, v17 row_shr:8 row_mask:0xf bank_mask:0xf
	v_mov_b32_dpp v18, v14 row_shr:8 row_mask:0xf bank_mask:0xf
	v_cmp_lt_u32_e32 vcc, 7, v44
	s_and_saveexec_b64 s[4:5], vcc
; %bb.34:
	v_add_co_u32_e32 v17, vcc, v15, v13
	v_addc_co_u32_e32 v14, vcc, 0, v16, vcc
	v_add_co_u32_e32 v13, vcc, 0, v17
	v_addc_co_u32_e32 v14, vcc, v18, v14, vcc
	v_mov_b32_e32 v16, v14
	v_mov_b32_e32 v15, v13
; %bb.35:
	s_or_b64 exec, exec, s[4:5]
	v_and_b32_e32 v19, 16, v42
	v_mov_b32_dpp v13, v17 row_bcast:15 row_mask:0xf bank_mask:0xf
	v_mov_b32_dpp v18, v14 row_bcast:15 row_mask:0xf bank_mask:0xf
	v_cmp_ne_u32_e32 vcc, 0, v19
	s_and_saveexec_b64 s[4:5], vcc
; %bb.36:
	v_add_co_u32_e32 v17, vcc, v15, v13
	v_addc_co_u32_e32 v14, vcc, 0, v16, vcc
	v_add_co_u32_e32 v13, vcc, 0, v17
	v_addc_co_u32_e32 v14, vcc, v18, v14, vcc
	v_mov_b32_e32 v16, v14
	v_mov_b32_e32 v15, v13
; %bb.37:
	s_or_b64 exec, exec, s[4:5]
	v_mov_b32_dpp v13, v17 row_bcast:31 row_mask:0xf bank_mask:0xf
	v_mov_b32_dpp v18, v14 row_bcast:31 row_mask:0xf bank_mask:0xf
	v_cmp_lt_u32_e32 vcc, 31, v42
	s_and_saveexec_b64 s[4:5], vcc
; %bb.38:
	v_add_co_u32_e32 v17, vcc, v15, v13
	v_addc_co_u32_e32 v14, vcc, 0, v16, vcc
	v_add_co_u32_e32 v13, vcc, 0, v17
	v_addc_co_u32_e32 v14, vcc, v18, v14, vcc
	v_mov_b32_e32 v16, v14
	v_mov_b32_e32 v15, v13
; %bb.39:
	s_or_b64 exec, exec, s[4:5]
	v_or_b32_e32 v18, 63, v0
	v_lshrrev_b32_e32 v13, 6, v0
	v_cmp_eq_u32_e32 vcc, v0, v18
	s_and_saveexec_b64 s[4:5], vcc
; %bb.40:
	v_lshlrev_b32_e32 v18, 3, v13
	ds_write_b64 v18, v[15:16]
; %bb.41:
	s_or_b64 exec, exec, s[4:5]
	v_cmp_gt_u32_e32 vcc, 4, v0
	s_waitcnt lgkmcnt(0)
	s_barrier
	s_and_saveexec_b64 s[4:5], vcc
	s_cbranch_execz .LBB281_45
; %bb.42:
	v_lshlrev_b32_e32 v18, 3, v0
	ds_read_b64 v[15:16], v18
	v_and_b32_e32 v19, 3, v42
	v_cmp_ne_u32_e32 vcc, 0, v19
	s_waitcnt lgkmcnt(0)
	v_mov_b32_dpp v26, v15 row_shr:1 row_mask:0xf bank_mask:0xf
	v_mov_b32_dpp v25, v16 row_shr:1 row_mask:0xf bank_mask:0xf
	v_mov_b32_e32 v20, v15
	s_and_saveexec_b64 s[6:7], vcc
; %bb.43:
	v_add_co_u32_e32 v20, vcc, v15, v26
	v_addc_co_u32_e32 v16, vcc, 0, v16, vcc
	v_add_co_u32_e32 v15, vcc, 0, v20
	v_addc_co_u32_e32 v16, vcc, v25, v16, vcc
; %bb.44:
	s_or_b64 exec, exec, s[6:7]
	v_mov_b32_dpp v20, v20 row_shr:2 row_mask:0xf bank_mask:0xf
	v_add_co_u32_e32 v20, vcc, v15, v20
	v_addc_co_u32_e32 v26, vcc, 0, v16, vcc
	v_mov_b32_dpp v25, v16 row_shr:2 row_mask:0xf bank_mask:0xf
	v_add_co_u32_e32 v20, vcc, 0, v20
	v_addc_co_u32_e32 v25, vcc, v26, v25, vcc
	v_cmp_lt_u32_e32 vcc, 1, v19
	v_cndmask_b32_e32 v16, v16, v25, vcc
	v_cndmask_b32_e32 v15, v15, v20, vcc
	ds_write_b64 v18, v[15:16]
.LBB281_45:
	s_or_b64 exec, exec, s[4:5]
	v_cmp_gt_u32_e32 vcc, 64, v0
	v_cmp_lt_u32_e64 s[4:5], 63, v0
	s_waitcnt lgkmcnt(0)
	s_barrier
                                        ; implicit-def: $vgpr25_vgpr26
	s_and_saveexec_b64 s[6:7], s[4:5]
	s_cbranch_execz .LBB281_47
; %bb.46:
	v_lshl_add_u32 v13, v13, 3, -8
	ds_read_b64 v[25:26], v13
	s_waitcnt lgkmcnt(0)
	v_add_co_u32_e64 v17, s[4:5], v17, v25
	v_addc_co_u32_e64 v14, s[4:5], v14, v26, s[4:5]
.LBB281_47:
	s_or_b64 exec, exec, s[6:7]
	v_subrev_co_u32_e64 v13, s[4:5], 1, v42
	v_and_b32_e32 v15, 64, v42
	v_cmp_lt_i32_e64 s[6:7], v13, v15
	v_cndmask_b32_e64 v13, v13, v42, s[6:7]
	v_lshlrev_b32_e32 v13, 2, v13
	ds_bpermute_b32 v34, v13, v17
	ds_bpermute_b32 v33, v13, v14
	s_and_saveexec_b64 s[6:7], vcc
	s_cbranch_execz .LBB281_87
; %bb.48:
	v_mov_b32_e32 v16, 0
	ds_read_b64 v[13:14], v16 offset:24
	s_and_saveexec_b64 s[14:15], s[4:5]
	s_cbranch_execz .LBB281_50
; %bb.49:
	s_add_i32 s22, s24, 64
	s_mov_b32 s23, 0
	s_lshl_b64 s[22:23], s[22:23], 4
	s_add_u32 s22, s20, s22
	s_addc_u32 s23, s21, s23
	v_mov_b32_e32 v17, s22
	v_mov_b32_e32 v15, 1
	;; [unrolled: 1-line block ×3, first 2 shown]
	s_waitcnt lgkmcnt(0)
	;;#ASMSTART
	global_store_dwordx4 v[17:18], v[13:16] off	
s_waitcnt vmcnt(0)
	;;#ASMEND
.LBB281_50:
	s_or_b64 exec, exec, s[14:15]
	v_xad_u32 v27, v42, -1, s24
	v_add_u32_e32 v15, 64, v27
	v_lshlrev_b64 v[17:18], 4, v[15:16]
	v_mov_b32_e32 v15, s21
	v_add_co_u32_e32 v28, vcc, s20, v17
	v_addc_co_u32_e32 v29, vcc, v15, v18, vcc
	;;#ASMSTART
	global_load_dwordx4 v[17:20], v[28:29] off glc	
s_waitcnt vmcnt(0)
	;;#ASMEND
	v_cmp_eq_u16_sdwa s[22:23], v19, v16 src0_sel:BYTE_0 src1_sel:DWORD
	s_and_saveexec_b64 s[14:15], s[22:23]
	s_cbranch_execz .LBB281_54
; %bb.51:
	s_mov_b64 s[22:23], 0
	v_mov_b32_e32 v15, 0
.LBB281_52:                             ; =>This Inner Loop Header: Depth=1
	;;#ASMSTART
	global_load_dwordx4 v[17:20], v[28:29] off glc	
s_waitcnt vmcnt(0)
	;;#ASMEND
	v_cmp_ne_u16_sdwa s[26:27], v19, v15 src0_sel:BYTE_0 src1_sel:DWORD
	s_or_b64 s[22:23], s[26:27], s[22:23]
	s_andn2_b64 exec, exec, s[22:23]
	s_cbranch_execnz .LBB281_52
; %bb.53:
	s_or_b64 exec, exec, s[22:23]
.LBB281_54:
	s_or_b64 exec, exec, s[14:15]
	v_and_b32_e32 v45, 63, v42
	v_mov_b32_e32 v15, 2
	v_lshlrev_b64 v[29:30], v42, -1
	v_cmp_ne_u32_e32 vcc, 63, v45
	v_cmp_eq_u16_sdwa s[14:15], v19, v15 src0_sel:BYTE_0 src1_sel:DWORD
	v_addc_co_u32_e32 v20, vcc, 0, v42, vcc
	v_and_b32_e32 v15, s15, v30
	v_lshlrev_b32_e32 v46, 2, v20
	v_or_b32_e32 v15, 0x80000000, v15
	ds_bpermute_b32 v28, v46, v17
	ds_bpermute_b32 v20, v46, v18
	v_and_b32_e32 v16, s14, v29
	v_ffbl_b32_e32 v15, v15
	v_add_u32_e32 v15, 32, v15
	v_ffbl_b32_e32 v16, v16
	v_min_u32_e32 v15, v16, v15
	v_cmp_lt_u32_e32 vcc, v45, v15
	v_mov_b32_e32 v16, v17
	s_and_saveexec_b64 s[14:15], vcc
	s_cbranch_execz .LBB281_56
; %bb.55:
	s_waitcnt lgkmcnt(1)
	v_add_co_u32_e32 v16, vcc, v17, v28
	v_addc_co_u32_e32 v18, vcc, 0, v18, vcc
	v_add_co_u32_e32 v17, vcc, 0, v16
	s_waitcnt lgkmcnt(0)
	v_addc_co_u32_e32 v18, vcc, v20, v18, vcc
.LBB281_56:
	s_or_b64 exec, exec, s[14:15]
	v_cmp_gt_u32_e32 vcc, 62, v45
	s_waitcnt lgkmcnt(0)
	v_cndmask_b32_e64 v20, 0, 2, vcc
	v_add_lshl_u32 v47, v20, v42, 2
	ds_bpermute_b32 v28, v47, v16
	ds_bpermute_b32 v20, v47, v18
	v_add_u32_e32 v48, 2, v45
	v_cmp_le_u32_e32 vcc, v48, v15
	s_and_saveexec_b64 s[14:15], vcc
	s_cbranch_execz .LBB281_58
; %bb.57:
	s_waitcnt lgkmcnt(1)
	v_add_co_u32_e32 v16, vcc, v17, v28
	v_addc_co_u32_e32 v18, vcc, 0, v18, vcc
	v_add_co_u32_e32 v17, vcc, 0, v16
	s_waitcnt lgkmcnt(0)
	v_addc_co_u32_e32 v18, vcc, v20, v18, vcc
.LBB281_58:
	s_or_b64 exec, exec, s[14:15]
	v_cmp_gt_u32_e32 vcc, 60, v45
	s_waitcnt lgkmcnt(0)
	v_cndmask_b32_e64 v20, 0, 4, vcc
	v_add_lshl_u32 v49, v20, v42, 2
	ds_bpermute_b32 v28, v49, v16
	ds_bpermute_b32 v20, v49, v18
	v_add_u32_e32 v50, 4, v45
	v_cmp_le_u32_e32 vcc, v50, v15
	;; [unrolled: 19-line block ×4, first 2 shown]
	s_and_saveexec_b64 s[14:15], vcc
	s_cbranch_execz .LBB281_64
; %bb.63:
	s_waitcnt lgkmcnt(1)
	v_add_co_u32_e32 v16, vcc, v17, v28
	v_addc_co_u32_e32 v18, vcc, 0, v18, vcc
	v_add_co_u32_e32 v17, vcc, 0, v16
	s_waitcnt lgkmcnt(0)
	v_addc_co_u32_e32 v18, vcc, v20, v18, vcc
.LBB281_64:
	s_or_b64 exec, exec, s[14:15]
	s_waitcnt lgkmcnt(0)
	v_mov_b32_e32 v20, 0x80
	v_lshl_or_b32 v55, v42, 2, v20
	ds_bpermute_b32 v16, v55, v16
	ds_bpermute_b32 v20, v55, v18
	v_add_u32_e32 v56, 32, v45
	v_mov_b32_e32 v28, 0
	v_mov_b32_e32 v57, 2
	s_waitcnt lgkmcnt(1)
	v_add_co_u32_e32 v16, vcc, v17, v16
	v_addc_co_u32_e32 v31, vcc, 0, v18, vcc
	v_add_co_u32_e32 v16, vcc, 0, v16
	s_waitcnt lgkmcnt(0)
	v_addc_co_u32_e32 v20, vcc, v31, v20, vcc
	v_cmp_gt_u32_e32 vcc, v56, v15
	v_cndmask_b32_e32 v18, v20, v18, vcc
	v_cndmask_b32_e32 v17, v16, v17, vcc
	s_branch .LBB281_67
.LBB281_65:                             ;   in Loop: Header=BB281_67 Depth=1
	s_or_b64 exec, exec, s[14:15]
	ds_bpermute_b32 v31, v55, v31
	s_waitcnt lgkmcnt(1)
	ds_bpermute_b32 v32, v55, v18
	v_subrev_u32_e32 v27, 64, v27
	s_mov_b64 s[14:15], 0
	s_waitcnt lgkmcnt(1)
	v_add_co_u32_e32 v31, vcc, v17, v31
	v_addc_co_u32_e32 v58, vcc, 0, v18, vcc
	v_add_co_u32_e32 v31, vcc, 0, v31
	s_waitcnt lgkmcnt(0)
	v_addc_co_u32_e32 v32, vcc, v58, v32, vcc
	v_cmp_gt_u32_e32 vcc, v56, v20
	v_cndmask_b32_e32 v17, v31, v17, vcc
	v_cndmask_b32_e32 v18, v32, v18, vcc
	v_add_co_u32_e32 v17, vcc, v17, v15
	v_addc_co_u32_e32 v18, vcc, v18, v16, vcc
.LBB281_66:                             ;   in Loop: Header=BB281_67 Depth=1
	s_and_b64 vcc, exec, s[14:15]
	s_cbranch_vccnz .LBB281_83
.LBB281_67:                             ; =>This Loop Header: Depth=1
                                        ;     Child Loop BB281_70 Depth 2
	v_mov_b32_e32 v15, v17
	v_cmp_ne_u16_sdwa s[14:15], v19, v57 src0_sel:BYTE_0 src1_sel:DWORD
	v_mov_b32_e32 v16, v18
	s_cmp_lg_u64 s[14:15], exec
	s_mov_b64 s[14:15], -1
                                        ; implicit-def: $vgpr17_vgpr18
                                        ; implicit-def: $vgpr19
	s_cbranch_scc1 .LBB281_66
; %bb.68:                               ;   in Loop: Header=BB281_67 Depth=1
	v_lshlrev_b64 v[17:18], 4, v[27:28]
	v_mov_b32_e32 v19, s21
	v_add_co_u32_e32 v31, vcc, s20, v17
	v_addc_co_u32_e32 v32, vcc, v19, v18, vcc
	;;#ASMSTART
	global_load_dwordx4 v[17:20], v[31:32] off glc	
s_waitcnt vmcnt(0)
	;;#ASMEND
	v_cmp_eq_u16_sdwa s[22:23], v19, v28 src0_sel:BYTE_0 src1_sel:DWORD
	s_and_saveexec_b64 s[14:15], s[22:23]
	s_cbranch_execz .LBB281_72
; %bb.69:                               ;   in Loop: Header=BB281_67 Depth=1
	s_mov_b64 s[22:23], 0
.LBB281_70:                             ;   Parent Loop BB281_67 Depth=1
                                        ; =>  This Inner Loop Header: Depth=2
	;;#ASMSTART
	global_load_dwordx4 v[17:20], v[31:32] off glc	
s_waitcnt vmcnt(0)
	;;#ASMEND
	v_cmp_ne_u16_sdwa s[26:27], v19, v28 src0_sel:BYTE_0 src1_sel:DWORD
	s_or_b64 s[22:23], s[26:27], s[22:23]
	s_andn2_b64 exec, exec, s[22:23]
	s_cbranch_execnz .LBB281_70
; %bb.71:                               ;   in Loop: Header=BB281_67 Depth=1
	s_or_b64 exec, exec, s[22:23]
.LBB281_72:                             ;   in Loop: Header=BB281_67 Depth=1
	s_or_b64 exec, exec, s[14:15]
	v_cmp_eq_u16_sdwa s[14:15], v19, v57 src0_sel:BYTE_0 src1_sel:DWORD
	v_and_b32_e32 v20, s15, v30
	v_or_b32_e32 v20, 0x80000000, v20
	ds_bpermute_b32 v58, v46, v17
	ds_bpermute_b32 v32, v46, v18
	v_and_b32_e32 v31, s14, v29
	v_ffbl_b32_e32 v20, v20
	v_add_u32_e32 v20, 32, v20
	v_ffbl_b32_e32 v31, v31
	v_min_u32_e32 v20, v31, v20
	v_cmp_lt_u32_e32 vcc, v45, v20
	v_mov_b32_e32 v31, v17
	s_and_saveexec_b64 s[14:15], vcc
	s_cbranch_execz .LBB281_74
; %bb.73:                               ;   in Loop: Header=BB281_67 Depth=1
	s_waitcnt lgkmcnt(1)
	v_add_co_u32_e32 v31, vcc, v17, v58
	v_addc_co_u32_e32 v18, vcc, 0, v18, vcc
	v_add_co_u32_e32 v17, vcc, 0, v31
	s_waitcnt lgkmcnt(0)
	v_addc_co_u32_e32 v18, vcc, v32, v18, vcc
.LBB281_74:                             ;   in Loop: Header=BB281_67 Depth=1
	s_or_b64 exec, exec, s[14:15]
	s_waitcnt lgkmcnt(1)
	ds_bpermute_b32 v58, v47, v31
	s_waitcnt lgkmcnt(1)
	ds_bpermute_b32 v32, v47, v18
	v_cmp_le_u32_e32 vcc, v48, v20
	s_and_saveexec_b64 s[14:15], vcc
	s_cbranch_execz .LBB281_76
; %bb.75:                               ;   in Loop: Header=BB281_67 Depth=1
	s_waitcnt lgkmcnt(1)
	v_add_co_u32_e32 v31, vcc, v17, v58
	v_addc_co_u32_e32 v18, vcc, 0, v18, vcc
	v_add_co_u32_e32 v17, vcc, 0, v31
	s_waitcnt lgkmcnt(0)
	v_addc_co_u32_e32 v18, vcc, v32, v18, vcc
.LBB281_76:                             ;   in Loop: Header=BB281_67 Depth=1
	s_or_b64 exec, exec, s[14:15]
	s_waitcnt lgkmcnt(1)
	ds_bpermute_b32 v58, v49, v31
	s_waitcnt lgkmcnt(1)
	ds_bpermute_b32 v32, v49, v18
	v_cmp_le_u32_e32 vcc, v50, v20
	;; [unrolled: 16-line block ×4, first 2 shown]
	s_and_saveexec_b64 s[14:15], vcc
	s_cbranch_execz .LBB281_65
; %bb.81:                               ;   in Loop: Header=BB281_67 Depth=1
	s_waitcnt lgkmcnt(1)
	v_add_co_u32_e32 v31, vcc, v17, v58
	v_addc_co_u32_e32 v18, vcc, 0, v18, vcc
	v_add_co_u32_e32 v17, vcc, 0, v31
	s_waitcnt lgkmcnt(0)
	v_addc_co_u32_e32 v18, vcc, v32, v18, vcc
	s_branch .LBB281_65
.LBB281_82:
                                        ; implicit-def: $vgpr19_vgpr20
                                        ; implicit-def: $vgpr17_vgpr18
                                        ; implicit-def: $vgpr25_vgpr26
                                        ; implicit-def: $vgpr27_vgpr28
                                        ; implicit-def: $vgpr29_vgpr30
                                        ; implicit-def: $vgpr31_vgpr32
                                        ; implicit-def: $vgpr33_vgpr34
                                        ; implicit-def: $vgpr15_vgpr16
	s_cbranch_execnz .LBB281_88
	s_branch .LBB281_109
.LBB281_83:
	s_and_saveexec_b64 s[14:15], s[4:5]
	s_cbranch_execz .LBB281_85
; %bb.84:
	s_add_i32 s22, s24, 64
	s_mov_b32 s23, 0
	s_lshl_b64 s[22:23], s[22:23], 4
	s_add_u32 s22, s20, s22
	s_addc_u32 s23, s21, s23
	v_add_co_u32_e32 v17, vcc, v15, v13
	v_mov_b32_e32 v28, s23
	v_addc_co_u32_e32 v18, vcc, v16, v14, vcc
	v_mov_b32_e32 v19, 2
	v_mov_b32_e32 v20, 0
	v_mov_b32_e32 v27, s22
	;;#ASMSTART
	global_store_dwordx4 v[27:28], v[17:20] off	
s_waitcnt vmcnt(0)
	;;#ASMEND
	ds_write_b128 v20, v[13:16] offset:14336
.LBB281_85:
	s_or_b64 exec, exec, s[14:15]
	s_and_b64 exec, exec, s[0:1]
; %bb.86:
	v_mov_b32_e32 v13, 0
	ds_write_b64 v13, v[15:16] offset:24
.LBB281_87:
	s_or_b64 exec, exec, s[6:7]
	v_mov_b32_e32 v16, 0
	s_waitcnt lgkmcnt(0)
	s_barrier
	ds_read_b64 v[13:14], v16 offset:24
	v_cndmask_b32_e64 v15, v34, v25, s[4:5]
	v_cndmask_b32_e64 v17, v33, v26, s[4:5]
	;; [unrolled: 1-line block ×4, first 2 shown]
	s_waitcnt lgkmcnt(0)
	v_add_co_u32_e32 v33, vcc, v13, v15
	v_addc_co_u32_e32 v34, vcc, v14, v17, vcc
	v_add_co_u32_e32 v31, vcc, v33, v41
	v_addc_co_u32_e32 v32, vcc, 0, v34, vcc
	;; [unrolled: 2-line block ×5, first 2 shown]
	s_barrier
	ds_read_b128 v[13:16], v16 offset:14336
	v_add_co_u32_e32 v17, vcc, v25, v37
	v_addc_co_u32_e32 v18, vcc, 0, v26, vcc
	v_add_co_u32_e32 v19, vcc, v17, v36
	v_addc_co_u32_e32 v20, vcc, 0, v18, vcc
	s_branch .LBB281_109
.LBB281_88:
	s_waitcnt lgkmcnt(0)
	v_mov_b32_e32 v14, 0
	v_mov_b32_dpp v16, v23 row_shr:1 row_mask:0xf bank_mask:0xf
	v_mov_b32_e32 v15, v23
	v_mov_b32_dpp v13, v14 row_shr:1 row_mask:0xf bank_mask:0xf
	s_and_saveexec_b64 s[4:5], s[2:3]
; %bb.89:
	v_add_co_u32_e32 v15, vcc, v23, v16
	v_addc_co_u32_e32 v14, vcc, 0, v24, vcc
	v_add_co_u32_e32 v23, vcc, 0, v15
	v_addc_co_u32_e32 v24, vcc, v13, v14, vcc
	v_mov_b32_e32 v14, v24
; %bb.90:
	s_or_b64 exec, exec, s[4:5]
	v_mov_b32_dpp v13, v15 row_shr:2 row_mask:0xf bank_mask:0xf
	v_mov_b32_dpp v16, v14 row_shr:2 row_mask:0xf bank_mask:0xf
	v_cmp_lt_u32_e32 vcc, 1, v44
	s_and_saveexec_b64 s[2:3], vcc
; %bb.91:
	v_add_co_u32_e32 v15, vcc, v23, v13
	v_addc_co_u32_e32 v14, vcc, 0, v24, vcc
	v_add_co_u32_e32 v13, vcc, 0, v15
	v_addc_co_u32_e32 v14, vcc, v16, v14, vcc
	v_mov_b32_e32 v24, v14
	v_mov_b32_e32 v23, v13
; %bb.92:
	s_or_b64 exec, exec, s[2:3]
	v_mov_b32_dpp v13, v15 row_shr:4 row_mask:0xf bank_mask:0xf
	v_mov_b32_dpp v16, v14 row_shr:4 row_mask:0xf bank_mask:0xf
	v_cmp_lt_u32_e32 vcc, 3, v44
	s_and_saveexec_b64 s[2:3], vcc
; %bb.93:
	v_add_co_u32_e32 v15, vcc, v23, v13
	v_addc_co_u32_e32 v14, vcc, 0, v24, vcc
	v_add_co_u32_e32 v13, vcc, 0, v15
	v_addc_co_u32_e32 v14, vcc, v16, v14, vcc
	v_mov_b32_e32 v24, v14
	;; [unrolled: 13-line block ×3, first 2 shown]
	v_mov_b32_e32 v23, v13
; %bb.96:
	s_or_b64 exec, exec, s[2:3]
	v_and_b32_e32 v17, 16, v42
	v_mov_b32_dpp v16, v15 row_bcast:15 row_mask:0xf bank_mask:0xf
	v_mov_b32_dpp v13, v14 row_bcast:15 row_mask:0xf bank_mask:0xf
	v_cmp_ne_u32_e32 vcc, 0, v17
	s_and_saveexec_b64 s[2:3], vcc
; %bb.97:
	v_add_co_u32_e32 v15, vcc, v23, v16
	v_addc_co_u32_e32 v14, vcc, 0, v24, vcc
	v_add_co_u32_e32 v23, vcc, 0, v15
	v_addc_co_u32_e32 v24, vcc, v13, v14, vcc
	v_mov_b32_e32 v14, v24
; %bb.98:
	s_or_b64 exec, exec, s[2:3]
	v_mov_b32_dpp v13, v15 row_bcast:31 row_mask:0xf bank_mask:0xf
	v_add_co_u32_e32 v13, vcc, v23, v13
	v_addc_co_u32_e32 v15, vcc, 0, v24, vcc
	v_mov_b32_dpp v14, v14 row_bcast:31 row_mask:0xf bank_mask:0xf
	v_add_co_u32_e32 v13, vcc, 0, v13
	v_addc_co_u32_e32 v14, vcc, v15, v14, vcc
	v_cmp_lt_u32_e32 vcc, 31, v42
	v_or_b32_e32 v15, 63, v0
	v_cndmask_b32_e32 v14, v24, v14, vcc
	v_cndmask_b32_e32 v13, v23, v13, vcc
	v_lshrrev_b32_e32 v19, 6, v0
	v_cmp_eq_u32_e32 vcc, v0, v15
	s_and_saveexec_b64 s[2:3], vcc
; %bb.99:
	v_lshlrev_b32_e32 v15, 3, v19
	ds_write_b64 v15, v[13:14]
; %bb.100:
	s_or_b64 exec, exec, s[2:3]
	v_cmp_gt_u32_e32 vcc, 4, v0
	s_waitcnt lgkmcnt(0)
	s_barrier
	s_and_saveexec_b64 s[2:3], vcc
	s_cbranch_execz .LBB281_104
; %bb.101:
	v_add_u32_e32 v17, v43, v0
	ds_read_b64 v[15:16], v17
	v_and_b32_e32 v18, 3, v42
	v_cmp_ne_u32_e32 vcc, 0, v18
	s_waitcnt lgkmcnt(0)
	v_mov_b32_dpp v24, v15 row_shr:1 row_mask:0xf bank_mask:0xf
	v_mov_b32_dpp v23, v16 row_shr:1 row_mask:0xf bank_mask:0xf
	v_mov_b32_e32 v20, v15
	s_and_saveexec_b64 s[4:5], vcc
; %bb.102:
	v_add_co_u32_e32 v20, vcc, v15, v24
	v_addc_co_u32_e32 v16, vcc, 0, v16, vcc
	v_add_co_u32_e32 v15, vcc, 0, v20
	v_addc_co_u32_e32 v16, vcc, v23, v16, vcc
; %bb.103:
	s_or_b64 exec, exec, s[4:5]
	v_mov_b32_dpp v20, v20 row_shr:2 row_mask:0xf bank_mask:0xf
	v_add_co_u32_e32 v20, vcc, v15, v20
	v_addc_co_u32_e32 v24, vcc, 0, v16, vcc
	v_mov_b32_dpp v23, v16 row_shr:2 row_mask:0xf bank_mask:0xf
	v_add_co_u32_e32 v20, vcc, 0, v20
	v_addc_co_u32_e32 v23, vcc, v24, v23, vcc
	v_cmp_lt_u32_e32 vcc, 1, v18
	v_cndmask_b32_e32 v16, v16, v23, vcc
	v_cndmask_b32_e32 v15, v15, v20, vcc
	ds_write_b64 v17, v[15:16]
.LBB281_104:
	s_or_b64 exec, exec, s[2:3]
	v_mov_b32_e32 v17, 0
	v_mov_b32_e32 v18, 0
	v_cmp_lt_u32_e32 vcc, 63, v0
	s_waitcnt lgkmcnt(0)
	s_barrier
	s_and_saveexec_b64 s[2:3], vcc
; %bb.105:
	v_lshl_add_u32 v15, v19, 3, -8
	ds_read_b64 v[17:18], v15
; %bb.106:
	s_or_b64 exec, exec, s[2:3]
	s_waitcnt lgkmcnt(0)
	v_add_co_u32_e32 v13, vcc, v17, v13
	v_addc_co_u32_e32 v14, vcc, v18, v14, vcc
	v_subrev_co_u32_e32 v15, vcc, 1, v42
	v_and_b32_e32 v16, 64, v42
	v_cmp_lt_i32_e64 s[2:3], v15, v16
	v_cndmask_b32_e64 v15, v15, v42, s[2:3]
	v_lshlrev_b32_e32 v15, 2, v15
	v_mov_b32_e32 v16, 0
	ds_bpermute_b32 v19, v15, v13
	ds_bpermute_b32 v20, v15, v14
	ds_read_b64 v[13:14], v16 offset:24
	s_and_saveexec_b64 s[2:3], s[0:1]
	s_cbranch_execz .LBB281_108
; %bb.107:
	s_add_u32 s4, s20, 0x400
	s_addc_u32 s5, s21, 0
	v_mov_b32_e32 v24, s5
	v_mov_b32_e32 v15, 2
	;; [unrolled: 1-line block ×3, first 2 shown]
	s_waitcnt lgkmcnt(0)
	;;#ASMSTART
	global_store_dwordx4 v[23:24], v[13:16] off	
s_waitcnt vmcnt(0)
	;;#ASMEND
.LBB281_108:
	s_or_b64 exec, exec, s[2:3]
	s_waitcnt lgkmcnt(2)
	v_cndmask_b32_e32 v15, v19, v17, vcc
	s_waitcnt lgkmcnt(1)
	v_cndmask_b32_e32 v16, v20, v18, vcc
	v_cndmask_b32_e64 v33, v15, 0, s[0:1]
	v_cndmask_b32_e64 v34, v16, 0, s[0:1]
	v_add_co_u32_e32 v31, vcc, v33, v41
	v_addc_co_u32_e32 v32, vcc, 0, v34, vcc
	v_add_co_u32_e32 v29, vcc, v31, v40
	v_addc_co_u32_e32 v30, vcc, 0, v32, vcc
	;; [unrolled: 2-line block ×5, first 2 shown]
	v_add_co_u32_e32 v19, vcc, v17, v36
	v_mov_b32_e32 v15, 0
	v_addc_co_u32_e32 v20, vcc, 0, v18, vcc
	s_waitcnt lgkmcnt(0)
	s_barrier
	v_mov_b32_e32 v16, 0
.LBB281_109:
	s_mov_b64 s[2:3], 0x101
	s_waitcnt lgkmcnt(0)
	v_cmp_gt_u64_e32 vcc, s[2:3], v[13:14]
	s_mov_b64 s[4:5], -1
	v_cmp_eq_u32_e64 s[2:3], 1, v41
	s_cbranch_vccnz .LBB281_113
; %bb.110:
	s_and_b64 vcc, exec, s[4:5]
	s_cbranch_vccnz .LBB281_128
.LBB281_111:
	s_and_b64 s[0:1], s[0:1], s[12:13]
	s_and_saveexec_b64 s[2:3], s[0:1]
	s_cbranch_execnz .LBB281_139
.LBB281_112:
	s_endpgm
.LBB281_113:
	v_add_co_u32_e32 v23, vcc, v15, v13
	v_addc_co_u32_e32 v24, vcc, v16, v14, vcc
	v_cmp_lt_u64_e32 vcc, v[33:34], v[23:24]
	s_or_b64 s[4:5], s[18:19], vcc
	s_and_b64 s[4:5], s[4:5], s[2:3]
	s_and_saveexec_b64 s[2:3], s[4:5]
	s_cbranch_execz .LBB281_115
; %bb.114:
	s_lshl_b64 s[4:5], s[10:11], 3
	s_add_u32 s4, s16, s4
	v_lshlrev_b64 v[42:43], 3, v[33:34]
	s_addc_u32 s5, s17, s5
	v_mov_b32_e32 v34, s5
	v_add_co_u32_e32 v42, vcc, s4, v42
	v_addc_co_u32_e32 v43, vcc, v34, v43, vcc
	global_store_dwordx2 v[42:43], v[9:10], off
.LBB281_115:
	s_or_b64 exec, exec, s[2:3]
	v_cmp_lt_u64_e32 vcc, v[31:32], v[23:24]
	s_or_b64 s[2:3], s[18:19], vcc
	v_cmp_eq_u32_e32 vcc, 1, v40
	s_and_b64 s[4:5], s[2:3], vcc
	s_and_saveexec_b64 s[2:3], s[4:5]
	s_cbranch_execz .LBB281_117
; %bb.116:
	s_lshl_b64 s[4:5], s[10:11], 3
	s_add_u32 s4, s16, s4
	v_lshlrev_b64 v[42:43], 3, v[31:32]
	s_addc_u32 s5, s17, s5
	v_mov_b32_e32 v32, s5
	v_add_co_u32_e32 v42, vcc, s4, v42
	v_addc_co_u32_e32 v43, vcc, v32, v43, vcc
	global_store_dwordx2 v[42:43], v[11:12], off
.LBB281_117:
	s_or_b64 exec, exec, s[2:3]
	v_cmp_lt_u64_e32 vcc, v[29:30], v[23:24]
	s_or_b64 s[2:3], s[18:19], vcc
	v_cmp_eq_u32_e32 vcc, 1, v39
	s_and_b64 s[4:5], s[2:3], vcc
	;; [unrolled: 17-line block ×6, first 2 shown]
	s_and_saveexec_b64 s[2:3], s[4:5]
	s_cbranch_execz .LBB281_127
; %bb.126:
	s_lshl_b64 s[4:5], s[10:11], 3
	s_add_u32 s4, s16, s4
	v_lshlrev_b64 v[23:24], 3, v[19:20]
	s_addc_u32 s5, s17, s5
	v_mov_b32_e32 v18, s5
	v_add_co_u32_e32 v23, vcc, s4, v23
	v_addc_co_u32_e32 v24, vcc, v18, v24, vcc
	global_store_dwordx2 v[23:24], v[21:22], off
.LBB281_127:
	s_or_b64 exec, exec, s[2:3]
	s_branch .LBB281_111
.LBB281_128:
	v_cmp_eq_u32_e32 vcc, 1, v41
	s_and_saveexec_b64 s[2:3], vcc
	s_cbranch_execnz .LBB281_140
; %bb.129:
	s_or_b64 exec, exec, s[2:3]
	v_cmp_eq_u32_e32 vcc, 1, v40
	s_and_saveexec_b64 s[2:3], vcc
	s_cbranch_execnz .LBB281_141
.LBB281_130:
	s_or_b64 exec, exec, s[2:3]
	v_cmp_eq_u32_e32 vcc, 1, v39
	s_and_saveexec_b64 s[2:3], vcc
	s_cbranch_execnz .LBB281_142
.LBB281_131:
	s_or_b64 exec, exec, s[2:3]
	v_cmp_eq_u32_e32 vcc, 1, v38
	s_and_saveexec_b64 s[2:3], vcc
	s_cbranch_execnz .LBB281_143
.LBB281_132:
	s_or_b64 exec, exec, s[2:3]
	v_cmp_eq_u32_e32 vcc, 1, v37
	s_and_saveexec_b64 s[2:3], vcc
	s_cbranch_execnz .LBB281_144
.LBB281_133:
	s_or_b64 exec, exec, s[2:3]
	v_cmp_eq_u32_e32 vcc, 1, v36
	s_and_saveexec_b64 s[2:3], vcc
	s_cbranch_execnz .LBB281_145
.LBB281_134:
	s_or_b64 exec, exec, s[2:3]
	v_cmp_eq_u32_e32 vcc, 1, v35
	s_and_saveexec_b64 s[2:3], vcc
.LBB281_135:
	v_sub_u32_e32 v1, v19, v15
	v_lshlrev_b32_e32 v1, 3, v1
	ds_write_b64 v1, v[21:22]
.LBB281_136:
	s_or_b64 exec, exec, s[2:3]
	v_lshlrev_b64 v[4:5], 3, v[15:16]
	v_mov_b32_e32 v6, s17
	v_add_co_u32_e32 v4, vcc, s16, v4
	v_mov_b32_e32 v1, 0
	v_addc_co_u32_e32 v5, vcc, v6, v5, vcc
	s_lshl_b64 s[2:3], s[10:11], 3
	v_mov_b32_e32 v3, v1
	v_mov_b32_e32 v6, s3
	v_add_co_u32_e32 v4, vcc, s2, v4
	v_mov_b32_e32 v2, v0
	v_addc_co_u32_e32 v5, vcc, v5, v6, vcc
	v_or_b32_e32 v0, 0x100, v0
	s_mov_b64 s[4:5], 0
	s_waitcnt vmcnt(0) lgkmcnt(0)
	s_barrier
.LBB281_137:                            ; =>This Inner Loop Header: Depth=1
	v_lshlrev_b32_e32 v8, 3, v2
	ds_read_b64 v[8:9], v8
	v_lshlrev_b64 v[6:7], 3, v[2:3]
	v_cmp_le_u64_e32 vcc, v[13:14], v[0:1]
	v_mov_b32_e32 v3, v1
	v_add_co_u32_e64 v6, s[2:3], v4, v6
	v_mov_b32_e32 v2, v0
	v_add_u32_e32 v0, 0x100, v0
	v_addc_co_u32_e64 v7, s[2:3], v5, v7, s[2:3]
	s_or_b64 s[4:5], vcc, s[4:5]
	s_waitcnt lgkmcnt(0)
	global_store_dwordx2 v[6:7], v[8:9], off
	s_andn2_b64 exec, exec, s[4:5]
	s_cbranch_execnz .LBB281_137
; %bb.138:
	s_or_b64 exec, exec, s[4:5]
	s_and_b64 s[0:1], s[0:1], s[12:13]
	s_and_saveexec_b64 s[2:3], s[0:1]
	s_cbranch_execz .LBB281_112
.LBB281_139:
	v_add_co_u32_e32 v0, vcc, v15, v13
	v_addc_co_u32_e32 v1, vcc, v16, v14, vcc
	v_mov_b32_e32 v3, s11
	v_add_co_u32_e32 v0, vcc, s10, v0
	v_mov_b32_e32 v2, 0
	v_addc_co_u32_e32 v1, vcc, v1, v3, vcc
	global_store_dwordx2 v2, v[0:1], s[8:9]
	s_endpgm
.LBB281_140:
	v_sub_u32_e32 v18, v33, v15
	v_lshlrev_b32_e32 v18, 3, v18
	ds_write_b64 v18, v[9:10]
	s_or_b64 exec, exec, s[2:3]
	v_cmp_eq_u32_e32 vcc, 1, v40
	s_and_saveexec_b64 s[2:3], vcc
	s_cbranch_execz .LBB281_130
.LBB281_141:
	v_sub_u32_e32 v9, v31, v15
	v_lshlrev_b32_e32 v9, 3, v9
	ds_write_b64 v9, v[11:12]
	s_or_b64 exec, exec, s[2:3]
	v_cmp_eq_u32_e32 vcc, 1, v39
	s_and_saveexec_b64 s[2:3], vcc
	s_cbranch_execz .LBB281_131
.LBB281_142:
	v_sub_u32_e32 v9, v29, v15
	v_lshlrev_b32_e32 v9, 3, v9
	ds_write_b64 v9, v[5:6]
	s_or_b64 exec, exec, s[2:3]
	v_cmp_eq_u32_e32 vcc, 1, v38
	s_and_saveexec_b64 s[2:3], vcc
	s_cbranch_execz .LBB281_132
.LBB281_143:
	v_sub_u32_e32 v5, v27, v15
	v_lshlrev_b32_e32 v5, 3, v5
	ds_write_b64 v5, v[7:8]
	s_or_b64 exec, exec, s[2:3]
	v_cmp_eq_u32_e32 vcc, 1, v37
	s_and_saveexec_b64 s[2:3], vcc
	s_cbranch_execz .LBB281_133
.LBB281_144:
	v_sub_u32_e32 v5, v25, v15
	v_lshlrev_b32_e32 v5, 3, v5
	ds_write_b64 v5, v[1:2]
	s_or_b64 exec, exec, s[2:3]
	v_cmp_eq_u32_e32 vcc, 1, v36
	s_and_saveexec_b64 s[2:3], vcc
	s_cbranch_execz .LBB281_134
.LBB281_145:
	v_sub_u32_e32 v1, v17, v15
	v_lshlrev_b32_e32 v1, 3, v1
	ds_write_b64 v1, v[3:4]
	s_or_b64 exec, exec, s[2:3]
	v_cmp_eq_u32_e32 vcc, 1, v35
	s_and_saveexec_b64 s[2:3], vcc
	s_cbranch_execnz .LBB281_135
	s_branch .LBB281_136
	.section	.rodata,"a",@progbits
	.p2align	6, 0x0
	.amdhsa_kernel _ZN7rocprim17ROCPRIM_400000_NS6detail17trampoline_kernelINS0_14default_configENS1_25partition_config_selectorILNS1_17partition_subalgoE5ElNS0_10empty_typeEbEEZZNS1_14partition_implILS5_5ELb0ES3_mN6hipcub16HIPCUB_304000_NS21CountingInputIteratorIllEEPS6_NSA_22TransformInputIteratorIb7NonZeroIfEPflEENS0_5tupleIJPlS6_EEENSJ_IJSD_SD_EEES6_SK_JS6_EEE10hipError_tPvRmT3_T4_T5_T6_T7_T9_mT8_P12ihipStream_tbDpT10_ENKUlT_T0_E_clISt17integral_constantIbLb0EES15_IbLb1EEEEDaS11_S12_EUlS11_E_NS1_11comp_targetILNS1_3genE2ELNS1_11target_archE906ELNS1_3gpuE6ELNS1_3repE0EEENS1_30default_config_static_selectorELNS0_4arch9wavefront6targetE1EEEvT1_
		.amdhsa_group_segment_fixed_size 14352
		.amdhsa_private_segment_fixed_size 0
		.amdhsa_kernarg_size 136
		.amdhsa_user_sgpr_count 6
		.amdhsa_user_sgpr_private_segment_buffer 1
		.amdhsa_user_sgpr_dispatch_ptr 0
		.amdhsa_user_sgpr_queue_ptr 0
		.amdhsa_user_sgpr_kernarg_segment_ptr 1
		.amdhsa_user_sgpr_dispatch_id 0
		.amdhsa_user_sgpr_flat_scratch_init 0
		.amdhsa_user_sgpr_private_segment_size 0
		.amdhsa_uses_dynamic_stack 0
		.amdhsa_system_sgpr_private_segment_wavefront_offset 0
		.amdhsa_system_sgpr_workgroup_id_x 1
		.amdhsa_system_sgpr_workgroup_id_y 0
		.amdhsa_system_sgpr_workgroup_id_z 0
		.amdhsa_system_sgpr_workgroup_info 0
		.amdhsa_system_vgpr_workitem_id 0
		.amdhsa_next_free_vgpr 59
		.amdhsa_next_free_sgpr 98
		.amdhsa_reserve_vcc 1
		.amdhsa_reserve_flat_scratch 0
		.amdhsa_float_round_mode_32 0
		.amdhsa_float_round_mode_16_64 0
		.amdhsa_float_denorm_mode_32 3
		.amdhsa_float_denorm_mode_16_64 3
		.amdhsa_dx10_clamp 1
		.amdhsa_ieee_mode 1
		.amdhsa_fp16_overflow 0
		.amdhsa_exception_fp_ieee_invalid_op 0
		.amdhsa_exception_fp_denorm_src 0
		.amdhsa_exception_fp_ieee_div_zero 0
		.amdhsa_exception_fp_ieee_overflow 0
		.amdhsa_exception_fp_ieee_underflow 0
		.amdhsa_exception_fp_ieee_inexact 0
		.amdhsa_exception_int_div_zero 0
	.end_amdhsa_kernel
	.section	.text._ZN7rocprim17ROCPRIM_400000_NS6detail17trampoline_kernelINS0_14default_configENS1_25partition_config_selectorILNS1_17partition_subalgoE5ElNS0_10empty_typeEbEEZZNS1_14partition_implILS5_5ELb0ES3_mN6hipcub16HIPCUB_304000_NS21CountingInputIteratorIllEEPS6_NSA_22TransformInputIteratorIb7NonZeroIfEPflEENS0_5tupleIJPlS6_EEENSJ_IJSD_SD_EEES6_SK_JS6_EEE10hipError_tPvRmT3_T4_T5_T6_T7_T9_mT8_P12ihipStream_tbDpT10_ENKUlT_T0_E_clISt17integral_constantIbLb0EES15_IbLb1EEEEDaS11_S12_EUlS11_E_NS1_11comp_targetILNS1_3genE2ELNS1_11target_archE906ELNS1_3gpuE6ELNS1_3repE0EEENS1_30default_config_static_selectorELNS0_4arch9wavefront6targetE1EEEvT1_,"axG",@progbits,_ZN7rocprim17ROCPRIM_400000_NS6detail17trampoline_kernelINS0_14default_configENS1_25partition_config_selectorILNS1_17partition_subalgoE5ElNS0_10empty_typeEbEEZZNS1_14partition_implILS5_5ELb0ES3_mN6hipcub16HIPCUB_304000_NS21CountingInputIteratorIllEEPS6_NSA_22TransformInputIteratorIb7NonZeroIfEPflEENS0_5tupleIJPlS6_EEENSJ_IJSD_SD_EEES6_SK_JS6_EEE10hipError_tPvRmT3_T4_T5_T6_T7_T9_mT8_P12ihipStream_tbDpT10_ENKUlT_T0_E_clISt17integral_constantIbLb0EES15_IbLb1EEEEDaS11_S12_EUlS11_E_NS1_11comp_targetILNS1_3genE2ELNS1_11target_archE906ELNS1_3gpuE6ELNS1_3repE0EEENS1_30default_config_static_selectorELNS0_4arch9wavefront6targetE1EEEvT1_,comdat
.Lfunc_end281:
	.size	_ZN7rocprim17ROCPRIM_400000_NS6detail17trampoline_kernelINS0_14default_configENS1_25partition_config_selectorILNS1_17partition_subalgoE5ElNS0_10empty_typeEbEEZZNS1_14partition_implILS5_5ELb0ES3_mN6hipcub16HIPCUB_304000_NS21CountingInputIteratorIllEEPS6_NSA_22TransformInputIteratorIb7NonZeroIfEPflEENS0_5tupleIJPlS6_EEENSJ_IJSD_SD_EEES6_SK_JS6_EEE10hipError_tPvRmT3_T4_T5_T6_T7_T9_mT8_P12ihipStream_tbDpT10_ENKUlT_T0_E_clISt17integral_constantIbLb0EES15_IbLb1EEEEDaS11_S12_EUlS11_E_NS1_11comp_targetILNS1_3genE2ELNS1_11target_archE906ELNS1_3gpuE6ELNS1_3repE0EEENS1_30default_config_static_selectorELNS0_4arch9wavefront6targetE1EEEvT1_, .Lfunc_end281-_ZN7rocprim17ROCPRIM_400000_NS6detail17trampoline_kernelINS0_14default_configENS1_25partition_config_selectorILNS1_17partition_subalgoE5ElNS0_10empty_typeEbEEZZNS1_14partition_implILS5_5ELb0ES3_mN6hipcub16HIPCUB_304000_NS21CountingInputIteratorIllEEPS6_NSA_22TransformInputIteratorIb7NonZeroIfEPflEENS0_5tupleIJPlS6_EEENSJ_IJSD_SD_EEES6_SK_JS6_EEE10hipError_tPvRmT3_T4_T5_T6_T7_T9_mT8_P12ihipStream_tbDpT10_ENKUlT_T0_E_clISt17integral_constantIbLb0EES15_IbLb1EEEEDaS11_S12_EUlS11_E_NS1_11comp_targetILNS1_3genE2ELNS1_11target_archE906ELNS1_3gpuE6ELNS1_3repE0EEENS1_30default_config_static_selectorELNS0_4arch9wavefront6targetE1EEEvT1_
                                        ; -- End function
	.set _ZN7rocprim17ROCPRIM_400000_NS6detail17trampoline_kernelINS0_14default_configENS1_25partition_config_selectorILNS1_17partition_subalgoE5ElNS0_10empty_typeEbEEZZNS1_14partition_implILS5_5ELb0ES3_mN6hipcub16HIPCUB_304000_NS21CountingInputIteratorIllEEPS6_NSA_22TransformInputIteratorIb7NonZeroIfEPflEENS0_5tupleIJPlS6_EEENSJ_IJSD_SD_EEES6_SK_JS6_EEE10hipError_tPvRmT3_T4_T5_T6_T7_T9_mT8_P12ihipStream_tbDpT10_ENKUlT_T0_E_clISt17integral_constantIbLb0EES15_IbLb1EEEEDaS11_S12_EUlS11_E_NS1_11comp_targetILNS1_3genE2ELNS1_11target_archE906ELNS1_3gpuE6ELNS1_3repE0EEENS1_30default_config_static_selectorELNS0_4arch9wavefront6targetE1EEEvT1_.num_vgpr, 59
	.set _ZN7rocprim17ROCPRIM_400000_NS6detail17trampoline_kernelINS0_14default_configENS1_25partition_config_selectorILNS1_17partition_subalgoE5ElNS0_10empty_typeEbEEZZNS1_14partition_implILS5_5ELb0ES3_mN6hipcub16HIPCUB_304000_NS21CountingInputIteratorIllEEPS6_NSA_22TransformInputIteratorIb7NonZeroIfEPflEENS0_5tupleIJPlS6_EEENSJ_IJSD_SD_EEES6_SK_JS6_EEE10hipError_tPvRmT3_T4_T5_T6_T7_T9_mT8_P12ihipStream_tbDpT10_ENKUlT_T0_E_clISt17integral_constantIbLb0EES15_IbLb1EEEEDaS11_S12_EUlS11_E_NS1_11comp_targetILNS1_3genE2ELNS1_11target_archE906ELNS1_3gpuE6ELNS1_3repE0EEENS1_30default_config_static_selectorELNS0_4arch9wavefront6targetE1EEEvT1_.num_agpr, 0
	.set _ZN7rocprim17ROCPRIM_400000_NS6detail17trampoline_kernelINS0_14default_configENS1_25partition_config_selectorILNS1_17partition_subalgoE5ElNS0_10empty_typeEbEEZZNS1_14partition_implILS5_5ELb0ES3_mN6hipcub16HIPCUB_304000_NS21CountingInputIteratorIllEEPS6_NSA_22TransformInputIteratorIb7NonZeroIfEPflEENS0_5tupleIJPlS6_EEENSJ_IJSD_SD_EEES6_SK_JS6_EEE10hipError_tPvRmT3_T4_T5_T6_T7_T9_mT8_P12ihipStream_tbDpT10_ENKUlT_T0_E_clISt17integral_constantIbLb0EES15_IbLb1EEEEDaS11_S12_EUlS11_E_NS1_11comp_targetILNS1_3genE2ELNS1_11target_archE906ELNS1_3gpuE6ELNS1_3repE0EEENS1_30default_config_static_selectorELNS0_4arch9wavefront6targetE1EEEvT1_.numbered_sgpr, 28
	.set _ZN7rocprim17ROCPRIM_400000_NS6detail17trampoline_kernelINS0_14default_configENS1_25partition_config_selectorILNS1_17partition_subalgoE5ElNS0_10empty_typeEbEEZZNS1_14partition_implILS5_5ELb0ES3_mN6hipcub16HIPCUB_304000_NS21CountingInputIteratorIllEEPS6_NSA_22TransformInputIteratorIb7NonZeroIfEPflEENS0_5tupleIJPlS6_EEENSJ_IJSD_SD_EEES6_SK_JS6_EEE10hipError_tPvRmT3_T4_T5_T6_T7_T9_mT8_P12ihipStream_tbDpT10_ENKUlT_T0_E_clISt17integral_constantIbLb0EES15_IbLb1EEEEDaS11_S12_EUlS11_E_NS1_11comp_targetILNS1_3genE2ELNS1_11target_archE906ELNS1_3gpuE6ELNS1_3repE0EEENS1_30default_config_static_selectorELNS0_4arch9wavefront6targetE1EEEvT1_.num_named_barrier, 0
	.set _ZN7rocprim17ROCPRIM_400000_NS6detail17trampoline_kernelINS0_14default_configENS1_25partition_config_selectorILNS1_17partition_subalgoE5ElNS0_10empty_typeEbEEZZNS1_14partition_implILS5_5ELb0ES3_mN6hipcub16HIPCUB_304000_NS21CountingInputIteratorIllEEPS6_NSA_22TransformInputIteratorIb7NonZeroIfEPflEENS0_5tupleIJPlS6_EEENSJ_IJSD_SD_EEES6_SK_JS6_EEE10hipError_tPvRmT3_T4_T5_T6_T7_T9_mT8_P12ihipStream_tbDpT10_ENKUlT_T0_E_clISt17integral_constantIbLb0EES15_IbLb1EEEEDaS11_S12_EUlS11_E_NS1_11comp_targetILNS1_3genE2ELNS1_11target_archE906ELNS1_3gpuE6ELNS1_3repE0EEENS1_30default_config_static_selectorELNS0_4arch9wavefront6targetE1EEEvT1_.private_seg_size, 0
	.set _ZN7rocprim17ROCPRIM_400000_NS6detail17trampoline_kernelINS0_14default_configENS1_25partition_config_selectorILNS1_17partition_subalgoE5ElNS0_10empty_typeEbEEZZNS1_14partition_implILS5_5ELb0ES3_mN6hipcub16HIPCUB_304000_NS21CountingInputIteratorIllEEPS6_NSA_22TransformInputIteratorIb7NonZeroIfEPflEENS0_5tupleIJPlS6_EEENSJ_IJSD_SD_EEES6_SK_JS6_EEE10hipError_tPvRmT3_T4_T5_T6_T7_T9_mT8_P12ihipStream_tbDpT10_ENKUlT_T0_E_clISt17integral_constantIbLb0EES15_IbLb1EEEEDaS11_S12_EUlS11_E_NS1_11comp_targetILNS1_3genE2ELNS1_11target_archE906ELNS1_3gpuE6ELNS1_3repE0EEENS1_30default_config_static_selectorELNS0_4arch9wavefront6targetE1EEEvT1_.uses_vcc, 1
	.set _ZN7rocprim17ROCPRIM_400000_NS6detail17trampoline_kernelINS0_14default_configENS1_25partition_config_selectorILNS1_17partition_subalgoE5ElNS0_10empty_typeEbEEZZNS1_14partition_implILS5_5ELb0ES3_mN6hipcub16HIPCUB_304000_NS21CountingInputIteratorIllEEPS6_NSA_22TransformInputIteratorIb7NonZeroIfEPflEENS0_5tupleIJPlS6_EEENSJ_IJSD_SD_EEES6_SK_JS6_EEE10hipError_tPvRmT3_T4_T5_T6_T7_T9_mT8_P12ihipStream_tbDpT10_ENKUlT_T0_E_clISt17integral_constantIbLb0EES15_IbLb1EEEEDaS11_S12_EUlS11_E_NS1_11comp_targetILNS1_3genE2ELNS1_11target_archE906ELNS1_3gpuE6ELNS1_3repE0EEENS1_30default_config_static_selectorELNS0_4arch9wavefront6targetE1EEEvT1_.uses_flat_scratch, 0
	.set _ZN7rocprim17ROCPRIM_400000_NS6detail17trampoline_kernelINS0_14default_configENS1_25partition_config_selectorILNS1_17partition_subalgoE5ElNS0_10empty_typeEbEEZZNS1_14partition_implILS5_5ELb0ES3_mN6hipcub16HIPCUB_304000_NS21CountingInputIteratorIllEEPS6_NSA_22TransformInputIteratorIb7NonZeroIfEPflEENS0_5tupleIJPlS6_EEENSJ_IJSD_SD_EEES6_SK_JS6_EEE10hipError_tPvRmT3_T4_T5_T6_T7_T9_mT8_P12ihipStream_tbDpT10_ENKUlT_T0_E_clISt17integral_constantIbLb0EES15_IbLb1EEEEDaS11_S12_EUlS11_E_NS1_11comp_targetILNS1_3genE2ELNS1_11target_archE906ELNS1_3gpuE6ELNS1_3repE0EEENS1_30default_config_static_selectorELNS0_4arch9wavefront6targetE1EEEvT1_.has_dyn_sized_stack, 0
	.set _ZN7rocprim17ROCPRIM_400000_NS6detail17trampoline_kernelINS0_14default_configENS1_25partition_config_selectorILNS1_17partition_subalgoE5ElNS0_10empty_typeEbEEZZNS1_14partition_implILS5_5ELb0ES3_mN6hipcub16HIPCUB_304000_NS21CountingInputIteratorIllEEPS6_NSA_22TransformInputIteratorIb7NonZeroIfEPflEENS0_5tupleIJPlS6_EEENSJ_IJSD_SD_EEES6_SK_JS6_EEE10hipError_tPvRmT3_T4_T5_T6_T7_T9_mT8_P12ihipStream_tbDpT10_ENKUlT_T0_E_clISt17integral_constantIbLb0EES15_IbLb1EEEEDaS11_S12_EUlS11_E_NS1_11comp_targetILNS1_3genE2ELNS1_11target_archE906ELNS1_3gpuE6ELNS1_3repE0EEENS1_30default_config_static_selectorELNS0_4arch9wavefront6targetE1EEEvT1_.has_recursion, 0
	.set _ZN7rocprim17ROCPRIM_400000_NS6detail17trampoline_kernelINS0_14default_configENS1_25partition_config_selectorILNS1_17partition_subalgoE5ElNS0_10empty_typeEbEEZZNS1_14partition_implILS5_5ELb0ES3_mN6hipcub16HIPCUB_304000_NS21CountingInputIteratorIllEEPS6_NSA_22TransformInputIteratorIb7NonZeroIfEPflEENS0_5tupleIJPlS6_EEENSJ_IJSD_SD_EEES6_SK_JS6_EEE10hipError_tPvRmT3_T4_T5_T6_T7_T9_mT8_P12ihipStream_tbDpT10_ENKUlT_T0_E_clISt17integral_constantIbLb0EES15_IbLb1EEEEDaS11_S12_EUlS11_E_NS1_11comp_targetILNS1_3genE2ELNS1_11target_archE906ELNS1_3gpuE6ELNS1_3repE0EEENS1_30default_config_static_selectorELNS0_4arch9wavefront6targetE1EEEvT1_.has_indirect_call, 0
	.section	.AMDGPU.csdata,"",@progbits
; Kernel info:
; codeLenInByte = 6052
; TotalNumSgprs: 32
; NumVgprs: 59
; ScratchSize: 0
; MemoryBound: 0
; FloatMode: 240
; IeeeMode: 1
; LDSByteSize: 14352 bytes/workgroup (compile time only)
; SGPRBlocks: 12
; VGPRBlocks: 14
; NumSGPRsForWavesPerEU: 102
; NumVGPRsForWavesPerEU: 59
; Occupancy: 4
; WaveLimiterHint : 1
; COMPUTE_PGM_RSRC2:SCRATCH_EN: 0
; COMPUTE_PGM_RSRC2:USER_SGPR: 6
; COMPUTE_PGM_RSRC2:TRAP_HANDLER: 0
; COMPUTE_PGM_RSRC2:TGID_X_EN: 1
; COMPUTE_PGM_RSRC2:TGID_Y_EN: 0
; COMPUTE_PGM_RSRC2:TGID_Z_EN: 0
; COMPUTE_PGM_RSRC2:TIDIG_COMP_CNT: 0
	.section	.text._ZN7rocprim17ROCPRIM_400000_NS6detail17trampoline_kernelINS0_14default_configENS1_25partition_config_selectorILNS1_17partition_subalgoE5ElNS0_10empty_typeEbEEZZNS1_14partition_implILS5_5ELb0ES3_mN6hipcub16HIPCUB_304000_NS21CountingInputIteratorIllEEPS6_NSA_22TransformInputIteratorIb7NonZeroIfEPflEENS0_5tupleIJPlS6_EEENSJ_IJSD_SD_EEES6_SK_JS6_EEE10hipError_tPvRmT3_T4_T5_T6_T7_T9_mT8_P12ihipStream_tbDpT10_ENKUlT_T0_E_clISt17integral_constantIbLb0EES15_IbLb1EEEEDaS11_S12_EUlS11_E_NS1_11comp_targetILNS1_3genE10ELNS1_11target_archE1200ELNS1_3gpuE4ELNS1_3repE0EEENS1_30default_config_static_selectorELNS0_4arch9wavefront6targetE1EEEvT1_,"axG",@progbits,_ZN7rocprim17ROCPRIM_400000_NS6detail17trampoline_kernelINS0_14default_configENS1_25partition_config_selectorILNS1_17partition_subalgoE5ElNS0_10empty_typeEbEEZZNS1_14partition_implILS5_5ELb0ES3_mN6hipcub16HIPCUB_304000_NS21CountingInputIteratorIllEEPS6_NSA_22TransformInputIteratorIb7NonZeroIfEPflEENS0_5tupleIJPlS6_EEENSJ_IJSD_SD_EEES6_SK_JS6_EEE10hipError_tPvRmT3_T4_T5_T6_T7_T9_mT8_P12ihipStream_tbDpT10_ENKUlT_T0_E_clISt17integral_constantIbLb0EES15_IbLb1EEEEDaS11_S12_EUlS11_E_NS1_11comp_targetILNS1_3genE10ELNS1_11target_archE1200ELNS1_3gpuE4ELNS1_3repE0EEENS1_30default_config_static_selectorELNS0_4arch9wavefront6targetE1EEEvT1_,comdat
	.protected	_ZN7rocprim17ROCPRIM_400000_NS6detail17trampoline_kernelINS0_14default_configENS1_25partition_config_selectorILNS1_17partition_subalgoE5ElNS0_10empty_typeEbEEZZNS1_14partition_implILS5_5ELb0ES3_mN6hipcub16HIPCUB_304000_NS21CountingInputIteratorIllEEPS6_NSA_22TransformInputIteratorIb7NonZeroIfEPflEENS0_5tupleIJPlS6_EEENSJ_IJSD_SD_EEES6_SK_JS6_EEE10hipError_tPvRmT3_T4_T5_T6_T7_T9_mT8_P12ihipStream_tbDpT10_ENKUlT_T0_E_clISt17integral_constantIbLb0EES15_IbLb1EEEEDaS11_S12_EUlS11_E_NS1_11comp_targetILNS1_3genE10ELNS1_11target_archE1200ELNS1_3gpuE4ELNS1_3repE0EEENS1_30default_config_static_selectorELNS0_4arch9wavefront6targetE1EEEvT1_ ; -- Begin function _ZN7rocprim17ROCPRIM_400000_NS6detail17trampoline_kernelINS0_14default_configENS1_25partition_config_selectorILNS1_17partition_subalgoE5ElNS0_10empty_typeEbEEZZNS1_14partition_implILS5_5ELb0ES3_mN6hipcub16HIPCUB_304000_NS21CountingInputIteratorIllEEPS6_NSA_22TransformInputIteratorIb7NonZeroIfEPflEENS0_5tupleIJPlS6_EEENSJ_IJSD_SD_EEES6_SK_JS6_EEE10hipError_tPvRmT3_T4_T5_T6_T7_T9_mT8_P12ihipStream_tbDpT10_ENKUlT_T0_E_clISt17integral_constantIbLb0EES15_IbLb1EEEEDaS11_S12_EUlS11_E_NS1_11comp_targetILNS1_3genE10ELNS1_11target_archE1200ELNS1_3gpuE4ELNS1_3repE0EEENS1_30default_config_static_selectorELNS0_4arch9wavefront6targetE1EEEvT1_
	.globl	_ZN7rocprim17ROCPRIM_400000_NS6detail17trampoline_kernelINS0_14default_configENS1_25partition_config_selectorILNS1_17partition_subalgoE5ElNS0_10empty_typeEbEEZZNS1_14partition_implILS5_5ELb0ES3_mN6hipcub16HIPCUB_304000_NS21CountingInputIteratorIllEEPS6_NSA_22TransformInputIteratorIb7NonZeroIfEPflEENS0_5tupleIJPlS6_EEENSJ_IJSD_SD_EEES6_SK_JS6_EEE10hipError_tPvRmT3_T4_T5_T6_T7_T9_mT8_P12ihipStream_tbDpT10_ENKUlT_T0_E_clISt17integral_constantIbLb0EES15_IbLb1EEEEDaS11_S12_EUlS11_E_NS1_11comp_targetILNS1_3genE10ELNS1_11target_archE1200ELNS1_3gpuE4ELNS1_3repE0EEENS1_30default_config_static_selectorELNS0_4arch9wavefront6targetE1EEEvT1_
	.p2align	8
	.type	_ZN7rocprim17ROCPRIM_400000_NS6detail17trampoline_kernelINS0_14default_configENS1_25partition_config_selectorILNS1_17partition_subalgoE5ElNS0_10empty_typeEbEEZZNS1_14partition_implILS5_5ELb0ES3_mN6hipcub16HIPCUB_304000_NS21CountingInputIteratorIllEEPS6_NSA_22TransformInputIteratorIb7NonZeroIfEPflEENS0_5tupleIJPlS6_EEENSJ_IJSD_SD_EEES6_SK_JS6_EEE10hipError_tPvRmT3_T4_T5_T6_T7_T9_mT8_P12ihipStream_tbDpT10_ENKUlT_T0_E_clISt17integral_constantIbLb0EES15_IbLb1EEEEDaS11_S12_EUlS11_E_NS1_11comp_targetILNS1_3genE10ELNS1_11target_archE1200ELNS1_3gpuE4ELNS1_3repE0EEENS1_30default_config_static_selectorELNS0_4arch9wavefront6targetE1EEEvT1_,@function
_ZN7rocprim17ROCPRIM_400000_NS6detail17trampoline_kernelINS0_14default_configENS1_25partition_config_selectorILNS1_17partition_subalgoE5ElNS0_10empty_typeEbEEZZNS1_14partition_implILS5_5ELb0ES3_mN6hipcub16HIPCUB_304000_NS21CountingInputIteratorIllEEPS6_NSA_22TransformInputIteratorIb7NonZeroIfEPflEENS0_5tupleIJPlS6_EEENSJ_IJSD_SD_EEES6_SK_JS6_EEE10hipError_tPvRmT3_T4_T5_T6_T7_T9_mT8_P12ihipStream_tbDpT10_ENKUlT_T0_E_clISt17integral_constantIbLb0EES15_IbLb1EEEEDaS11_S12_EUlS11_E_NS1_11comp_targetILNS1_3genE10ELNS1_11target_archE1200ELNS1_3gpuE4ELNS1_3repE0EEENS1_30default_config_static_selectorELNS0_4arch9wavefront6targetE1EEEvT1_: ; @_ZN7rocprim17ROCPRIM_400000_NS6detail17trampoline_kernelINS0_14default_configENS1_25partition_config_selectorILNS1_17partition_subalgoE5ElNS0_10empty_typeEbEEZZNS1_14partition_implILS5_5ELb0ES3_mN6hipcub16HIPCUB_304000_NS21CountingInputIteratorIllEEPS6_NSA_22TransformInputIteratorIb7NonZeroIfEPflEENS0_5tupleIJPlS6_EEENSJ_IJSD_SD_EEES6_SK_JS6_EEE10hipError_tPvRmT3_T4_T5_T6_T7_T9_mT8_P12ihipStream_tbDpT10_ENKUlT_T0_E_clISt17integral_constantIbLb0EES15_IbLb1EEEEDaS11_S12_EUlS11_E_NS1_11comp_targetILNS1_3genE10ELNS1_11target_archE1200ELNS1_3gpuE4ELNS1_3repE0EEENS1_30default_config_static_selectorELNS0_4arch9wavefront6targetE1EEEvT1_
; %bb.0:
	.section	.rodata,"a",@progbits
	.p2align	6, 0x0
	.amdhsa_kernel _ZN7rocprim17ROCPRIM_400000_NS6detail17trampoline_kernelINS0_14default_configENS1_25partition_config_selectorILNS1_17partition_subalgoE5ElNS0_10empty_typeEbEEZZNS1_14partition_implILS5_5ELb0ES3_mN6hipcub16HIPCUB_304000_NS21CountingInputIteratorIllEEPS6_NSA_22TransformInputIteratorIb7NonZeroIfEPflEENS0_5tupleIJPlS6_EEENSJ_IJSD_SD_EEES6_SK_JS6_EEE10hipError_tPvRmT3_T4_T5_T6_T7_T9_mT8_P12ihipStream_tbDpT10_ENKUlT_T0_E_clISt17integral_constantIbLb0EES15_IbLb1EEEEDaS11_S12_EUlS11_E_NS1_11comp_targetILNS1_3genE10ELNS1_11target_archE1200ELNS1_3gpuE4ELNS1_3repE0EEENS1_30default_config_static_selectorELNS0_4arch9wavefront6targetE1EEEvT1_
		.amdhsa_group_segment_fixed_size 0
		.amdhsa_private_segment_fixed_size 0
		.amdhsa_kernarg_size 136
		.amdhsa_user_sgpr_count 6
		.amdhsa_user_sgpr_private_segment_buffer 1
		.amdhsa_user_sgpr_dispatch_ptr 0
		.amdhsa_user_sgpr_queue_ptr 0
		.amdhsa_user_sgpr_kernarg_segment_ptr 1
		.amdhsa_user_sgpr_dispatch_id 0
		.amdhsa_user_sgpr_flat_scratch_init 0
		.amdhsa_user_sgpr_private_segment_size 0
		.amdhsa_uses_dynamic_stack 0
		.amdhsa_system_sgpr_private_segment_wavefront_offset 0
		.amdhsa_system_sgpr_workgroup_id_x 1
		.amdhsa_system_sgpr_workgroup_id_y 0
		.amdhsa_system_sgpr_workgroup_id_z 0
		.amdhsa_system_sgpr_workgroup_info 0
		.amdhsa_system_vgpr_workitem_id 0
		.amdhsa_next_free_vgpr 1
		.amdhsa_next_free_sgpr 0
		.amdhsa_reserve_vcc 0
		.amdhsa_reserve_flat_scratch 0
		.amdhsa_float_round_mode_32 0
		.amdhsa_float_round_mode_16_64 0
		.amdhsa_float_denorm_mode_32 3
		.amdhsa_float_denorm_mode_16_64 3
		.amdhsa_dx10_clamp 1
		.amdhsa_ieee_mode 1
		.amdhsa_fp16_overflow 0
		.amdhsa_exception_fp_ieee_invalid_op 0
		.amdhsa_exception_fp_denorm_src 0
		.amdhsa_exception_fp_ieee_div_zero 0
		.amdhsa_exception_fp_ieee_overflow 0
		.amdhsa_exception_fp_ieee_underflow 0
		.amdhsa_exception_fp_ieee_inexact 0
		.amdhsa_exception_int_div_zero 0
	.end_amdhsa_kernel
	.section	.text._ZN7rocprim17ROCPRIM_400000_NS6detail17trampoline_kernelINS0_14default_configENS1_25partition_config_selectorILNS1_17partition_subalgoE5ElNS0_10empty_typeEbEEZZNS1_14partition_implILS5_5ELb0ES3_mN6hipcub16HIPCUB_304000_NS21CountingInputIteratorIllEEPS6_NSA_22TransformInputIteratorIb7NonZeroIfEPflEENS0_5tupleIJPlS6_EEENSJ_IJSD_SD_EEES6_SK_JS6_EEE10hipError_tPvRmT3_T4_T5_T6_T7_T9_mT8_P12ihipStream_tbDpT10_ENKUlT_T0_E_clISt17integral_constantIbLb0EES15_IbLb1EEEEDaS11_S12_EUlS11_E_NS1_11comp_targetILNS1_3genE10ELNS1_11target_archE1200ELNS1_3gpuE4ELNS1_3repE0EEENS1_30default_config_static_selectorELNS0_4arch9wavefront6targetE1EEEvT1_,"axG",@progbits,_ZN7rocprim17ROCPRIM_400000_NS6detail17trampoline_kernelINS0_14default_configENS1_25partition_config_selectorILNS1_17partition_subalgoE5ElNS0_10empty_typeEbEEZZNS1_14partition_implILS5_5ELb0ES3_mN6hipcub16HIPCUB_304000_NS21CountingInputIteratorIllEEPS6_NSA_22TransformInputIteratorIb7NonZeroIfEPflEENS0_5tupleIJPlS6_EEENSJ_IJSD_SD_EEES6_SK_JS6_EEE10hipError_tPvRmT3_T4_T5_T6_T7_T9_mT8_P12ihipStream_tbDpT10_ENKUlT_T0_E_clISt17integral_constantIbLb0EES15_IbLb1EEEEDaS11_S12_EUlS11_E_NS1_11comp_targetILNS1_3genE10ELNS1_11target_archE1200ELNS1_3gpuE4ELNS1_3repE0EEENS1_30default_config_static_selectorELNS0_4arch9wavefront6targetE1EEEvT1_,comdat
.Lfunc_end282:
	.size	_ZN7rocprim17ROCPRIM_400000_NS6detail17trampoline_kernelINS0_14default_configENS1_25partition_config_selectorILNS1_17partition_subalgoE5ElNS0_10empty_typeEbEEZZNS1_14partition_implILS5_5ELb0ES3_mN6hipcub16HIPCUB_304000_NS21CountingInputIteratorIllEEPS6_NSA_22TransformInputIteratorIb7NonZeroIfEPflEENS0_5tupleIJPlS6_EEENSJ_IJSD_SD_EEES6_SK_JS6_EEE10hipError_tPvRmT3_T4_T5_T6_T7_T9_mT8_P12ihipStream_tbDpT10_ENKUlT_T0_E_clISt17integral_constantIbLb0EES15_IbLb1EEEEDaS11_S12_EUlS11_E_NS1_11comp_targetILNS1_3genE10ELNS1_11target_archE1200ELNS1_3gpuE4ELNS1_3repE0EEENS1_30default_config_static_selectorELNS0_4arch9wavefront6targetE1EEEvT1_, .Lfunc_end282-_ZN7rocprim17ROCPRIM_400000_NS6detail17trampoline_kernelINS0_14default_configENS1_25partition_config_selectorILNS1_17partition_subalgoE5ElNS0_10empty_typeEbEEZZNS1_14partition_implILS5_5ELb0ES3_mN6hipcub16HIPCUB_304000_NS21CountingInputIteratorIllEEPS6_NSA_22TransformInputIteratorIb7NonZeroIfEPflEENS0_5tupleIJPlS6_EEENSJ_IJSD_SD_EEES6_SK_JS6_EEE10hipError_tPvRmT3_T4_T5_T6_T7_T9_mT8_P12ihipStream_tbDpT10_ENKUlT_T0_E_clISt17integral_constantIbLb0EES15_IbLb1EEEEDaS11_S12_EUlS11_E_NS1_11comp_targetILNS1_3genE10ELNS1_11target_archE1200ELNS1_3gpuE4ELNS1_3repE0EEENS1_30default_config_static_selectorELNS0_4arch9wavefront6targetE1EEEvT1_
                                        ; -- End function
	.set _ZN7rocprim17ROCPRIM_400000_NS6detail17trampoline_kernelINS0_14default_configENS1_25partition_config_selectorILNS1_17partition_subalgoE5ElNS0_10empty_typeEbEEZZNS1_14partition_implILS5_5ELb0ES3_mN6hipcub16HIPCUB_304000_NS21CountingInputIteratorIllEEPS6_NSA_22TransformInputIteratorIb7NonZeroIfEPflEENS0_5tupleIJPlS6_EEENSJ_IJSD_SD_EEES6_SK_JS6_EEE10hipError_tPvRmT3_T4_T5_T6_T7_T9_mT8_P12ihipStream_tbDpT10_ENKUlT_T0_E_clISt17integral_constantIbLb0EES15_IbLb1EEEEDaS11_S12_EUlS11_E_NS1_11comp_targetILNS1_3genE10ELNS1_11target_archE1200ELNS1_3gpuE4ELNS1_3repE0EEENS1_30default_config_static_selectorELNS0_4arch9wavefront6targetE1EEEvT1_.num_vgpr, 0
	.set _ZN7rocprim17ROCPRIM_400000_NS6detail17trampoline_kernelINS0_14default_configENS1_25partition_config_selectorILNS1_17partition_subalgoE5ElNS0_10empty_typeEbEEZZNS1_14partition_implILS5_5ELb0ES3_mN6hipcub16HIPCUB_304000_NS21CountingInputIteratorIllEEPS6_NSA_22TransformInputIteratorIb7NonZeroIfEPflEENS0_5tupleIJPlS6_EEENSJ_IJSD_SD_EEES6_SK_JS6_EEE10hipError_tPvRmT3_T4_T5_T6_T7_T9_mT8_P12ihipStream_tbDpT10_ENKUlT_T0_E_clISt17integral_constantIbLb0EES15_IbLb1EEEEDaS11_S12_EUlS11_E_NS1_11comp_targetILNS1_3genE10ELNS1_11target_archE1200ELNS1_3gpuE4ELNS1_3repE0EEENS1_30default_config_static_selectorELNS0_4arch9wavefront6targetE1EEEvT1_.num_agpr, 0
	.set _ZN7rocprim17ROCPRIM_400000_NS6detail17trampoline_kernelINS0_14default_configENS1_25partition_config_selectorILNS1_17partition_subalgoE5ElNS0_10empty_typeEbEEZZNS1_14partition_implILS5_5ELb0ES3_mN6hipcub16HIPCUB_304000_NS21CountingInputIteratorIllEEPS6_NSA_22TransformInputIteratorIb7NonZeroIfEPflEENS0_5tupleIJPlS6_EEENSJ_IJSD_SD_EEES6_SK_JS6_EEE10hipError_tPvRmT3_T4_T5_T6_T7_T9_mT8_P12ihipStream_tbDpT10_ENKUlT_T0_E_clISt17integral_constantIbLb0EES15_IbLb1EEEEDaS11_S12_EUlS11_E_NS1_11comp_targetILNS1_3genE10ELNS1_11target_archE1200ELNS1_3gpuE4ELNS1_3repE0EEENS1_30default_config_static_selectorELNS0_4arch9wavefront6targetE1EEEvT1_.numbered_sgpr, 0
	.set _ZN7rocprim17ROCPRIM_400000_NS6detail17trampoline_kernelINS0_14default_configENS1_25partition_config_selectorILNS1_17partition_subalgoE5ElNS0_10empty_typeEbEEZZNS1_14partition_implILS5_5ELb0ES3_mN6hipcub16HIPCUB_304000_NS21CountingInputIteratorIllEEPS6_NSA_22TransformInputIteratorIb7NonZeroIfEPflEENS0_5tupleIJPlS6_EEENSJ_IJSD_SD_EEES6_SK_JS6_EEE10hipError_tPvRmT3_T4_T5_T6_T7_T9_mT8_P12ihipStream_tbDpT10_ENKUlT_T0_E_clISt17integral_constantIbLb0EES15_IbLb1EEEEDaS11_S12_EUlS11_E_NS1_11comp_targetILNS1_3genE10ELNS1_11target_archE1200ELNS1_3gpuE4ELNS1_3repE0EEENS1_30default_config_static_selectorELNS0_4arch9wavefront6targetE1EEEvT1_.num_named_barrier, 0
	.set _ZN7rocprim17ROCPRIM_400000_NS6detail17trampoline_kernelINS0_14default_configENS1_25partition_config_selectorILNS1_17partition_subalgoE5ElNS0_10empty_typeEbEEZZNS1_14partition_implILS5_5ELb0ES3_mN6hipcub16HIPCUB_304000_NS21CountingInputIteratorIllEEPS6_NSA_22TransformInputIteratorIb7NonZeroIfEPflEENS0_5tupleIJPlS6_EEENSJ_IJSD_SD_EEES6_SK_JS6_EEE10hipError_tPvRmT3_T4_T5_T6_T7_T9_mT8_P12ihipStream_tbDpT10_ENKUlT_T0_E_clISt17integral_constantIbLb0EES15_IbLb1EEEEDaS11_S12_EUlS11_E_NS1_11comp_targetILNS1_3genE10ELNS1_11target_archE1200ELNS1_3gpuE4ELNS1_3repE0EEENS1_30default_config_static_selectorELNS0_4arch9wavefront6targetE1EEEvT1_.private_seg_size, 0
	.set _ZN7rocprim17ROCPRIM_400000_NS6detail17trampoline_kernelINS0_14default_configENS1_25partition_config_selectorILNS1_17partition_subalgoE5ElNS0_10empty_typeEbEEZZNS1_14partition_implILS5_5ELb0ES3_mN6hipcub16HIPCUB_304000_NS21CountingInputIteratorIllEEPS6_NSA_22TransformInputIteratorIb7NonZeroIfEPflEENS0_5tupleIJPlS6_EEENSJ_IJSD_SD_EEES6_SK_JS6_EEE10hipError_tPvRmT3_T4_T5_T6_T7_T9_mT8_P12ihipStream_tbDpT10_ENKUlT_T0_E_clISt17integral_constantIbLb0EES15_IbLb1EEEEDaS11_S12_EUlS11_E_NS1_11comp_targetILNS1_3genE10ELNS1_11target_archE1200ELNS1_3gpuE4ELNS1_3repE0EEENS1_30default_config_static_selectorELNS0_4arch9wavefront6targetE1EEEvT1_.uses_vcc, 0
	.set _ZN7rocprim17ROCPRIM_400000_NS6detail17trampoline_kernelINS0_14default_configENS1_25partition_config_selectorILNS1_17partition_subalgoE5ElNS0_10empty_typeEbEEZZNS1_14partition_implILS5_5ELb0ES3_mN6hipcub16HIPCUB_304000_NS21CountingInputIteratorIllEEPS6_NSA_22TransformInputIteratorIb7NonZeroIfEPflEENS0_5tupleIJPlS6_EEENSJ_IJSD_SD_EEES6_SK_JS6_EEE10hipError_tPvRmT3_T4_T5_T6_T7_T9_mT8_P12ihipStream_tbDpT10_ENKUlT_T0_E_clISt17integral_constantIbLb0EES15_IbLb1EEEEDaS11_S12_EUlS11_E_NS1_11comp_targetILNS1_3genE10ELNS1_11target_archE1200ELNS1_3gpuE4ELNS1_3repE0EEENS1_30default_config_static_selectorELNS0_4arch9wavefront6targetE1EEEvT1_.uses_flat_scratch, 0
	.set _ZN7rocprim17ROCPRIM_400000_NS6detail17trampoline_kernelINS0_14default_configENS1_25partition_config_selectorILNS1_17partition_subalgoE5ElNS0_10empty_typeEbEEZZNS1_14partition_implILS5_5ELb0ES3_mN6hipcub16HIPCUB_304000_NS21CountingInputIteratorIllEEPS6_NSA_22TransformInputIteratorIb7NonZeroIfEPflEENS0_5tupleIJPlS6_EEENSJ_IJSD_SD_EEES6_SK_JS6_EEE10hipError_tPvRmT3_T4_T5_T6_T7_T9_mT8_P12ihipStream_tbDpT10_ENKUlT_T0_E_clISt17integral_constantIbLb0EES15_IbLb1EEEEDaS11_S12_EUlS11_E_NS1_11comp_targetILNS1_3genE10ELNS1_11target_archE1200ELNS1_3gpuE4ELNS1_3repE0EEENS1_30default_config_static_selectorELNS0_4arch9wavefront6targetE1EEEvT1_.has_dyn_sized_stack, 0
	.set _ZN7rocprim17ROCPRIM_400000_NS6detail17trampoline_kernelINS0_14default_configENS1_25partition_config_selectorILNS1_17partition_subalgoE5ElNS0_10empty_typeEbEEZZNS1_14partition_implILS5_5ELb0ES3_mN6hipcub16HIPCUB_304000_NS21CountingInputIteratorIllEEPS6_NSA_22TransformInputIteratorIb7NonZeroIfEPflEENS0_5tupleIJPlS6_EEENSJ_IJSD_SD_EEES6_SK_JS6_EEE10hipError_tPvRmT3_T4_T5_T6_T7_T9_mT8_P12ihipStream_tbDpT10_ENKUlT_T0_E_clISt17integral_constantIbLb0EES15_IbLb1EEEEDaS11_S12_EUlS11_E_NS1_11comp_targetILNS1_3genE10ELNS1_11target_archE1200ELNS1_3gpuE4ELNS1_3repE0EEENS1_30default_config_static_selectorELNS0_4arch9wavefront6targetE1EEEvT1_.has_recursion, 0
	.set _ZN7rocprim17ROCPRIM_400000_NS6detail17trampoline_kernelINS0_14default_configENS1_25partition_config_selectorILNS1_17partition_subalgoE5ElNS0_10empty_typeEbEEZZNS1_14partition_implILS5_5ELb0ES3_mN6hipcub16HIPCUB_304000_NS21CountingInputIteratorIllEEPS6_NSA_22TransformInputIteratorIb7NonZeroIfEPflEENS0_5tupleIJPlS6_EEENSJ_IJSD_SD_EEES6_SK_JS6_EEE10hipError_tPvRmT3_T4_T5_T6_T7_T9_mT8_P12ihipStream_tbDpT10_ENKUlT_T0_E_clISt17integral_constantIbLb0EES15_IbLb1EEEEDaS11_S12_EUlS11_E_NS1_11comp_targetILNS1_3genE10ELNS1_11target_archE1200ELNS1_3gpuE4ELNS1_3repE0EEENS1_30default_config_static_selectorELNS0_4arch9wavefront6targetE1EEEvT1_.has_indirect_call, 0
	.section	.AMDGPU.csdata,"",@progbits
; Kernel info:
; codeLenInByte = 0
; TotalNumSgprs: 4
; NumVgprs: 0
; ScratchSize: 0
; MemoryBound: 0
; FloatMode: 240
; IeeeMode: 1
; LDSByteSize: 0 bytes/workgroup (compile time only)
; SGPRBlocks: 0
; VGPRBlocks: 0
; NumSGPRsForWavesPerEU: 4
; NumVGPRsForWavesPerEU: 1
; Occupancy: 10
; WaveLimiterHint : 0
; COMPUTE_PGM_RSRC2:SCRATCH_EN: 0
; COMPUTE_PGM_RSRC2:USER_SGPR: 6
; COMPUTE_PGM_RSRC2:TRAP_HANDLER: 0
; COMPUTE_PGM_RSRC2:TGID_X_EN: 1
; COMPUTE_PGM_RSRC2:TGID_Y_EN: 0
; COMPUTE_PGM_RSRC2:TGID_Z_EN: 0
; COMPUTE_PGM_RSRC2:TIDIG_COMP_CNT: 0
	.section	.text._ZN7rocprim17ROCPRIM_400000_NS6detail17trampoline_kernelINS0_14default_configENS1_25partition_config_selectorILNS1_17partition_subalgoE5ElNS0_10empty_typeEbEEZZNS1_14partition_implILS5_5ELb0ES3_mN6hipcub16HIPCUB_304000_NS21CountingInputIteratorIllEEPS6_NSA_22TransformInputIteratorIb7NonZeroIfEPflEENS0_5tupleIJPlS6_EEENSJ_IJSD_SD_EEES6_SK_JS6_EEE10hipError_tPvRmT3_T4_T5_T6_T7_T9_mT8_P12ihipStream_tbDpT10_ENKUlT_T0_E_clISt17integral_constantIbLb0EES15_IbLb1EEEEDaS11_S12_EUlS11_E_NS1_11comp_targetILNS1_3genE9ELNS1_11target_archE1100ELNS1_3gpuE3ELNS1_3repE0EEENS1_30default_config_static_selectorELNS0_4arch9wavefront6targetE1EEEvT1_,"axG",@progbits,_ZN7rocprim17ROCPRIM_400000_NS6detail17trampoline_kernelINS0_14default_configENS1_25partition_config_selectorILNS1_17partition_subalgoE5ElNS0_10empty_typeEbEEZZNS1_14partition_implILS5_5ELb0ES3_mN6hipcub16HIPCUB_304000_NS21CountingInputIteratorIllEEPS6_NSA_22TransformInputIteratorIb7NonZeroIfEPflEENS0_5tupleIJPlS6_EEENSJ_IJSD_SD_EEES6_SK_JS6_EEE10hipError_tPvRmT3_T4_T5_T6_T7_T9_mT8_P12ihipStream_tbDpT10_ENKUlT_T0_E_clISt17integral_constantIbLb0EES15_IbLb1EEEEDaS11_S12_EUlS11_E_NS1_11comp_targetILNS1_3genE9ELNS1_11target_archE1100ELNS1_3gpuE3ELNS1_3repE0EEENS1_30default_config_static_selectorELNS0_4arch9wavefront6targetE1EEEvT1_,comdat
	.protected	_ZN7rocprim17ROCPRIM_400000_NS6detail17trampoline_kernelINS0_14default_configENS1_25partition_config_selectorILNS1_17partition_subalgoE5ElNS0_10empty_typeEbEEZZNS1_14partition_implILS5_5ELb0ES3_mN6hipcub16HIPCUB_304000_NS21CountingInputIteratorIllEEPS6_NSA_22TransformInputIteratorIb7NonZeroIfEPflEENS0_5tupleIJPlS6_EEENSJ_IJSD_SD_EEES6_SK_JS6_EEE10hipError_tPvRmT3_T4_T5_T6_T7_T9_mT8_P12ihipStream_tbDpT10_ENKUlT_T0_E_clISt17integral_constantIbLb0EES15_IbLb1EEEEDaS11_S12_EUlS11_E_NS1_11comp_targetILNS1_3genE9ELNS1_11target_archE1100ELNS1_3gpuE3ELNS1_3repE0EEENS1_30default_config_static_selectorELNS0_4arch9wavefront6targetE1EEEvT1_ ; -- Begin function _ZN7rocprim17ROCPRIM_400000_NS6detail17trampoline_kernelINS0_14default_configENS1_25partition_config_selectorILNS1_17partition_subalgoE5ElNS0_10empty_typeEbEEZZNS1_14partition_implILS5_5ELb0ES3_mN6hipcub16HIPCUB_304000_NS21CountingInputIteratorIllEEPS6_NSA_22TransformInputIteratorIb7NonZeroIfEPflEENS0_5tupleIJPlS6_EEENSJ_IJSD_SD_EEES6_SK_JS6_EEE10hipError_tPvRmT3_T4_T5_T6_T7_T9_mT8_P12ihipStream_tbDpT10_ENKUlT_T0_E_clISt17integral_constantIbLb0EES15_IbLb1EEEEDaS11_S12_EUlS11_E_NS1_11comp_targetILNS1_3genE9ELNS1_11target_archE1100ELNS1_3gpuE3ELNS1_3repE0EEENS1_30default_config_static_selectorELNS0_4arch9wavefront6targetE1EEEvT1_
	.globl	_ZN7rocprim17ROCPRIM_400000_NS6detail17trampoline_kernelINS0_14default_configENS1_25partition_config_selectorILNS1_17partition_subalgoE5ElNS0_10empty_typeEbEEZZNS1_14partition_implILS5_5ELb0ES3_mN6hipcub16HIPCUB_304000_NS21CountingInputIteratorIllEEPS6_NSA_22TransformInputIteratorIb7NonZeroIfEPflEENS0_5tupleIJPlS6_EEENSJ_IJSD_SD_EEES6_SK_JS6_EEE10hipError_tPvRmT3_T4_T5_T6_T7_T9_mT8_P12ihipStream_tbDpT10_ENKUlT_T0_E_clISt17integral_constantIbLb0EES15_IbLb1EEEEDaS11_S12_EUlS11_E_NS1_11comp_targetILNS1_3genE9ELNS1_11target_archE1100ELNS1_3gpuE3ELNS1_3repE0EEENS1_30default_config_static_selectorELNS0_4arch9wavefront6targetE1EEEvT1_
	.p2align	8
	.type	_ZN7rocprim17ROCPRIM_400000_NS6detail17trampoline_kernelINS0_14default_configENS1_25partition_config_selectorILNS1_17partition_subalgoE5ElNS0_10empty_typeEbEEZZNS1_14partition_implILS5_5ELb0ES3_mN6hipcub16HIPCUB_304000_NS21CountingInputIteratorIllEEPS6_NSA_22TransformInputIteratorIb7NonZeroIfEPflEENS0_5tupleIJPlS6_EEENSJ_IJSD_SD_EEES6_SK_JS6_EEE10hipError_tPvRmT3_T4_T5_T6_T7_T9_mT8_P12ihipStream_tbDpT10_ENKUlT_T0_E_clISt17integral_constantIbLb0EES15_IbLb1EEEEDaS11_S12_EUlS11_E_NS1_11comp_targetILNS1_3genE9ELNS1_11target_archE1100ELNS1_3gpuE3ELNS1_3repE0EEENS1_30default_config_static_selectorELNS0_4arch9wavefront6targetE1EEEvT1_,@function
_ZN7rocprim17ROCPRIM_400000_NS6detail17trampoline_kernelINS0_14default_configENS1_25partition_config_selectorILNS1_17partition_subalgoE5ElNS0_10empty_typeEbEEZZNS1_14partition_implILS5_5ELb0ES3_mN6hipcub16HIPCUB_304000_NS21CountingInputIteratorIllEEPS6_NSA_22TransformInputIteratorIb7NonZeroIfEPflEENS0_5tupleIJPlS6_EEENSJ_IJSD_SD_EEES6_SK_JS6_EEE10hipError_tPvRmT3_T4_T5_T6_T7_T9_mT8_P12ihipStream_tbDpT10_ENKUlT_T0_E_clISt17integral_constantIbLb0EES15_IbLb1EEEEDaS11_S12_EUlS11_E_NS1_11comp_targetILNS1_3genE9ELNS1_11target_archE1100ELNS1_3gpuE3ELNS1_3repE0EEENS1_30default_config_static_selectorELNS0_4arch9wavefront6targetE1EEEvT1_: ; @_ZN7rocprim17ROCPRIM_400000_NS6detail17trampoline_kernelINS0_14default_configENS1_25partition_config_selectorILNS1_17partition_subalgoE5ElNS0_10empty_typeEbEEZZNS1_14partition_implILS5_5ELb0ES3_mN6hipcub16HIPCUB_304000_NS21CountingInputIteratorIllEEPS6_NSA_22TransformInputIteratorIb7NonZeroIfEPflEENS0_5tupleIJPlS6_EEENSJ_IJSD_SD_EEES6_SK_JS6_EEE10hipError_tPvRmT3_T4_T5_T6_T7_T9_mT8_P12ihipStream_tbDpT10_ENKUlT_T0_E_clISt17integral_constantIbLb0EES15_IbLb1EEEEDaS11_S12_EUlS11_E_NS1_11comp_targetILNS1_3genE9ELNS1_11target_archE1100ELNS1_3gpuE3ELNS1_3repE0EEENS1_30default_config_static_selectorELNS0_4arch9wavefront6targetE1EEEvT1_
; %bb.0:
	.section	.rodata,"a",@progbits
	.p2align	6, 0x0
	.amdhsa_kernel _ZN7rocprim17ROCPRIM_400000_NS6detail17trampoline_kernelINS0_14default_configENS1_25partition_config_selectorILNS1_17partition_subalgoE5ElNS0_10empty_typeEbEEZZNS1_14partition_implILS5_5ELb0ES3_mN6hipcub16HIPCUB_304000_NS21CountingInputIteratorIllEEPS6_NSA_22TransformInputIteratorIb7NonZeroIfEPflEENS0_5tupleIJPlS6_EEENSJ_IJSD_SD_EEES6_SK_JS6_EEE10hipError_tPvRmT3_T4_T5_T6_T7_T9_mT8_P12ihipStream_tbDpT10_ENKUlT_T0_E_clISt17integral_constantIbLb0EES15_IbLb1EEEEDaS11_S12_EUlS11_E_NS1_11comp_targetILNS1_3genE9ELNS1_11target_archE1100ELNS1_3gpuE3ELNS1_3repE0EEENS1_30default_config_static_selectorELNS0_4arch9wavefront6targetE1EEEvT1_
		.amdhsa_group_segment_fixed_size 0
		.amdhsa_private_segment_fixed_size 0
		.amdhsa_kernarg_size 136
		.amdhsa_user_sgpr_count 6
		.amdhsa_user_sgpr_private_segment_buffer 1
		.amdhsa_user_sgpr_dispatch_ptr 0
		.amdhsa_user_sgpr_queue_ptr 0
		.amdhsa_user_sgpr_kernarg_segment_ptr 1
		.amdhsa_user_sgpr_dispatch_id 0
		.amdhsa_user_sgpr_flat_scratch_init 0
		.amdhsa_user_sgpr_private_segment_size 0
		.amdhsa_uses_dynamic_stack 0
		.amdhsa_system_sgpr_private_segment_wavefront_offset 0
		.amdhsa_system_sgpr_workgroup_id_x 1
		.amdhsa_system_sgpr_workgroup_id_y 0
		.amdhsa_system_sgpr_workgroup_id_z 0
		.amdhsa_system_sgpr_workgroup_info 0
		.amdhsa_system_vgpr_workitem_id 0
		.amdhsa_next_free_vgpr 1
		.amdhsa_next_free_sgpr 0
		.amdhsa_reserve_vcc 0
		.amdhsa_reserve_flat_scratch 0
		.amdhsa_float_round_mode_32 0
		.amdhsa_float_round_mode_16_64 0
		.amdhsa_float_denorm_mode_32 3
		.amdhsa_float_denorm_mode_16_64 3
		.amdhsa_dx10_clamp 1
		.amdhsa_ieee_mode 1
		.amdhsa_fp16_overflow 0
		.amdhsa_exception_fp_ieee_invalid_op 0
		.amdhsa_exception_fp_denorm_src 0
		.amdhsa_exception_fp_ieee_div_zero 0
		.amdhsa_exception_fp_ieee_overflow 0
		.amdhsa_exception_fp_ieee_underflow 0
		.amdhsa_exception_fp_ieee_inexact 0
		.amdhsa_exception_int_div_zero 0
	.end_amdhsa_kernel
	.section	.text._ZN7rocprim17ROCPRIM_400000_NS6detail17trampoline_kernelINS0_14default_configENS1_25partition_config_selectorILNS1_17partition_subalgoE5ElNS0_10empty_typeEbEEZZNS1_14partition_implILS5_5ELb0ES3_mN6hipcub16HIPCUB_304000_NS21CountingInputIteratorIllEEPS6_NSA_22TransformInputIteratorIb7NonZeroIfEPflEENS0_5tupleIJPlS6_EEENSJ_IJSD_SD_EEES6_SK_JS6_EEE10hipError_tPvRmT3_T4_T5_T6_T7_T9_mT8_P12ihipStream_tbDpT10_ENKUlT_T0_E_clISt17integral_constantIbLb0EES15_IbLb1EEEEDaS11_S12_EUlS11_E_NS1_11comp_targetILNS1_3genE9ELNS1_11target_archE1100ELNS1_3gpuE3ELNS1_3repE0EEENS1_30default_config_static_selectorELNS0_4arch9wavefront6targetE1EEEvT1_,"axG",@progbits,_ZN7rocprim17ROCPRIM_400000_NS6detail17trampoline_kernelINS0_14default_configENS1_25partition_config_selectorILNS1_17partition_subalgoE5ElNS0_10empty_typeEbEEZZNS1_14partition_implILS5_5ELb0ES3_mN6hipcub16HIPCUB_304000_NS21CountingInputIteratorIllEEPS6_NSA_22TransformInputIteratorIb7NonZeroIfEPflEENS0_5tupleIJPlS6_EEENSJ_IJSD_SD_EEES6_SK_JS6_EEE10hipError_tPvRmT3_T4_T5_T6_T7_T9_mT8_P12ihipStream_tbDpT10_ENKUlT_T0_E_clISt17integral_constantIbLb0EES15_IbLb1EEEEDaS11_S12_EUlS11_E_NS1_11comp_targetILNS1_3genE9ELNS1_11target_archE1100ELNS1_3gpuE3ELNS1_3repE0EEENS1_30default_config_static_selectorELNS0_4arch9wavefront6targetE1EEEvT1_,comdat
.Lfunc_end283:
	.size	_ZN7rocprim17ROCPRIM_400000_NS6detail17trampoline_kernelINS0_14default_configENS1_25partition_config_selectorILNS1_17partition_subalgoE5ElNS0_10empty_typeEbEEZZNS1_14partition_implILS5_5ELb0ES3_mN6hipcub16HIPCUB_304000_NS21CountingInputIteratorIllEEPS6_NSA_22TransformInputIteratorIb7NonZeroIfEPflEENS0_5tupleIJPlS6_EEENSJ_IJSD_SD_EEES6_SK_JS6_EEE10hipError_tPvRmT3_T4_T5_T6_T7_T9_mT8_P12ihipStream_tbDpT10_ENKUlT_T0_E_clISt17integral_constantIbLb0EES15_IbLb1EEEEDaS11_S12_EUlS11_E_NS1_11comp_targetILNS1_3genE9ELNS1_11target_archE1100ELNS1_3gpuE3ELNS1_3repE0EEENS1_30default_config_static_selectorELNS0_4arch9wavefront6targetE1EEEvT1_, .Lfunc_end283-_ZN7rocprim17ROCPRIM_400000_NS6detail17trampoline_kernelINS0_14default_configENS1_25partition_config_selectorILNS1_17partition_subalgoE5ElNS0_10empty_typeEbEEZZNS1_14partition_implILS5_5ELb0ES3_mN6hipcub16HIPCUB_304000_NS21CountingInputIteratorIllEEPS6_NSA_22TransformInputIteratorIb7NonZeroIfEPflEENS0_5tupleIJPlS6_EEENSJ_IJSD_SD_EEES6_SK_JS6_EEE10hipError_tPvRmT3_T4_T5_T6_T7_T9_mT8_P12ihipStream_tbDpT10_ENKUlT_T0_E_clISt17integral_constantIbLb0EES15_IbLb1EEEEDaS11_S12_EUlS11_E_NS1_11comp_targetILNS1_3genE9ELNS1_11target_archE1100ELNS1_3gpuE3ELNS1_3repE0EEENS1_30default_config_static_selectorELNS0_4arch9wavefront6targetE1EEEvT1_
                                        ; -- End function
	.set _ZN7rocprim17ROCPRIM_400000_NS6detail17trampoline_kernelINS0_14default_configENS1_25partition_config_selectorILNS1_17partition_subalgoE5ElNS0_10empty_typeEbEEZZNS1_14partition_implILS5_5ELb0ES3_mN6hipcub16HIPCUB_304000_NS21CountingInputIteratorIllEEPS6_NSA_22TransformInputIteratorIb7NonZeroIfEPflEENS0_5tupleIJPlS6_EEENSJ_IJSD_SD_EEES6_SK_JS6_EEE10hipError_tPvRmT3_T4_T5_T6_T7_T9_mT8_P12ihipStream_tbDpT10_ENKUlT_T0_E_clISt17integral_constantIbLb0EES15_IbLb1EEEEDaS11_S12_EUlS11_E_NS1_11comp_targetILNS1_3genE9ELNS1_11target_archE1100ELNS1_3gpuE3ELNS1_3repE0EEENS1_30default_config_static_selectorELNS0_4arch9wavefront6targetE1EEEvT1_.num_vgpr, 0
	.set _ZN7rocprim17ROCPRIM_400000_NS6detail17trampoline_kernelINS0_14default_configENS1_25partition_config_selectorILNS1_17partition_subalgoE5ElNS0_10empty_typeEbEEZZNS1_14partition_implILS5_5ELb0ES3_mN6hipcub16HIPCUB_304000_NS21CountingInputIteratorIllEEPS6_NSA_22TransformInputIteratorIb7NonZeroIfEPflEENS0_5tupleIJPlS6_EEENSJ_IJSD_SD_EEES6_SK_JS6_EEE10hipError_tPvRmT3_T4_T5_T6_T7_T9_mT8_P12ihipStream_tbDpT10_ENKUlT_T0_E_clISt17integral_constantIbLb0EES15_IbLb1EEEEDaS11_S12_EUlS11_E_NS1_11comp_targetILNS1_3genE9ELNS1_11target_archE1100ELNS1_3gpuE3ELNS1_3repE0EEENS1_30default_config_static_selectorELNS0_4arch9wavefront6targetE1EEEvT1_.num_agpr, 0
	.set _ZN7rocprim17ROCPRIM_400000_NS6detail17trampoline_kernelINS0_14default_configENS1_25partition_config_selectorILNS1_17partition_subalgoE5ElNS0_10empty_typeEbEEZZNS1_14partition_implILS5_5ELb0ES3_mN6hipcub16HIPCUB_304000_NS21CountingInputIteratorIllEEPS6_NSA_22TransformInputIteratorIb7NonZeroIfEPflEENS0_5tupleIJPlS6_EEENSJ_IJSD_SD_EEES6_SK_JS6_EEE10hipError_tPvRmT3_T4_T5_T6_T7_T9_mT8_P12ihipStream_tbDpT10_ENKUlT_T0_E_clISt17integral_constantIbLb0EES15_IbLb1EEEEDaS11_S12_EUlS11_E_NS1_11comp_targetILNS1_3genE9ELNS1_11target_archE1100ELNS1_3gpuE3ELNS1_3repE0EEENS1_30default_config_static_selectorELNS0_4arch9wavefront6targetE1EEEvT1_.numbered_sgpr, 0
	.set _ZN7rocprim17ROCPRIM_400000_NS6detail17trampoline_kernelINS0_14default_configENS1_25partition_config_selectorILNS1_17partition_subalgoE5ElNS0_10empty_typeEbEEZZNS1_14partition_implILS5_5ELb0ES3_mN6hipcub16HIPCUB_304000_NS21CountingInputIteratorIllEEPS6_NSA_22TransformInputIteratorIb7NonZeroIfEPflEENS0_5tupleIJPlS6_EEENSJ_IJSD_SD_EEES6_SK_JS6_EEE10hipError_tPvRmT3_T4_T5_T6_T7_T9_mT8_P12ihipStream_tbDpT10_ENKUlT_T0_E_clISt17integral_constantIbLb0EES15_IbLb1EEEEDaS11_S12_EUlS11_E_NS1_11comp_targetILNS1_3genE9ELNS1_11target_archE1100ELNS1_3gpuE3ELNS1_3repE0EEENS1_30default_config_static_selectorELNS0_4arch9wavefront6targetE1EEEvT1_.num_named_barrier, 0
	.set _ZN7rocprim17ROCPRIM_400000_NS6detail17trampoline_kernelINS0_14default_configENS1_25partition_config_selectorILNS1_17partition_subalgoE5ElNS0_10empty_typeEbEEZZNS1_14partition_implILS5_5ELb0ES3_mN6hipcub16HIPCUB_304000_NS21CountingInputIteratorIllEEPS6_NSA_22TransformInputIteratorIb7NonZeroIfEPflEENS0_5tupleIJPlS6_EEENSJ_IJSD_SD_EEES6_SK_JS6_EEE10hipError_tPvRmT3_T4_T5_T6_T7_T9_mT8_P12ihipStream_tbDpT10_ENKUlT_T0_E_clISt17integral_constantIbLb0EES15_IbLb1EEEEDaS11_S12_EUlS11_E_NS1_11comp_targetILNS1_3genE9ELNS1_11target_archE1100ELNS1_3gpuE3ELNS1_3repE0EEENS1_30default_config_static_selectorELNS0_4arch9wavefront6targetE1EEEvT1_.private_seg_size, 0
	.set _ZN7rocprim17ROCPRIM_400000_NS6detail17trampoline_kernelINS0_14default_configENS1_25partition_config_selectorILNS1_17partition_subalgoE5ElNS0_10empty_typeEbEEZZNS1_14partition_implILS5_5ELb0ES3_mN6hipcub16HIPCUB_304000_NS21CountingInputIteratorIllEEPS6_NSA_22TransformInputIteratorIb7NonZeroIfEPflEENS0_5tupleIJPlS6_EEENSJ_IJSD_SD_EEES6_SK_JS6_EEE10hipError_tPvRmT3_T4_T5_T6_T7_T9_mT8_P12ihipStream_tbDpT10_ENKUlT_T0_E_clISt17integral_constantIbLb0EES15_IbLb1EEEEDaS11_S12_EUlS11_E_NS1_11comp_targetILNS1_3genE9ELNS1_11target_archE1100ELNS1_3gpuE3ELNS1_3repE0EEENS1_30default_config_static_selectorELNS0_4arch9wavefront6targetE1EEEvT1_.uses_vcc, 0
	.set _ZN7rocprim17ROCPRIM_400000_NS6detail17trampoline_kernelINS0_14default_configENS1_25partition_config_selectorILNS1_17partition_subalgoE5ElNS0_10empty_typeEbEEZZNS1_14partition_implILS5_5ELb0ES3_mN6hipcub16HIPCUB_304000_NS21CountingInputIteratorIllEEPS6_NSA_22TransformInputIteratorIb7NonZeroIfEPflEENS0_5tupleIJPlS6_EEENSJ_IJSD_SD_EEES6_SK_JS6_EEE10hipError_tPvRmT3_T4_T5_T6_T7_T9_mT8_P12ihipStream_tbDpT10_ENKUlT_T0_E_clISt17integral_constantIbLb0EES15_IbLb1EEEEDaS11_S12_EUlS11_E_NS1_11comp_targetILNS1_3genE9ELNS1_11target_archE1100ELNS1_3gpuE3ELNS1_3repE0EEENS1_30default_config_static_selectorELNS0_4arch9wavefront6targetE1EEEvT1_.uses_flat_scratch, 0
	.set _ZN7rocprim17ROCPRIM_400000_NS6detail17trampoline_kernelINS0_14default_configENS1_25partition_config_selectorILNS1_17partition_subalgoE5ElNS0_10empty_typeEbEEZZNS1_14partition_implILS5_5ELb0ES3_mN6hipcub16HIPCUB_304000_NS21CountingInputIteratorIllEEPS6_NSA_22TransformInputIteratorIb7NonZeroIfEPflEENS0_5tupleIJPlS6_EEENSJ_IJSD_SD_EEES6_SK_JS6_EEE10hipError_tPvRmT3_T4_T5_T6_T7_T9_mT8_P12ihipStream_tbDpT10_ENKUlT_T0_E_clISt17integral_constantIbLb0EES15_IbLb1EEEEDaS11_S12_EUlS11_E_NS1_11comp_targetILNS1_3genE9ELNS1_11target_archE1100ELNS1_3gpuE3ELNS1_3repE0EEENS1_30default_config_static_selectorELNS0_4arch9wavefront6targetE1EEEvT1_.has_dyn_sized_stack, 0
	.set _ZN7rocprim17ROCPRIM_400000_NS6detail17trampoline_kernelINS0_14default_configENS1_25partition_config_selectorILNS1_17partition_subalgoE5ElNS0_10empty_typeEbEEZZNS1_14partition_implILS5_5ELb0ES3_mN6hipcub16HIPCUB_304000_NS21CountingInputIteratorIllEEPS6_NSA_22TransformInputIteratorIb7NonZeroIfEPflEENS0_5tupleIJPlS6_EEENSJ_IJSD_SD_EEES6_SK_JS6_EEE10hipError_tPvRmT3_T4_T5_T6_T7_T9_mT8_P12ihipStream_tbDpT10_ENKUlT_T0_E_clISt17integral_constantIbLb0EES15_IbLb1EEEEDaS11_S12_EUlS11_E_NS1_11comp_targetILNS1_3genE9ELNS1_11target_archE1100ELNS1_3gpuE3ELNS1_3repE0EEENS1_30default_config_static_selectorELNS0_4arch9wavefront6targetE1EEEvT1_.has_recursion, 0
	.set _ZN7rocprim17ROCPRIM_400000_NS6detail17trampoline_kernelINS0_14default_configENS1_25partition_config_selectorILNS1_17partition_subalgoE5ElNS0_10empty_typeEbEEZZNS1_14partition_implILS5_5ELb0ES3_mN6hipcub16HIPCUB_304000_NS21CountingInputIteratorIllEEPS6_NSA_22TransformInputIteratorIb7NonZeroIfEPflEENS0_5tupleIJPlS6_EEENSJ_IJSD_SD_EEES6_SK_JS6_EEE10hipError_tPvRmT3_T4_T5_T6_T7_T9_mT8_P12ihipStream_tbDpT10_ENKUlT_T0_E_clISt17integral_constantIbLb0EES15_IbLb1EEEEDaS11_S12_EUlS11_E_NS1_11comp_targetILNS1_3genE9ELNS1_11target_archE1100ELNS1_3gpuE3ELNS1_3repE0EEENS1_30default_config_static_selectorELNS0_4arch9wavefront6targetE1EEEvT1_.has_indirect_call, 0
	.section	.AMDGPU.csdata,"",@progbits
; Kernel info:
; codeLenInByte = 0
; TotalNumSgprs: 4
; NumVgprs: 0
; ScratchSize: 0
; MemoryBound: 0
; FloatMode: 240
; IeeeMode: 1
; LDSByteSize: 0 bytes/workgroup (compile time only)
; SGPRBlocks: 0
; VGPRBlocks: 0
; NumSGPRsForWavesPerEU: 4
; NumVGPRsForWavesPerEU: 1
; Occupancy: 10
; WaveLimiterHint : 0
; COMPUTE_PGM_RSRC2:SCRATCH_EN: 0
; COMPUTE_PGM_RSRC2:USER_SGPR: 6
; COMPUTE_PGM_RSRC2:TRAP_HANDLER: 0
; COMPUTE_PGM_RSRC2:TGID_X_EN: 1
; COMPUTE_PGM_RSRC2:TGID_Y_EN: 0
; COMPUTE_PGM_RSRC2:TGID_Z_EN: 0
; COMPUTE_PGM_RSRC2:TIDIG_COMP_CNT: 0
	.section	.text._ZN7rocprim17ROCPRIM_400000_NS6detail17trampoline_kernelINS0_14default_configENS1_25partition_config_selectorILNS1_17partition_subalgoE5ElNS0_10empty_typeEbEEZZNS1_14partition_implILS5_5ELb0ES3_mN6hipcub16HIPCUB_304000_NS21CountingInputIteratorIllEEPS6_NSA_22TransformInputIteratorIb7NonZeroIfEPflEENS0_5tupleIJPlS6_EEENSJ_IJSD_SD_EEES6_SK_JS6_EEE10hipError_tPvRmT3_T4_T5_T6_T7_T9_mT8_P12ihipStream_tbDpT10_ENKUlT_T0_E_clISt17integral_constantIbLb0EES15_IbLb1EEEEDaS11_S12_EUlS11_E_NS1_11comp_targetILNS1_3genE8ELNS1_11target_archE1030ELNS1_3gpuE2ELNS1_3repE0EEENS1_30default_config_static_selectorELNS0_4arch9wavefront6targetE1EEEvT1_,"axG",@progbits,_ZN7rocprim17ROCPRIM_400000_NS6detail17trampoline_kernelINS0_14default_configENS1_25partition_config_selectorILNS1_17partition_subalgoE5ElNS0_10empty_typeEbEEZZNS1_14partition_implILS5_5ELb0ES3_mN6hipcub16HIPCUB_304000_NS21CountingInputIteratorIllEEPS6_NSA_22TransformInputIteratorIb7NonZeroIfEPflEENS0_5tupleIJPlS6_EEENSJ_IJSD_SD_EEES6_SK_JS6_EEE10hipError_tPvRmT3_T4_T5_T6_T7_T9_mT8_P12ihipStream_tbDpT10_ENKUlT_T0_E_clISt17integral_constantIbLb0EES15_IbLb1EEEEDaS11_S12_EUlS11_E_NS1_11comp_targetILNS1_3genE8ELNS1_11target_archE1030ELNS1_3gpuE2ELNS1_3repE0EEENS1_30default_config_static_selectorELNS0_4arch9wavefront6targetE1EEEvT1_,comdat
	.protected	_ZN7rocprim17ROCPRIM_400000_NS6detail17trampoline_kernelINS0_14default_configENS1_25partition_config_selectorILNS1_17partition_subalgoE5ElNS0_10empty_typeEbEEZZNS1_14partition_implILS5_5ELb0ES3_mN6hipcub16HIPCUB_304000_NS21CountingInputIteratorIllEEPS6_NSA_22TransformInputIteratorIb7NonZeroIfEPflEENS0_5tupleIJPlS6_EEENSJ_IJSD_SD_EEES6_SK_JS6_EEE10hipError_tPvRmT3_T4_T5_T6_T7_T9_mT8_P12ihipStream_tbDpT10_ENKUlT_T0_E_clISt17integral_constantIbLb0EES15_IbLb1EEEEDaS11_S12_EUlS11_E_NS1_11comp_targetILNS1_3genE8ELNS1_11target_archE1030ELNS1_3gpuE2ELNS1_3repE0EEENS1_30default_config_static_selectorELNS0_4arch9wavefront6targetE1EEEvT1_ ; -- Begin function _ZN7rocprim17ROCPRIM_400000_NS6detail17trampoline_kernelINS0_14default_configENS1_25partition_config_selectorILNS1_17partition_subalgoE5ElNS0_10empty_typeEbEEZZNS1_14partition_implILS5_5ELb0ES3_mN6hipcub16HIPCUB_304000_NS21CountingInputIteratorIllEEPS6_NSA_22TransformInputIteratorIb7NonZeroIfEPflEENS0_5tupleIJPlS6_EEENSJ_IJSD_SD_EEES6_SK_JS6_EEE10hipError_tPvRmT3_T4_T5_T6_T7_T9_mT8_P12ihipStream_tbDpT10_ENKUlT_T0_E_clISt17integral_constantIbLb0EES15_IbLb1EEEEDaS11_S12_EUlS11_E_NS1_11comp_targetILNS1_3genE8ELNS1_11target_archE1030ELNS1_3gpuE2ELNS1_3repE0EEENS1_30default_config_static_selectorELNS0_4arch9wavefront6targetE1EEEvT1_
	.globl	_ZN7rocprim17ROCPRIM_400000_NS6detail17trampoline_kernelINS0_14default_configENS1_25partition_config_selectorILNS1_17partition_subalgoE5ElNS0_10empty_typeEbEEZZNS1_14partition_implILS5_5ELb0ES3_mN6hipcub16HIPCUB_304000_NS21CountingInputIteratorIllEEPS6_NSA_22TransformInputIteratorIb7NonZeroIfEPflEENS0_5tupleIJPlS6_EEENSJ_IJSD_SD_EEES6_SK_JS6_EEE10hipError_tPvRmT3_T4_T5_T6_T7_T9_mT8_P12ihipStream_tbDpT10_ENKUlT_T0_E_clISt17integral_constantIbLb0EES15_IbLb1EEEEDaS11_S12_EUlS11_E_NS1_11comp_targetILNS1_3genE8ELNS1_11target_archE1030ELNS1_3gpuE2ELNS1_3repE0EEENS1_30default_config_static_selectorELNS0_4arch9wavefront6targetE1EEEvT1_
	.p2align	8
	.type	_ZN7rocprim17ROCPRIM_400000_NS6detail17trampoline_kernelINS0_14default_configENS1_25partition_config_selectorILNS1_17partition_subalgoE5ElNS0_10empty_typeEbEEZZNS1_14partition_implILS5_5ELb0ES3_mN6hipcub16HIPCUB_304000_NS21CountingInputIteratorIllEEPS6_NSA_22TransformInputIteratorIb7NonZeroIfEPflEENS0_5tupleIJPlS6_EEENSJ_IJSD_SD_EEES6_SK_JS6_EEE10hipError_tPvRmT3_T4_T5_T6_T7_T9_mT8_P12ihipStream_tbDpT10_ENKUlT_T0_E_clISt17integral_constantIbLb0EES15_IbLb1EEEEDaS11_S12_EUlS11_E_NS1_11comp_targetILNS1_3genE8ELNS1_11target_archE1030ELNS1_3gpuE2ELNS1_3repE0EEENS1_30default_config_static_selectorELNS0_4arch9wavefront6targetE1EEEvT1_,@function
_ZN7rocprim17ROCPRIM_400000_NS6detail17trampoline_kernelINS0_14default_configENS1_25partition_config_selectorILNS1_17partition_subalgoE5ElNS0_10empty_typeEbEEZZNS1_14partition_implILS5_5ELb0ES3_mN6hipcub16HIPCUB_304000_NS21CountingInputIteratorIllEEPS6_NSA_22TransformInputIteratorIb7NonZeroIfEPflEENS0_5tupleIJPlS6_EEENSJ_IJSD_SD_EEES6_SK_JS6_EEE10hipError_tPvRmT3_T4_T5_T6_T7_T9_mT8_P12ihipStream_tbDpT10_ENKUlT_T0_E_clISt17integral_constantIbLb0EES15_IbLb1EEEEDaS11_S12_EUlS11_E_NS1_11comp_targetILNS1_3genE8ELNS1_11target_archE1030ELNS1_3gpuE2ELNS1_3repE0EEENS1_30default_config_static_selectorELNS0_4arch9wavefront6targetE1EEEvT1_: ; @_ZN7rocprim17ROCPRIM_400000_NS6detail17trampoline_kernelINS0_14default_configENS1_25partition_config_selectorILNS1_17partition_subalgoE5ElNS0_10empty_typeEbEEZZNS1_14partition_implILS5_5ELb0ES3_mN6hipcub16HIPCUB_304000_NS21CountingInputIteratorIllEEPS6_NSA_22TransformInputIteratorIb7NonZeroIfEPflEENS0_5tupleIJPlS6_EEENSJ_IJSD_SD_EEES6_SK_JS6_EEE10hipError_tPvRmT3_T4_T5_T6_T7_T9_mT8_P12ihipStream_tbDpT10_ENKUlT_T0_E_clISt17integral_constantIbLb0EES15_IbLb1EEEEDaS11_S12_EUlS11_E_NS1_11comp_targetILNS1_3genE8ELNS1_11target_archE1030ELNS1_3gpuE2ELNS1_3repE0EEENS1_30default_config_static_selectorELNS0_4arch9wavefront6targetE1EEEvT1_
; %bb.0:
	.section	.rodata,"a",@progbits
	.p2align	6, 0x0
	.amdhsa_kernel _ZN7rocprim17ROCPRIM_400000_NS6detail17trampoline_kernelINS0_14default_configENS1_25partition_config_selectorILNS1_17partition_subalgoE5ElNS0_10empty_typeEbEEZZNS1_14partition_implILS5_5ELb0ES3_mN6hipcub16HIPCUB_304000_NS21CountingInputIteratorIllEEPS6_NSA_22TransformInputIteratorIb7NonZeroIfEPflEENS0_5tupleIJPlS6_EEENSJ_IJSD_SD_EEES6_SK_JS6_EEE10hipError_tPvRmT3_T4_T5_T6_T7_T9_mT8_P12ihipStream_tbDpT10_ENKUlT_T0_E_clISt17integral_constantIbLb0EES15_IbLb1EEEEDaS11_S12_EUlS11_E_NS1_11comp_targetILNS1_3genE8ELNS1_11target_archE1030ELNS1_3gpuE2ELNS1_3repE0EEENS1_30default_config_static_selectorELNS0_4arch9wavefront6targetE1EEEvT1_
		.amdhsa_group_segment_fixed_size 0
		.amdhsa_private_segment_fixed_size 0
		.amdhsa_kernarg_size 136
		.amdhsa_user_sgpr_count 6
		.amdhsa_user_sgpr_private_segment_buffer 1
		.amdhsa_user_sgpr_dispatch_ptr 0
		.amdhsa_user_sgpr_queue_ptr 0
		.amdhsa_user_sgpr_kernarg_segment_ptr 1
		.amdhsa_user_sgpr_dispatch_id 0
		.amdhsa_user_sgpr_flat_scratch_init 0
		.amdhsa_user_sgpr_private_segment_size 0
		.amdhsa_uses_dynamic_stack 0
		.amdhsa_system_sgpr_private_segment_wavefront_offset 0
		.amdhsa_system_sgpr_workgroup_id_x 1
		.amdhsa_system_sgpr_workgroup_id_y 0
		.amdhsa_system_sgpr_workgroup_id_z 0
		.amdhsa_system_sgpr_workgroup_info 0
		.amdhsa_system_vgpr_workitem_id 0
		.amdhsa_next_free_vgpr 1
		.amdhsa_next_free_sgpr 0
		.amdhsa_reserve_vcc 0
		.amdhsa_reserve_flat_scratch 0
		.amdhsa_float_round_mode_32 0
		.amdhsa_float_round_mode_16_64 0
		.amdhsa_float_denorm_mode_32 3
		.amdhsa_float_denorm_mode_16_64 3
		.amdhsa_dx10_clamp 1
		.amdhsa_ieee_mode 1
		.amdhsa_fp16_overflow 0
		.amdhsa_exception_fp_ieee_invalid_op 0
		.amdhsa_exception_fp_denorm_src 0
		.amdhsa_exception_fp_ieee_div_zero 0
		.amdhsa_exception_fp_ieee_overflow 0
		.amdhsa_exception_fp_ieee_underflow 0
		.amdhsa_exception_fp_ieee_inexact 0
		.amdhsa_exception_int_div_zero 0
	.end_amdhsa_kernel
	.section	.text._ZN7rocprim17ROCPRIM_400000_NS6detail17trampoline_kernelINS0_14default_configENS1_25partition_config_selectorILNS1_17partition_subalgoE5ElNS0_10empty_typeEbEEZZNS1_14partition_implILS5_5ELb0ES3_mN6hipcub16HIPCUB_304000_NS21CountingInputIteratorIllEEPS6_NSA_22TransformInputIteratorIb7NonZeroIfEPflEENS0_5tupleIJPlS6_EEENSJ_IJSD_SD_EEES6_SK_JS6_EEE10hipError_tPvRmT3_T4_T5_T6_T7_T9_mT8_P12ihipStream_tbDpT10_ENKUlT_T0_E_clISt17integral_constantIbLb0EES15_IbLb1EEEEDaS11_S12_EUlS11_E_NS1_11comp_targetILNS1_3genE8ELNS1_11target_archE1030ELNS1_3gpuE2ELNS1_3repE0EEENS1_30default_config_static_selectorELNS0_4arch9wavefront6targetE1EEEvT1_,"axG",@progbits,_ZN7rocprim17ROCPRIM_400000_NS6detail17trampoline_kernelINS0_14default_configENS1_25partition_config_selectorILNS1_17partition_subalgoE5ElNS0_10empty_typeEbEEZZNS1_14partition_implILS5_5ELb0ES3_mN6hipcub16HIPCUB_304000_NS21CountingInputIteratorIllEEPS6_NSA_22TransformInputIteratorIb7NonZeroIfEPflEENS0_5tupleIJPlS6_EEENSJ_IJSD_SD_EEES6_SK_JS6_EEE10hipError_tPvRmT3_T4_T5_T6_T7_T9_mT8_P12ihipStream_tbDpT10_ENKUlT_T0_E_clISt17integral_constantIbLb0EES15_IbLb1EEEEDaS11_S12_EUlS11_E_NS1_11comp_targetILNS1_3genE8ELNS1_11target_archE1030ELNS1_3gpuE2ELNS1_3repE0EEENS1_30default_config_static_selectorELNS0_4arch9wavefront6targetE1EEEvT1_,comdat
.Lfunc_end284:
	.size	_ZN7rocprim17ROCPRIM_400000_NS6detail17trampoline_kernelINS0_14default_configENS1_25partition_config_selectorILNS1_17partition_subalgoE5ElNS0_10empty_typeEbEEZZNS1_14partition_implILS5_5ELb0ES3_mN6hipcub16HIPCUB_304000_NS21CountingInputIteratorIllEEPS6_NSA_22TransformInputIteratorIb7NonZeroIfEPflEENS0_5tupleIJPlS6_EEENSJ_IJSD_SD_EEES6_SK_JS6_EEE10hipError_tPvRmT3_T4_T5_T6_T7_T9_mT8_P12ihipStream_tbDpT10_ENKUlT_T0_E_clISt17integral_constantIbLb0EES15_IbLb1EEEEDaS11_S12_EUlS11_E_NS1_11comp_targetILNS1_3genE8ELNS1_11target_archE1030ELNS1_3gpuE2ELNS1_3repE0EEENS1_30default_config_static_selectorELNS0_4arch9wavefront6targetE1EEEvT1_, .Lfunc_end284-_ZN7rocprim17ROCPRIM_400000_NS6detail17trampoline_kernelINS0_14default_configENS1_25partition_config_selectorILNS1_17partition_subalgoE5ElNS0_10empty_typeEbEEZZNS1_14partition_implILS5_5ELb0ES3_mN6hipcub16HIPCUB_304000_NS21CountingInputIteratorIllEEPS6_NSA_22TransformInputIteratorIb7NonZeroIfEPflEENS0_5tupleIJPlS6_EEENSJ_IJSD_SD_EEES6_SK_JS6_EEE10hipError_tPvRmT3_T4_T5_T6_T7_T9_mT8_P12ihipStream_tbDpT10_ENKUlT_T0_E_clISt17integral_constantIbLb0EES15_IbLb1EEEEDaS11_S12_EUlS11_E_NS1_11comp_targetILNS1_3genE8ELNS1_11target_archE1030ELNS1_3gpuE2ELNS1_3repE0EEENS1_30default_config_static_selectorELNS0_4arch9wavefront6targetE1EEEvT1_
                                        ; -- End function
	.set _ZN7rocprim17ROCPRIM_400000_NS6detail17trampoline_kernelINS0_14default_configENS1_25partition_config_selectorILNS1_17partition_subalgoE5ElNS0_10empty_typeEbEEZZNS1_14partition_implILS5_5ELb0ES3_mN6hipcub16HIPCUB_304000_NS21CountingInputIteratorIllEEPS6_NSA_22TransformInputIteratorIb7NonZeroIfEPflEENS0_5tupleIJPlS6_EEENSJ_IJSD_SD_EEES6_SK_JS6_EEE10hipError_tPvRmT3_T4_T5_T6_T7_T9_mT8_P12ihipStream_tbDpT10_ENKUlT_T0_E_clISt17integral_constantIbLb0EES15_IbLb1EEEEDaS11_S12_EUlS11_E_NS1_11comp_targetILNS1_3genE8ELNS1_11target_archE1030ELNS1_3gpuE2ELNS1_3repE0EEENS1_30default_config_static_selectorELNS0_4arch9wavefront6targetE1EEEvT1_.num_vgpr, 0
	.set _ZN7rocprim17ROCPRIM_400000_NS6detail17trampoline_kernelINS0_14default_configENS1_25partition_config_selectorILNS1_17partition_subalgoE5ElNS0_10empty_typeEbEEZZNS1_14partition_implILS5_5ELb0ES3_mN6hipcub16HIPCUB_304000_NS21CountingInputIteratorIllEEPS6_NSA_22TransformInputIteratorIb7NonZeroIfEPflEENS0_5tupleIJPlS6_EEENSJ_IJSD_SD_EEES6_SK_JS6_EEE10hipError_tPvRmT3_T4_T5_T6_T7_T9_mT8_P12ihipStream_tbDpT10_ENKUlT_T0_E_clISt17integral_constantIbLb0EES15_IbLb1EEEEDaS11_S12_EUlS11_E_NS1_11comp_targetILNS1_3genE8ELNS1_11target_archE1030ELNS1_3gpuE2ELNS1_3repE0EEENS1_30default_config_static_selectorELNS0_4arch9wavefront6targetE1EEEvT1_.num_agpr, 0
	.set _ZN7rocprim17ROCPRIM_400000_NS6detail17trampoline_kernelINS0_14default_configENS1_25partition_config_selectorILNS1_17partition_subalgoE5ElNS0_10empty_typeEbEEZZNS1_14partition_implILS5_5ELb0ES3_mN6hipcub16HIPCUB_304000_NS21CountingInputIteratorIllEEPS6_NSA_22TransformInputIteratorIb7NonZeroIfEPflEENS0_5tupleIJPlS6_EEENSJ_IJSD_SD_EEES6_SK_JS6_EEE10hipError_tPvRmT3_T4_T5_T6_T7_T9_mT8_P12ihipStream_tbDpT10_ENKUlT_T0_E_clISt17integral_constantIbLb0EES15_IbLb1EEEEDaS11_S12_EUlS11_E_NS1_11comp_targetILNS1_3genE8ELNS1_11target_archE1030ELNS1_3gpuE2ELNS1_3repE0EEENS1_30default_config_static_selectorELNS0_4arch9wavefront6targetE1EEEvT1_.numbered_sgpr, 0
	.set _ZN7rocprim17ROCPRIM_400000_NS6detail17trampoline_kernelINS0_14default_configENS1_25partition_config_selectorILNS1_17partition_subalgoE5ElNS0_10empty_typeEbEEZZNS1_14partition_implILS5_5ELb0ES3_mN6hipcub16HIPCUB_304000_NS21CountingInputIteratorIllEEPS6_NSA_22TransformInputIteratorIb7NonZeroIfEPflEENS0_5tupleIJPlS6_EEENSJ_IJSD_SD_EEES6_SK_JS6_EEE10hipError_tPvRmT3_T4_T5_T6_T7_T9_mT8_P12ihipStream_tbDpT10_ENKUlT_T0_E_clISt17integral_constantIbLb0EES15_IbLb1EEEEDaS11_S12_EUlS11_E_NS1_11comp_targetILNS1_3genE8ELNS1_11target_archE1030ELNS1_3gpuE2ELNS1_3repE0EEENS1_30default_config_static_selectorELNS0_4arch9wavefront6targetE1EEEvT1_.num_named_barrier, 0
	.set _ZN7rocprim17ROCPRIM_400000_NS6detail17trampoline_kernelINS0_14default_configENS1_25partition_config_selectorILNS1_17partition_subalgoE5ElNS0_10empty_typeEbEEZZNS1_14partition_implILS5_5ELb0ES3_mN6hipcub16HIPCUB_304000_NS21CountingInputIteratorIllEEPS6_NSA_22TransformInputIteratorIb7NonZeroIfEPflEENS0_5tupleIJPlS6_EEENSJ_IJSD_SD_EEES6_SK_JS6_EEE10hipError_tPvRmT3_T4_T5_T6_T7_T9_mT8_P12ihipStream_tbDpT10_ENKUlT_T0_E_clISt17integral_constantIbLb0EES15_IbLb1EEEEDaS11_S12_EUlS11_E_NS1_11comp_targetILNS1_3genE8ELNS1_11target_archE1030ELNS1_3gpuE2ELNS1_3repE0EEENS1_30default_config_static_selectorELNS0_4arch9wavefront6targetE1EEEvT1_.private_seg_size, 0
	.set _ZN7rocprim17ROCPRIM_400000_NS6detail17trampoline_kernelINS0_14default_configENS1_25partition_config_selectorILNS1_17partition_subalgoE5ElNS0_10empty_typeEbEEZZNS1_14partition_implILS5_5ELb0ES3_mN6hipcub16HIPCUB_304000_NS21CountingInputIteratorIllEEPS6_NSA_22TransformInputIteratorIb7NonZeroIfEPflEENS0_5tupleIJPlS6_EEENSJ_IJSD_SD_EEES6_SK_JS6_EEE10hipError_tPvRmT3_T4_T5_T6_T7_T9_mT8_P12ihipStream_tbDpT10_ENKUlT_T0_E_clISt17integral_constantIbLb0EES15_IbLb1EEEEDaS11_S12_EUlS11_E_NS1_11comp_targetILNS1_3genE8ELNS1_11target_archE1030ELNS1_3gpuE2ELNS1_3repE0EEENS1_30default_config_static_selectorELNS0_4arch9wavefront6targetE1EEEvT1_.uses_vcc, 0
	.set _ZN7rocprim17ROCPRIM_400000_NS6detail17trampoline_kernelINS0_14default_configENS1_25partition_config_selectorILNS1_17partition_subalgoE5ElNS0_10empty_typeEbEEZZNS1_14partition_implILS5_5ELb0ES3_mN6hipcub16HIPCUB_304000_NS21CountingInputIteratorIllEEPS6_NSA_22TransformInputIteratorIb7NonZeroIfEPflEENS0_5tupleIJPlS6_EEENSJ_IJSD_SD_EEES6_SK_JS6_EEE10hipError_tPvRmT3_T4_T5_T6_T7_T9_mT8_P12ihipStream_tbDpT10_ENKUlT_T0_E_clISt17integral_constantIbLb0EES15_IbLb1EEEEDaS11_S12_EUlS11_E_NS1_11comp_targetILNS1_3genE8ELNS1_11target_archE1030ELNS1_3gpuE2ELNS1_3repE0EEENS1_30default_config_static_selectorELNS0_4arch9wavefront6targetE1EEEvT1_.uses_flat_scratch, 0
	.set _ZN7rocprim17ROCPRIM_400000_NS6detail17trampoline_kernelINS0_14default_configENS1_25partition_config_selectorILNS1_17partition_subalgoE5ElNS0_10empty_typeEbEEZZNS1_14partition_implILS5_5ELb0ES3_mN6hipcub16HIPCUB_304000_NS21CountingInputIteratorIllEEPS6_NSA_22TransformInputIteratorIb7NonZeroIfEPflEENS0_5tupleIJPlS6_EEENSJ_IJSD_SD_EEES6_SK_JS6_EEE10hipError_tPvRmT3_T4_T5_T6_T7_T9_mT8_P12ihipStream_tbDpT10_ENKUlT_T0_E_clISt17integral_constantIbLb0EES15_IbLb1EEEEDaS11_S12_EUlS11_E_NS1_11comp_targetILNS1_3genE8ELNS1_11target_archE1030ELNS1_3gpuE2ELNS1_3repE0EEENS1_30default_config_static_selectorELNS0_4arch9wavefront6targetE1EEEvT1_.has_dyn_sized_stack, 0
	.set _ZN7rocprim17ROCPRIM_400000_NS6detail17trampoline_kernelINS0_14default_configENS1_25partition_config_selectorILNS1_17partition_subalgoE5ElNS0_10empty_typeEbEEZZNS1_14partition_implILS5_5ELb0ES3_mN6hipcub16HIPCUB_304000_NS21CountingInputIteratorIllEEPS6_NSA_22TransformInputIteratorIb7NonZeroIfEPflEENS0_5tupleIJPlS6_EEENSJ_IJSD_SD_EEES6_SK_JS6_EEE10hipError_tPvRmT3_T4_T5_T6_T7_T9_mT8_P12ihipStream_tbDpT10_ENKUlT_T0_E_clISt17integral_constantIbLb0EES15_IbLb1EEEEDaS11_S12_EUlS11_E_NS1_11comp_targetILNS1_3genE8ELNS1_11target_archE1030ELNS1_3gpuE2ELNS1_3repE0EEENS1_30default_config_static_selectorELNS0_4arch9wavefront6targetE1EEEvT1_.has_recursion, 0
	.set _ZN7rocprim17ROCPRIM_400000_NS6detail17trampoline_kernelINS0_14default_configENS1_25partition_config_selectorILNS1_17partition_subalgoE5ElNS0_10empty_typeEbEEZZNS1_14partition_implILS5_5ELb0ES3_mN6hipcub16HIPCUB_304000_NS21CountingInputIteratorIllEEPS6_NSA_22TransformInputIteratorIb7NonZeroIfEPflEENS0_5tupleIJPlS6_EEENSJ_IJSD_SD_EEES6_SK_JS6_EEE10hipError_tPvRmT3_T4_T5_T6_T7_T9_mT8_P12ihipStream_tbDpT10_ENKUlT_T0_E_clISt17integral_constantIbLb0EES15_IbLb1EEEEDaS11_S12_EUlS11_E_NS1_11comp_targetILNS1_3genE8ELNS1_11target_archE1030ELNS1_3gpuE2ELNS1_3repE0EEENS1_30default_config_static_selectorELNS0_4arch9wavefront6targetE1EEEvT1_.has_indirect_call, 0
	.section	.AMDGPU.csdata,"",@progbits
; Kernel info:
; codeLenInByte = 0
; TotalNumSgprs: 4
; NumVgprs: 0
; ScratchSize: 0
; MemoryBound: 0
; FloatMode: 240
; IeeeMode: 1
; LDSByteSize: 0 bytes/workgroup (compile time only)
; SGPRBlocks: 0
; VGPRBlocks: 0
; NumSGPRsForWavesPerEU: 4
; NumVGPRsForWavesPerEU: 1
; Occupancy: 10
; WaveLimiterHint : 0
; COMPUTE_PGM_RSRC2:SCRATCH_EN: 0
; COMPUTE_PGM_RSRC2:USER_SGPR: 6
; COMPUTE_PGM_RSRC2:TRAP_HANDLER: 0
; COMPUTE_PGM_RSRC2:TGID_X_EN: 1
; COMPUTE_PGM_RSRC2:TGID_Y_EN: 0
; COMPUTE_PGM_RSRC2:TGID_Z_EN: 0
; COMPUTE_PGM_RSRC2:TIDIG_COMP_CNT: 0
	.section	.text._ZN7rocprim17ROCPRIM_400000_NS6detail17trampoline_kernelINS0_14default_configENS1_22reduce_config_selectorIlEEZNS1_11reduce_implILb1ES3_PlS7_lN6hipcub16HIPCUB_304000_NS6detail34convert_binary_result_type_wrapperINS9_3SumENS9_22TransformInputIteratorIb7NonZeroIdEPdlEElEEEE10hipError_tPvRmT1_T2_T3_mT4_P12ihipStream_tbEUlT_E0_NS1_11comp_targetILNS1_3genE0ELNS1_11target_archE4294967295ELNS1_3gpuE0ELNS1_3repE0EEENS1_30default_config_static_selectorELNS0_4arch9wavefront6targetE1EEEvSM_,"axG",@progbits,_ZN7rocprim17ROCPRIM_400000_NS6detail17trampoline_kernelINS0_14default_configENS1_22reduce_config_selectorIlEEZNS1_11reduce_implILb1ES3_PlS7_lN6hipcub16HIPCUB_304000_NS6detail34convert_binary_result_type_wrapperINS9_3SumENS9_22TransformInputIteratorIb7NonZeroIdEPdlEElEEEE10hipError_tPvRmT1_T2_T3_mT4_P12ihipStream_tbEUlT_E0_NS1_11comp_targetILNS1_3genE0ELNS1_11target_archE4294967295ELNS1_3gpuE0ELNS1_3repE0EEENS1_30default_config_static_selectorELNS0_4arch9wavefront6targetE1EEEvSM_,comdat
	.protected	_ZN7rocprim17ROCPRIM_400000_NS6detail17trampoline_kernelINS0_14default_configENS1_22reduce_config_selectorIlEEZNS1_11reduce_implILb1ES3_PlS7_lN6hipcub16HIPCUB_304000_NS6detail34convert_binary_result_type_wrapperINS9_3SumENS9_22TransformInputIteratorIb7NonZeroIdEPdlEElEEEE10hipError_tPvRmT1_T2_T3_mT4_P12ihipStream_tbEUlT_E0_NS1_11comp_targetILNS1_3genE0ELNS1_11target_archE4294967295ELNS1_3gpuE0ELNS1_3repE0EEENS1_30default_config_static_selectorELNS0_4arch9wavefront6targetE1EEEvSM_ ; -- Begin function _ZN7rocprim17ROCPRIM_400000_NS6detail17trampoline_kernelINS0_14default_configENS1_22reduce_config_selectorIlEEZNS1_11reduce_implILb1ES3_PlS7_lN6hipcub16HIPCUB_304000_NS6detail34convert_binary_result_type_wrapperINS9_3SumENS9_22TransformInputIteratorIb7NonZeroIdEPdlEElEEEE10hipError_tPvRmT1_T2_T3_mT4_P12ihipStream_tbEUlT_E0_NS1_11comp_targetILNS1_3genE0ELNS1_11target_archE4294967295ELNS1_3gpuE0ELNS1_3repE0EEENS1_30default_config_static_selectorELNS0_4arch9wavefront6targetE1EEEvSM_
	.globl	_ZN7rocprim17ROCPRIM_400000_NS6detail17trampoline_kernelINS0_14default_configENS1_22reduce_config_selectorIlEEZNS1_11reduce_implILb1ES3_PlS7_lN6hipcub16HIPCUB_304000_NS6detail34convert_binary_result_type_wrapperINS9_3SumENS9_22TransformInputIteratorIb7NonZeroIdEPdlEElEEEE10hipError_tPvRmT1_T2_T3_mT4_P12ihipStream_tbEUlT_E0_NS1_11comp_targetILNS1_3genE0ELNS1_11target_archE4294967295ELNS1_3gpuE0ELNS1_3repE0EEENS1_30default_config_static_selectorELNS0_4arch9wavefront6targetE1EEEvSM_
	.p2align	8
	.type	_ZN7rocprim17ROCPRIM_400000_NS6detail17trampoline_kernelINS0_14default_configENS1_22reduce_config_selectorIlEEZNS1_11reduce_implILb1ES3_PlS7_lN6hipcub16HIPCUB_304000_NS6detail34convert_binary_result_type_wrapperINS9_3SumENS9_22TransformInputIteratorIb7NonZeroIdEPdlEElEEEE10hipError_tPvRmT1_T2_T3_mT4_P12ihipStream_tbEUlT_E0_NS1_11comp_targetILNS1_3genE0ELNS1_11target_archE4294967295ELNS1_3gpuE0ELNS1_3repE0EEENS1_30default_config_static_selectorELNS0_4arch9wavefront6targetE1EEEvSM_,@function
_ZN7rocprim17ROCPRIM_400000_NS6detail17trampoline_kernelINS0_14default_configENS1_22reduce_config_selectorIlEEZNS1_11reduce_implILb1ES3_PlS7_lN6hipcub16HIPCUB_304000_NS6detail34convert_binary_result_type_wrapperINS9_3SumENS9_22TransformInputIteratorIb7NonZeroIdEPdlEElEEEE10hipError_tPvRmT1_T2_T3_mT4_P12ihipStream_tbEUlT_E0_NS1_11comp_targetILNS1_3genE0ELNS1_11target_archE4294967295ELNS1_3gpuE0ELNS1_3repE0EEENS1_30default_config_static_selectorELNS0_4arch9wavefront6targetE1EEEvSM_: ; @_ZN7rocprim17ROCPRIM_400000_NS6detail17trampoline_kernelINS0_14default_configENS1_22reduce_config_selectorIlEEZNS1_11reduce_implILb1ES3_PlS7_lN6hipcub16HIPCUB_304000_NS6detail34convert_binary_result_type_wrapperINS9_3SumENS9_22TransformInputIteratorIb7NonZeroIdEPdlEElEEEE10hipError_tPvRmT1_T2_T3_mT4_P12ihipStream_tbEUlT_E0_NS1_11comp_targetILNS1_3genE0ELNS1_11target_archE4294967295ELNS1_3gpuE0ELNS1_3repE0EEENS1_30default_config_static_selectorELNS0_4arch9wavefront6targetE1EEEvSM_
; %bb.0:
	.section	.rodata,"a",@progbits
	.p2align	6, 0x0
	.amdhsa_kernel _ZN7rocprim17ROCPRIM_400000_NS6detail17trampoline_kernelINS0_14default_configENS1_22reduce_config_selectorIlEEZNS1_11reduce_implILb1ES3_PlS7_lN6hipcub16HIPCUB_304000_NS6detail34convert_binary_result_type_wrapperINS9_3SumENS9_22TransformInputIteratorIb7NonZeroIdEPdlEElEEEE10hipError_tPvRmT1_T2_T3_mT4_P12ihipStream_tbEUlT_E0_NS1_11comp_targetILNS1_3genE0ELNS1_11target_archE4294967295ELNS1_3gpuE0ELNS1_3repE0EEENS1_30default_config_static_selectorELNS0_4arch9wavefront6targetE1EEEvSM_
		.amdhsa_group_segment_fixed_size 0
		.amdhsa_private_segment_fixed_size 0
		.amdhsa_kernarg_size 64
		.amdhsa_user_sgpr_count 6
		.amdhsa_user_sgpr_private_segment_buffer 1
		.amdhsa_user_sgpr_dispatch_ptr 0
		.amdhsa_user_sgpr_queue_ptr 0
		.amdhsa_user_sgpr_kernarg_segment_ptr 1
		.amdhsa_user_sgpr_dispatch_id 0
		.amdhsa_user_sgpr_flat_scratch_init 0
		.amdhsa_user_sgpr_private_segment_size 0
		.amdhsa_uses_dynamic_stack 0
		.amdhsa_system_sgpr_private_segment_wavefront_offset 0
		.amdhsa_system_sgpr_workgroup_id_x 1
		.amdhsa_system_sgpr_workgroup_id_y 0
		.amdhsa_system_sgpr_workgroup_id_z 0
		.amdhsa_system_sgpr_workgroup_info 0
		.amdhsa_system_vgpr_workitem_id 0
		.amdhsa_next_free_vgpr 1
		.amdhsa_next_free_sgpr 0
		.amdhsa_reserve_vcc 0
		.amdhsa_reserve_flat_scratch 0
		.amdhsa_float_round_mode_32 0
		.amdhsa_float_round_mode_16_64 0
		.amdhsa_float_denorm_mode_32 3
		.amdhsa_float_denorm_mode_16_64 3
		.amdhsa_dx10_clamp 1
		.amdhsa_ieee_mode 1
		.amdhsa_fp16_overflow 0
		.amdhsa_exception_fp_ieee_invalid_op 0
		.amdhsa_exception_fp_denorm_src 0
		.amdhsa_exception_fp_ieee_div_zero 0
		.amdhsa_exception_fp_ieee_overflow 0
		.amdhsa_exception_fp_ieee_underflow 0
		.amdhsa_exception_fp_ieee_inexact 0
		.amdhsa_exception_int_div_zero 0
	.end_amdhsa_kernel
	.section	.text._ZN7rocprim17ROCPRIM_400000_NS6detail17trampoline_kernelINS0_14default_configENS1_22reduce_config_selectorIlEEZNS1_11reduce_implILb1ES3_PlS7_lN6hipcub16HIPCUB_304000_NS6detail34convert_binary_result_type_wrapperINS9_3SumENS9_22TransformInputIteratorIb7NonZeroIdEPdlEElEEEE10hipError_tPvRmT1_T2_T3_mT4_P12ihipStream_tbEUlT_E0_NS1_11comp_targetILNS1_3genE0ELNS1_11target_archE4294967295ELNS1_3gpuE0ELNS1_3repE0EEENS1_30default_config_static_selectorELNS0_4arch9wavefront6targetE1EEEvSM_,"axG",@progbits,_ZN7rocprim17ROCPRIM_400000_NS6detail17trampoline_kernelINS0_14default_configENS1_22reduce_config_selectorIlEEZNS1_11reduce_implILb1ES3_PlS7_lN6hipcub16HIPCUB_304000_NS6detail34convert_binary_result_type_wrapperINS9_3SumENS9_22TransformInputIteratorIb7NonZeroIdEPdlEElEEEE10hipError_tPvRmT1_T2_T3_mT4_P12ihipStream_tbEUlT_E0_NS1_11comp_targetILNS1_3genE0ELNS1_11target_archE4294967295ELNS1_3gpuE0ELNS1_3repE0EEENS1_30default_config_static_selectorELNS0_4arch9wavefront6targetE1EEEvSM_,comdat
.Lfunc_end285:
	.size	_ZN7rocprim17ROCPRIM_400000_NS6detail17trampoline_kernelINS0_14default_configENS1_22reduce_config_selectorIlEEZNS1_11reduce_implILb1ES3_PlS7_lN6hipcub16HIPCUB_304000_NS6detail34convert_binary_result_type_wrapperINS9_3SumENS9_22TransformInputIteratorIb7NonZeroIdEPdlEElEEEE10hipError_tPvRmT1_T2_T3_mT4_P12ihipStream_tbEUlT_E0_NS1_11comp_targetILNS1_3genE0ELNS1_11target_archE4294967295ELNS1_3gpuE0ELNS1_3repE0EEENS1_30default_config_static_selectorELNS0_4arch9wavefront6targetE1EEEvSM_, .Lfunc_end285-_ZN7rocprim17ROCPRIM_400000_NS6detail17trampoline_kernelINS0_14default_configENS1_22reduce_config_selectorIlEEZNS1_11reduce_implILb1ES3_PlS7_lN6hipcub16HIPCUB_304000_NS6detail34convert_binary_result_type_wrapperINS9_3SumENS9_22TransformInputIteratorIb7NonZeroIdEPdlEElEEEE10hipError_tPvRmT1_T2_T3_mT4_P12ihipStream_tbEUlT_E0_NS1_11comp_targetILNS1_3genE0ELNS1_11target_archE4294967295ELNS1_3gpuE0ELNS1_3repE0EEENS1_30default_config_static_selectorELNS0_4arch9wavefront6targetE1EEEvSM_
                                        ; -- End function
	.set _ZN7rocprim17ROCPRIM_400000_NS6detail17trampoline_kernelINS0_14default_configENS1_22reduce_config_selectorIlEEZNS1_11reduce_implILb1ES3_PlS7_lN6hipcub16HIPCUB_304000_NS6detail34convert_binary_result_type_wrapperINS9_3SumENS9_22TransformInputIteratorIb7NonZeroIdEPdlEElEEEE10hipError_tPvRmT1_T2_T3_mT4_P12ihipStream_tbEUlT_E0_NS1_11comp_targetILNS1_3genE0ELNS1_11target_archE4294967295ELNS1_3gpuE0ELNS1_3repE0EEENS1_30default_config_static_selectorELNS0_4arch9wavefront6targetE1EEEvSM_.num_vgpr, 0
	.set _ZN7rocprim17ROCPRIM_400000_NS6detail17trampoline_kernelINS0_14default_configENS1_22reduce_config_selectorIlEEZNS1_11reduce_implILb1ES3_PlS7_lN6hipcub16HIPCUB_304000_NS6detail34convert_binary_result_type_wrapperINS9_3SumENS9_22TransformInputIteratorIb7NonZeroIdEPdlEElEEEE10hipError_tPvRmT1_T2_T3_mT4_P12ihipStream_tbEUlT_E0_NS1_11comp_targetILNS1_3genE0ELNS1_11target_archE4294967295ELNS1_3gpuE0ELNS1_3repE0EEENS1_30default_config_static_selectorELNS0_4arch9wavefront6targetE1EEEvSM_.num_agpr, 0
	.set _ZN7rocprim17ROCPRIM_400000_NS6detail17trampoline_kernelINS0_14default_configENS1_22reduce_config_selectorIlEEZNS1_11reduce_implILb1ES3_PlS7_lN6hipcub16HIPCUB_304000_NS6detail34convert_binary_result_type_wrapperINS9_3SumENS9_22TransformInputIteratorIb7NonZeroIdEPdlEElEEEE10hipError_tPvRmT1_T2_T3_mT4_P12ihipStream_tbEUlT_E0_NS1_11comp_targetILNS1_3genE0ELNS1_11target_archE4294967295ELNS1_3gpuE0ELNS1_3repE0EEENS1_30default_config_static_selectorELNS0_4arch9wavefront6targetE1EEEvSM_.numbered_sgpr, 0
	.set _ZN7rocprim17ROCPRIM_400000_NS6detail17trampoline_kernelINS0_14default_configENS1_22reduce_config_selectorIlEEZNS1_11reduce_implILb1ES3_PlS7_lN6hipcub16HIPCUB_304000_NS6detail34convert_binary_result_type_wrapperINS9_3SumENS9_22TransformInputIteratorIb7NonZeroIdEPdlEElEEEE10hipError_tPvRmT1_T2_T3_mT4_P12ihipStream_tbEUlT_E0_NS1_11comp_targetILNS1_3genE0ELNS1_11target_archE4294967295ELNS1_3gpuE0ELNS1_3repE0EEENS1_30default_config_static_selectorELNS0_4arch9wavefront6targetE1EEEvSM_.num_named_barrier, 0
	.set _ZN7rocprim17ROCPRIM_400000_NS6detail17trampoline_kernelINS0_14default_configENS1_22reduce_config_selectorIlEEZNS1_11reduce_implILb1ES3_PlS7_lN6hipcub16HIPCUB_304000_NS6detail34convert_binary_result_type_wrapperINS9_3SumENS9_22TransformInputIteratorIb7NonZeroIdEPdlEElEEEE10hipError_tPvRmT1_T2_T3_mT4_P12ihipStream_tbEUlT_E0_NS1_11comp_targetILNS1_3genE0ELNS1_11target_archE4294967295ELNS1_3gpuE0ELNS1_3repE0EEENS1_30default_config_static_selectorELNS0_4arch9wavefront6targetE1EEEvSM_.private_seg_size, 0
	.set _ZN7rocprim17ROCPRIM_400000_NS6detail17trampoline_kernelINS0_14default_configENS1_22reduce_config_selectorIlEEZNS1_11reduce_implILb1ES3_PlS7_lN6hipcub16HIPCUB_304000_NS6detail34convert_binary_result_type_wrapperINS9_3SumENS9_22TransformInputIteratorIb7NonZeroIdEPdlEElEEEE10hipError_tPvRmT1_T2_T3_mT4_P12ihipStream_tbEUlT_E0_NS1_11comp_targetILNS1_3genE0ELNS1_11target_archE4294967295ELNS1_3gpuE0ELNS1_3repE0EEENS1_30default_config_static_selectorELNS0_4arch9wavefront6targetE1EEEvSM_.uses_vcc, 0
	.set _ZN7rocprim17ROCPRIM_400000_NS6detail17trampoline_kernelINS0_14default_configENS1_22reduce_config_selectorIlEEZNS1_11reduce_implILb1ES3_PlS7_lN6hipcub16HIPCUB_304000_NS6detail34convert_binary_result_type_wrapperINS9_3SumENS9_22TransformInputIteratorIb7NonZeroIdEPdlEElEEEE10hipError_tPvRmT1_T2_T3_mT4_P12ihipStream_tbEUlT_E0_NS1_11comp_targetILNS1_3genE0ELNS1_11target_archE4294967295ELNS1_3gpuE0ELNS1_3repE0EEENS1_30default_config_static_selectorELNS0_4arch9wavefront6targetE1EEEvSM_.uses_flat_scratch, 0
	.set _ZN7rocprim17ROCPRIM_400000_NS6detail17trampoline_kernelINS0_14default_configENS1_22reduce_config_selectorIlEEZNS1_11reduce_implILb1ES3_PlS7_lN6hipcub16HIPCUB_304000_NS6detail34convert_binary_result_type_wrapperINS9_3SumENS9_22TransformInputIteratorIb7NonZeroIdEPdlEElEEEE10hipError_tPvRmT1_T2_T3_mT4_P12ihipStream_tbEUlT_E0_NS1_11comp_targetILNS1_3genE0ELNS1_11target_archE4294967295ELNS1_3gpuE0ELNS1_3repE0EEENS1_30default_config_static_selectorELNS0_4arch9wavefront6targetE1EEEvSM_.has_dyn_sized_stack, 0
	.set _ZN7rocprim17ROCPRIM_400000_NS6detail17trampoline_kernelINS0_14default_configENS1_22reduce_config_selectorIlEEZNS1_11reduce_implILb1ES3_PlS7_lN6hipcub16HIPCUB_304000_NS6detail34convert_binary_result_type_wrapperINS9_3SumENS9_22TransformInputIteratorIb7NonZeroIdEPdlEElEEEE10hipError_tPvRmT1_T2_T3_mT4_P12ihipStream_tbEUlT_E0_NS1_11comp_targetILNS1_3genE0ELNS1_11target_archE4294967295ELNS1_3gpuE0ELNS1_3repE0EEENS1_30default_config_static_selectorELNS0_4arch9wavefront6targetE1EEEvSM_.has_recursion, 0
	.set _ZN7rocprim17ROCPRIM_400000_NS6detail17trampoline_kernelINS0_14default_configENS1_22reduce_config_selectorIlEEZNS1_11reduce_implILb1ES3_PlS7_lN6hipcub16HIPCUB_304000_NS6detail34convert_binary_result_type_wrapperINS9_3SumENS9_22TransformInputIteratorIb7NonZeroIdEPdlEElEEEE10hipError_tPvRmT1_T2_T3_mT4_P12ihipStream_tbEUlT_E0_NS1_11comp_targetILNS1_3genE0ELNS1_11target_archE4294967295ELNS1_3gpuE0ELNS1_3repE0EEENS1_30default_config_static_selectorELNS0_4arch9wavefront6targetE1EEEvSM_.has_indirect_call, 0
	.section	.AMDGPU.csdata,"",@progbits
; Kernel info:
; codeLenInByte = 0
; TotalNumSgprs: 4
; NumVgprs: 0
; ScratchSize: 0
; MemoryBound: 0
; FloatMode: 240
; IeeeMode: 1
; LDSByteSize: 0 bytes/workgroup (compile time only)
; SGPRBlocks: 0
; VGPRBlocks: 0
; NumSGPRsForWavesPerEU: 4
; NumVGPRsForWavesPerEU: 1
; Occupancy: 10
; WaveLimiterHint : 0
; COMPUTE_PGM_RSRC2:SCRATCH_EN: 0
; COMPUTE_PGM_RSRC2:USER_SGPR: 6
; COMPUTE_PGM_RSRC2:TRAP_HANDLER: 0
; COMPUTE_PGM_RSRC2:TGID_X_EN: 1
; COMPUTE_PGM_RSRC2:TGID_Y_EN: 0
; COMPUTE_PGM_RSRC2:TGID_Z_EN: 0
; COMPUTE_PGM_RSRC2:TIDIG_COMP_CNT: 0
	.section	.text._ZN7rocprim17ROCPRIM_400000_NS6detail17trampoline_kernelINS0_14default_configENS1_22reduce_config_selectorIlEEZNS1_11reduce_implILb1ES3_PlS7_lN6hipcub16HIPCUB_304000_NS6detail34convert_binary_result_type_wrapperINS9_3SumENS9_22TransformInputIteratorIb7NonZeroIdEPdlEElEEEE10hipError_tPvRmT1_T2_T3_mT4_P12ihipStream_tbEUlT_E0_NS1_11comp_targetILNS1_3genE5ELNS1_11target_archE942ELNS1_3gpuE9ELNS1_3repE0EEENS1_30default_config_static_selectorELNS0_4arch9wavefront6targetE1EEEvSM_,"axG",@progbits,_ZN7rocprim17ROCPRIM_400000_NS6detail17trampoline_kernelINS0_14default_configENS1_22reduce_config_selectorIlEEZNS1_11reduce_implILb1ES3_PlS7_lN6hipcub16HIPCUB_304000_NS6detail34convert_binary_result_type_wrapperINS9_3SumENS9_22TransformInputIteratorIb7NonZeroIdEPdlEElEEEE10hipError_tPvRmT1_T2_T3_mT4_P12ihipStream_tbEUlT_E0_NS1_11comp_targetILNS1_3genE5ELNS1_11target_archE942ELNS1_3gpuE9ELNS1_3repE0EEENS1_30default_config_static_selectorELNS0_4arch9wavefront6targetE1EEEvSM_,comdat
	.protected	_ZN7rocprim17ROCPRIM_400000_NS6detail17trampoline_kernelINS0_14default_configENS1_22reduce_config_selectorIlEEZNS1_11reduce_implILb1ES3_PlS7_lN6hipcub16HIPCUB_304000_NS6detail34convert_binary_result_type_wrapperINS9_3SumENS9_22TransformInputIteratorIb7NonZeroIdEPdlEElEEEE10hipError_tPvRmT1_T2_T3_mT4_P12ihipStream_tbEUlT_E0_NS1_11comp_targetILNS1_3genE5ELNS1_11target_archE942ELNS1_3gpuE9ELNS1_3repE0EEENS1_30default_config_static_selectorELNS0_4arch9wavefront6targetE1EEEvSM_ ; -- Begin function _ZN7rocprim17ROCPRIM_400000_NS6detail17trampoline_kernelINS0_14default_configENS1_22reduce_config_selectorIlEEZNS1_11reduce_implILb1ES3_PlS7_lN6hipcub16HIPCUB_304000_NS6detail34convert_binary_result_type_wrapperINS9_3SumENS9_22TransformInputIteratorIb7NonZeroIdEPdlEElEEEE10hipError_tPvRmT1_T2_T3_mT4_P12ihipStream_tbEUlT_E0_NS1_11comp_targetILNS1_3genE5ELNS1_11target_archE942ELNS1_3gpuE9ELNS1_3repE0EEENS1_30default_config_static_selectorELNS0_4arch9wavefront6targetE1EEEvSM_
	.globl	_ZN7rocprim17ROCPRIM_400000_NS6detail17trampoline_kernelINS0_14default_configENS1_22reduce_config_selectorIlEEZNS1_11reduce_implILb1ES3_PlS7_lN6hipcub16HIPCUB_304000_NS6detail34convert_binary_result_type_wrapperINS9_3SumENS9_22TransformInputIteratorIb7NonZeroIdEPdlEElEEEE10hipError_tPvRmT1_T2_T3_mT4_P12ihipStream_tbEUlT_E0_NS1_11comp_targetILNS1_3genE5ELNS1_11target_archE942ELNS1_3gpuE9ELNS1_3repE0EEENS1_30default_config_static_selectorELNS0_4arch9wavefront6targetE1EEEvSM_
	.p2align	8
	.type	_ZN7rocprim17ROCPRIM_400000_NS6detail17trampoline_kernelINS0_14default_configENS1_22reduce_config_selectorIlEEZNS1_11reduce_implILb1ES3_PlS7_lN6hipcub16HIPCUB_304000_NS6detail34convert_binary_result_type_wrapperINS9_3SumENS9_22TransformInputIteratorIb7NonZeroIdEPdlEElEEEE10hipError_tPvRmT1_T2_T3_mT4_P12ihipStream_tbEUlT_E0_NS1_11comp_targetILNS1_3genE5ELNS1_11target_archE942ELNS1_3gpuE9ELNS1_3repE0EEENS1_30default_config_static_selectorELNS0_4arch9wavefront6targetE1EEEvSM_,@function
_ZN7rocprim17ROCPRIM_400000_NS6detail17trampoline_kernelINS0_14default_configENS1_22reduce_config_selectorIlEEZNS1_11reduce_implILb1ES3_PlS7_lN6hipcub16HIPCUB_304000_NS6detail34convert_binary_result_type_wrapperINS9_3SumENS9_22TransformInputIteratorIb7NonZeroIdEPdlEElEEEE10hipError_tPvRmT1_T2_T3_mT4_P12ihipStream_tbEUlT_E0_NS1_11comp_targetILNS1_3genE5ELNS1_11target_archE942ELNS1_3gpuE9ELNS1_3repE0EEENS1_30default_config_static_selectorELNS0_4arch9wavefront6targetE1EEEvSM_: ; @_ZN7rocprim17ROCPRIM_400000_NS6detail17trampoline_kernelINS0_14default_configENS1_22reduce_config_selectorIlEEZNS1_11reduce_implILb1ES3_PlS7_lN6hipcub16HIPCUB_304000_NS6detail34convert_binary_result_type_wrapperINS9_3SumENS9_22TransformInputIteratorIb7NonZeroIdEPdlEElEEEE10hipError_tPvRmT1_T2_T3_mT4_P12ihipStream_tbEUlT_E0_NS1_11comp_targetILNS1_3genE5ELNS1_11target_archE942ELNS1_3gpuE9ELNS1_3repE0EEENS1_30default_config_static_selectorELNS0_4arch9wavefront6targetE1EEEvSM_
; %bb.0:
	.section	.rodata,"a",@progbits
	.p2align	6, 0x0
	.amdhsa_kernel _ZN7rocprim17ROCPRIM_400000_NS6detail17trampoline_kernelINS0_14default_configENS1_22reduce_config_selectorIlEEZNS1_11reduce_implILb1ES3_PlS7_lN6hipcub16HIPCUB_304000_NS6detail34convert_binary_result_type_wrapperINS9_3SumENS9_22TransformInputIteratorIb7NonZeroIdEPdlEElEEEE10hipError_tPvRmT1_T2_T3_mT4_P12ihipStream_tbEUlT_E0_NS1_11comp_targetILNS1_3genE5ELNS1_11target_archE942ELNS1_3gpuE9ELNS1_3repE0EEENS1_30default_config_static_selectorELNS0_4arch9wavefront6targetE1EEEvSM_
		.amdhsa_group_segment_fixed_size 0
		.amdhsa_private_segment_fixed_size 0
		.amdhsa_kernarg_size 64
		.amdhsa_user_sgpr_count 6
		.amdhsa_user_sgpr_private_segment_buffer 1
		.amdhsa_user_sgpr_dispatch_ptr 0
		.amdhsa_user_sgpr_queue_ptr 0
		.amdhsa_user_sgpr_kernarg_segment_ptr 1
		.amdhsa_user_sgpr_dispatch_id 0
		.amdhsa_user_sgpr_flat_scratch_init 0
		.amdhsa_user_sgpr_private_segment_size 0
		.amdhsa_uses_dynamic_stack 0
		.amdhsa_system_sgpr_private_segment_wavefront_offset 0
		.amdhsa_system_sgpr_workgroup_id_x 1
		.amdhsa_system_sgpr_workgroup_id_y 0
		.amdhsa_system_sgpr_workgroup_id_z 0
		.amdhsa_system_sgpr_workgroup_info 0
		.amdhsa_system_vgpr_workitem_id 0
		.amdhsa_next_free_vgpr 1
		.amdhsa_next_free_sgpr 0
		.amdhsa_reserve_vcc 0
		.amdhsa_reserve_flat_scratch 0
		.amdhsa_float_round_mode_32 0
		.amdhsa_float_round_mode_16_64 0
		.amdhsa_float_denorm_mode_32 3
		.amdhsa_float_denorm_mode_16_64 3
		.amdhsa_dx10_clamp 1
		.amdhsa_ieee_mode 1
		.amdhsa_fp16_overflow 0
		.amdhsa_exception_fp_ieee_invalid_op 0
		.amdhsa_exception_fp_denorm_src 0
		.amdhsa_exception_fp_ieee_div_zero 0
		.amdhsa_exception_fp_ieee_overflow 0
		.amdhsa_exception_fp_ieee_underflow 0
		.amdhsa_exception_fp_ieee_inexact 0
		.amdhsa_exception_int_div_zero 0
	.end_amdhsa_kernel
	.section	.text._ZN7rocprim17ROCPRIM_400000_NS6detail17trampoline_kernelINS0_14default_configENS1_22reduce_config_selectorIlEEZNS1_11reduce_implILb1ES3_PlS7_lN6hipcub16HIPCUB_304000_NS6detail34convert_binary_result_type_wrapperINS9_3SumENS9_22TransformInputIteratorIb7NonZeroIdEPdlEElEEEE10hipError_tPvRmT1_T2_T3_mT4_P12ihipStream_tbEUlT_E0_NS1_11comp_targetILNS1_3genE5ELNS1_11target_archE942ELNS1_3gpuE9ELNS1_3repE0EEENS1_30default_config_static_selectorELNS0_4arch9wavefront6targetE1EEEvSM_,"axG",@progbits,_ZN7rocprim17ROCPRIM_400000_NS6detail17trampoline_kernelINS0_14default_configENS1_22reduce_config_selectorIlEEZNS1_11reduce_implILb1ES3_PlS7_lN6hipcub16HIPCUB_304000_NS6detail34convert_binary_result_type_wrapperINS9_3SumENS9_22TransformInputIteratorIb7NonZeroIdEPdlEElEEEE10hipError_tPvRmT1_T2_T3_mT4_P12ihipStream_tbEUlT_E0_NS1_11comp_targetILNS1_3genE5ELNS1_11target_archE942ELNS1_3gpuE9ELNS1_3repE0EEENS1_30default_config_static_selectorELNS0_4arch9wavefront6targetE1EEEvSM_,comdat
.Lfunc_end286:
	.size	_ZN7rocprim17ROCPRIM_400000_NS6detail17trampoline_kernelINS0_14default_configENS1_22reduce_config_selectorIlEEZNS1_11reduce_implILb1ES3_PlS7_lN6hipcub16HIPCUB_304000_NS6detail34convert_binary_result_type_wrapperINS9_3SumENS9_22TransformInputIteratorIb7NonZeroIdEPdlEElEEEE10hipError_tPvRmT1_T2_T3_mT4_P12ihipStream_tbEUlT_E0_NS1_11comp_targetILNS1_3genE5ELNS1_11target_archE942ELNS1_3gpuE9ELNS1_3repE0EEENS1_30default_config_static_selectorELNS0_4arch9wavefront6targetE1EEEvSM_, .Lfunc_end286-_ZN7rocprim17ROCPRIM_400000_NS6detail17trampoline_kernelINS0_14default_configENS1_22reduce_config_selectorIlEEZNS1_11reduce_implILb1ES3_PlS7_lN6hipcub16HIPCUB_304000_NS6detail34convert_binary_result_type_wrapperINS9_3SumENS9_22TransformInputIteratorIb7NonZeroIdEPdlEElEEEE10hipError_tPvRmT1_T2_T3_mT4_P12ihipStream_tbEUlT_E0_NS1_11comp_targetILNS1_3genE5ELNS1_11target_archE942ELNS1_3gpuE9ELNS1_3repE0EEENS1_30default_config_static_selectorELNS0_4arch9wavefront6targetE1EEEvSM_
                                        ; -- End function
	.set _ZN7rocprim17ROCPRIM_400000_NS6detail17trampoline_kernelINS0_14default_configENS1_22reduce_config_selectorIlEEZNS1_11reduce_implILb1ES3_PlS7_lN6hipcub16HIPCUB_304000_NS6detail34convert_binary_result_type_wrapperINS9_3SumENS9_22TransformInputIteratorIb7NonZeroIdEPdlEElEEEE10hipError_tPvRmT1_T2_T3_mT4_P12ihipStream_tbEUlT_E0_NS1_11comp_targetILNS1_3genE5ELNS1_11target_archE942ELNS1_3gpuE9ELNS1_3repE0EEENS1_30default_config_static_selectorELNS0_4arch9wavefront6targetE1EEEvSM_.num_vgpr, 0
	.set _ZN7rocprim17ROCPRIM_400000_NS6detail17trampoline_kernelINS0_14default_configENS1_22reduce_config_selectorIlEEZNS1_11reduce_implILb1ES3_PlS7_lN6hipcub16HIPCUB_304000_NS6detail34convert_binary_result_type_wrapperINS9_3SumENS9_22TransformInputIteratorIb7NonZeroIdEPdlEElEEEE10hipError_tPvRmT1_T2_T3_mT4_P12ihipStream_tbEUlT_E0_NS1_11comp_targetILNS1_3genE5ELNS1_11target_archE942ELNS1_3gpuE9ELNS1_3repE0EEENS1_30default_config_static_selectorELNS0_4arch9wavefront6targetE1EEEvSM_.num_agpr, 0
	.set _ZN7rocprim17ROCPRIM_400000_NS6detail17trampoline_kernelINS0_14default_configENS1_22reduce_config_selectorIlEEZNS1_11reduce_implILb1ES3_PlS7_lN6hipcub16HIPCUB_304000_NS6detail34convert_binary_result_type_wrapperINS9_3SumENS9_22TransformInputIteratorIb7NonZeroIdEPdlEElEEEE10hipError_tPvRmT1_T2_T3_mT4_P12ihipStream_tbEUlT_E0_NS1_11comp_targetILNS1_3genE5ELNS1_11target_archE942ELNS1_3gpuE9ELNS1_3repE0EEENS1_30default_config_static_selectorELNS0_4arch9wavefront6targetE1EEEvSM_.numbered_sgpr, 0
	.set _ZN7rocprim17ROCPRIM_400000_NS6detail17trampoline_kernelINS0_14default_configENS1_22reduce_config_selectorIlEEZNS1_11reduce_implILb1ES3_PlS7_lN6hipcub16HIPCUB_304000_NS6detail34convert_binary_result_type_wrapperINS9_3SumENS9_22TransformInputIteratorIb7NonZeroIdEPdlEElEEEE10hipError_tPvRmT1_T2_T3_mT4_P12ihipStream_tbEUlT_E0_NS1_11comp_targetILNS1_3genE5ELNS1_11target_archE942ELNS1_3gpuE9ELNS1_3repE0EEENS1_30default_config_static_selectorELNS0_4arch9wavefront6targetE1EEEvSM_.num_named_barrier, 0
	.set _ZN7rocprim17ROCPRIM_400000_NS6detail17trampoline_kernelINS0_14default_configENS1_22reduce_config_selectorIlEEZNS1_11reduce_implILb1ES3_PlS7_lN6hipcub16HIPCUB_304000_NS6detail34convert_binary_result_type_wrapperINS9_3SumENS9_22TransformInputIteratorIb7NonZeroIdEPdlEElEEEE10hipError_tPvRmT1_T2_T3_mT4_P12ihipStream_tbEUlT_E0_NS1_11comp_targetILNS1_3genE5ELNS1_11target_archE942ELNS1_3gpuE9ELNS1_3repE0EEENS1_30default_config_static_selectorELNS0_4arch9wavefront6targetE1EEEvSM_.private_seg_size, 0
	.set _ZN7rocprim17ROCPRIM_400000_NS6detail17trampoline_kernelINS0_14default_configENS1_22reduce_config_selectorIlEEZNS1_11reduce_implILb1ES3_PlS7_lN6hipcub16HIPCUB_304000_NS6detail34convert_binary_result_type_wrapperINS9_3SumENS9_22TransformInputIteratorIb7NonZeroIdEPdlEElEEEE10hipError_tPvRmT1_T2_T3_mT4_P12ihipStream_tbEUlT_E0_NS1_11comp_targetILNS1_3genE5ELNS1_11target_archE942ELNS1_3gpuE9ELNS1_3repE0EEENS1_30default_config_static_selectorELNS0_4arch9wavefront6targetE1EEEvSM_.uses_vcc, 0
	.set _ZN7rocprim17ROCPRIM_400000_NS6detail17trampoline_kernelINS0_14default_configENS1_22reduce_config_selectorIlEEZNS1_11reduce_implILb1ES3_PlS7_lN6hipcub16HIPCUB_304000_NS6detail34convert_binary_result_type_wrapperINS9_3SumENS9_22TransformInputIteratorIb7NonZeroIdEPdlEElEEEE10hipError_tPvRmT1_T2_T3_mT4_P12ihipStream_tbEUlT_E0_NS1_11comp_targetILNS1_3genE5ELNS1_11target_archE942ELNS1_3gpuE9ELNS1_3repE0EEENS1_30default_config_static_selectorELNS0_4arch9wavefront6targetE1EEEvSM_.uses_flat_scratch, 0
	.set _ZN7rocprim17ROCPRIM_400000_NS6detail17trampoline_kernelINS0_14default_configENS1_22reduce_config_selectorIlEEZNS1_11reduce_implILb1ES3_PlS7_lN6hipcub16HIPCUB_304000_NS6detail34convert_binary_result_type_wrapperINS9_3SumENS9_22TransformInputIteratorIb7NonZeroIdEPdlEElEEEE10hipError_tPvRmT1_T2_T3_mT4_P12ihipStream_tbEUlT_E0_NS1_11comp_targetILNS1_3genE5ELNS1_11target_archE942ELNS1_3gpuE9ELNS1_3repE0EEENS1_30default_config_static_selectorELNS0_4arch9wavefront6targetE1EEEvSM_.has_dyn_sized_stack, 0
	.set _ZN7rocprim17ROCPRIM_400000_NS6detail17trampoline_kernelINS0_14default_configENS1_22reduce_config_selectorIlEEZNS1_11reduce_implILb1ES3_PlS7_lN6hipcub16HIPCUB_304000_NS6detail34convert_binary_result_type_wrapperINS9_3SumENS9_22TransformInputIteratorIb7NonZeroIdEPdlEElEEEE10hipError_tPvRmT1_T2_T3_mT4_P12ihipStream_tbEUlT_E0_NS1_11comp_targetILNS1_3genE5ELNS1_11target_archE942ELNS1_3gpuE9ELNS1_3repE0EEENS1_30default_config_static_selectorELNS0_4arch9wavefront6targetE1EEEvSM_.has_recursion, 0
	.set _ZN7rocprim17ROCPRIM_400000_NS6detail17trampoline_kernelINS0_14default_configENS1_22reduce_config_selectorIlEEZNS1_11reduce_implILb1ES3_PlS7_lN6hipcub16HIPCUB_304000_NS6detail34convert_binary_result_type_wrapperINS9_3SumENS9_22TransformInputIteratorIb7NonZeroIdEPdlEElEEEE10hipError_tPvRmT1_T2_T3_mT4_P12ihipStream_tbEUlT_E0_NS1_11comp_targetILNS1_3genE5ELNS1_11target_archE942ELNS1_3gpuE9ELNS1_3repE0EEENS1_30default_config_static_selectorELNS0_4arch9wavefront6targetE1EEEvSM_.has_indirect_call, 0
	.section	.AMDGPU.csdata,"",@progbits
; Kernel info:
; codeLenInByte = 0
; TotalNumSgprs: 4
; NumVgprs: 0
; ScratchSize: 0
; MemoryBound: 0
; FloatMode: 240
; IeeeMode: 1
; LDSByteSize: 0 bytes/workgroup (compile time only)
; SGPRBlocks: 0
; VGPRBlocks: 0
; NumSGPRsForWavesPerEU: 4
; NumVGPRsForWavesPerEU: 1
; Occupancy: 10
; WaveLimiterHint : 0
; COMPUTE_PGM_RSRC2:SCRATCH_EN: 0
; COMPUTE_PGM_RSRC2:USER_SGPR: 6
; COMPUTE_PGM_RSRC2:TRAP_HANDLER: 0
; COMPUTE_PGM_RSRC2:TGID_X_EN: 1
; COMPUTE_PGM_RSRC2:TGID_Y_EN: 0
; COMPUTE_PGM_RSRC2:TGID_Z_EN: 0
; COMPUTE_PGM_RSRC2:TIDIG_COMP_CNT: 0
	.section	.text._ZN7rocprim17ROCPRIM_400000_NS6detail17trampoline_kernelINS0_14default_configENS1_22reduce_config_selectorIlEEZNS1_11reduce_implILb1ES3_PlS7_lN6hipcub16HIPCUB_304000_NS6detail34convert_binary_result_type_wrapperINS9_3SumENS9_22TransformInputIteratorIb7NonZeroIdEPdlEElEEEE10hipError_tPvRmT1_T2_T3_mT4_P12ihipStream_tbEUlT_E0_NS1_11comp_targetILNS1_3genE4ELNS1_11target_archE910ELNS1_3gpuE8ELNS1_3repE0EEENS1_30default_config_static_selectorELNS0_4arch9wavefront6targetE1EEEvSM_,"axG",@progbits,_ZN7rocprim17ROCPRIM_400000_NS6detail17trampoline_kernelINS0_14default_configENS1_22reduce_config_selectorIlEEZNS1_11reduce_implILb1ES3_PlS7_lN6hipcub16HIPCUB_304000_NS6detail34convert_binary_result_type_wrapperINS9_3SumENS9_22TransformInputIteratorIb7NonZeroIdEPdlEElEEEE10hipError_tPvRmT1_T2_T3_mT4_P12ihipStream_tbEUlT_E0_NS1_11comp_targetILNS1_3genE4ELNS1_11target_archE910ELNS1_3gpuE8ELNS1_3repE0EEENS1_30default_config_static_selectorELNS0_4arch9wavefront6targetE1EEEvSM_,comdat
	.protected	_ZN7rocprim17ROCPRIM_400000_NS6detail17trampoline_kernelINS0_14default_configENS1_22reduce_config_selectorIlEEZNS1_11reduce_implILb1ES3_PlS7_lN6hipcub16HIPCUB_304000_NS6detail34convert_binary_result_type_wrapperINS9_3SumENS9_22TransformInputIteratorIb7NonZeroIdEPdlEElEEEE10hipError_tPvRmT1_T2_T3_mT4_P12ihipStream_tbEUlT_E0_NS1_11comp_targetILNS1_3genE4ELNS1_11target_archE910ELNS1_3gpuE8ELNS1_3repE0EEENS1_30default_config_static_selectorELNS0_4arch9wavefront6targetE1EEEvSM_ ; -- Begin function _ZN7rocprim17ROCPRIM_400000_NS6detail17trampoline_kernelINS0_14default_configENS1_22reduce_config_selectorIlEEZNS1_11reduce_implILb1ES3_PlS7_lN6hipcub16HIPCUB_304000_NS6detail34convert_binary_result_type_wrapperINS9_3SumENS9_22TransformInputIteratorIb7NonZeroIdEPdlEElEEEE10hipError_tPvRmT1_T2_T3_mT4_P12ihipStream_tbEUlT_E0_NS1_11comp_targetILNS1_3genE4ELNS1_11target_archE910ELNS1_3gpuE8ELNS1_3repE0EEENS1_30default_config_static_selectorELNS0_4arch9wavefront6targetE1EEEvSM_
	.globl	_ZN7rocprim17ROCPRIM_400000_NS6detail17trampoline_kernelINS0_14default_configENS1_22reduce_config_selectorIlEEZNS1_11reduce_implILb1ES3_PlS7_lN6hipcub16HIPCUB_304000_NS6detail34convert_binary_result_type_wrapperINS9_3SumENS9_22TransformInputIteratorIb7NonZeroIdEPdlEElEEEE10hipError_tPvRmT1_T2_T3_mT4_P12ihipStream_tbEUlT_E0_NS1_11comp_targetILNS1_3genE4ELNS1_11target_archE910ELNS1_3gpuE8ELNS1_3repE0EEENS1_30default_config_static_selectorELNS0_4arch9wavefront6targetE1EEEvSM_
	.p2align	8
	.type	_ZN7rocprim17ROCPRIM_400000_NS6detail17trampoline_kernelINS0_14default_configENS1_22reduce_config_selectorIlEEZNS1_11reduce_implILb1ES3_PlS7_lN6hipcub16HIPCUB_304000_NS6detail34convert_binary_result_type_wrapperINS9_3SumENS9_22TransformInputIteratorIb7NonZeroIdEPdlEElEEEE10hipError_tPvRmT1_T2_T3_mT4_P12ihipStream_tbEUlT_E0_NS1_11comp_targetILNS1_3genE4ELNS1_11target_archE910ELNS1_3gpuE8ELNS1_3repE0EEENS1_30default_config_static_selectorELNS0_4arch9wavefront6targetE1EEEvSM_,@function
_ZN7rocprim17ROCPRIM_400000_NS6detail17trampoline_kernelINS0_14default_configENS1_22reduce_config_selectorIlEEZNS1_11reduce_implILb1ES3_PlS7_lN6hipcub16HIPCUB_304000_NS6detail34convert_binary_result_type_wrapperINS9_3SumENS9_22TransformInputIteratorIb7NonZeroIdEPdlEElEEEE10hipError_tPvRmT1_T2_T3_mT4_P12ihipStream_tbEUlT_E0_NS1_11comp_targetILNS1_3genE4ELNS1_11target_archE910ELNS1_3gpuE8ELNS1_3repE0EEENS1_30default_config_static_selectorELNS0_4arch9wavefront6targetE1EEEvSM_: ; @_ZN7rocprim17ROCPRIM_400000_NS6detail17trampoline_kernelINS0_14default_configENS1_22reduce_config_selectorIlEEZNS1_11reduce_implILb1ES3_PlS7_lN6hipcub16HIPCUB_304000_NS6detail34convert_binary_result_type_wrapperINS9_3SumENS9_22TransformInputIteratorIb7NonZeroIdEPdlEElEEEE10hipError_tPvRmT1_T2_T3_mT4_P12ihipStream_tbEUlT_E0_NS1_11comp_targetILNS1_3genE4ELNS1_11target_archE910ELNS1_3gpuE8ELNS1_3repE0EEENS1_30default_config_static_selectorELNS0_4arch9wavefront6targetE1EEEvSM_
; %bb.0:
	.section	.rodata,"a",@progbits
	.p2align	6, 0x0
	.amdhsa_kernel _ZN7rocprim17ROCPRIM_400000_NS6detail17trampoline_kernelINS0_14default_configENS1_22reduce_config_selectorIlEEZNS1_11reduce_implILb1ES3_PlS7_lN6hipcub16HIPCUB_304000_NS6detail34convert_binary_result_type_wrapperINS9_3SumENS9_22TransformInputIteratorIb7NonZeroIdEPdlEElEEEE10hipError_tPvRmT1_T2_T3_mT4_P12ihipStream_tbEUlT_E0_NS1_11comp_targetILNS1_3genE4ELNS1_11target_archE910ELNS1_3gpuE8ELNS1_3repE0EEENS1_30default_config_static_selectorELNS0_4arch9wavefront6targetE1EEEvSM_
		.amdhsa_group_segment_fixed_size 0
		.amdhsa_private_segment_fixed_size 0
		.amdhsa_kernarg_size 64
		.amdhsa_user_sgpr_count 6
		.amdhsa_user_sgpr_private_segment_buffer 1
		.amdhsa_user_sgpr_dispatch_ptr 0
		.amdhsa_user_sgpr_queue_ptr 0
		.amdhsa_user_sgpr_kernarg_segment_ptr 1
		.amdhsa_user_sgpr_dispatch_id 0
		.amdhsa_user_sgpr_flat_scratch_init 0
		.amdhsa_user_sgpr_private_segment_size 0
		.amdhsa_uses_dynamic_stack 0
		.amdhsa_system_sgpr_private_segment_wavefront_offset 0
		.amdhsa_system_sgpr_workgroup_id_x 1
		.amdhsa_system_sgpr_workgroup_id_y 0
		.amdhsa_system_sgpr_workgroup_id_z 0
		.amdhsa_system_sgpr_workgroup_info 0
		.amdhsa_system_vgpr_workitem_id 0
		.amdhsa_next_free_vgpr 1
		.amdhsa_next_free_sgpr 0
		.amdhsa_reserve_vcc 0
		.amdhsa_reserve_flat_scratch 0
		.amdhsa_float_round_mode_32 0
		.amdhsa_float_round_mode_16_64 0
		.amdhsa_float_denorm_mode_32 3
		.amdhsa_float_denorm_mode_16_64 3
		.amdhsa_dx10_clamp 1
		.amdhsa_ieee_mode 1
		.amdhsa_fp16_overflow 0
		.amdhsa_exception_fp_ieee_invalid_op 0
		.amdhsa_exception_fp_denorm_src 0
		.amdhsa_exception_fp_ieee_div_zero 0
		.amdhsa_exception_fp_ieee_overflow 0
		.amdhsa_exception_fp_ieee_underflow 0
		.amdhsa_exception_fp_ieee_inexact 0
		.amdhsa_exception_int_div_zero 0
	.end_amdhsa_kernel
	.section	.text._ZN7rocprim17ROCPRIM_400000_NS6detail17trampoline_kernelINS0_14default_configENS1_22reduce_config_selectorIlEEZNS1_11reduce_implILb1ES3_PlS7_lN6hipcub16HIPCUB_304000_NS6detail34convert_binary_result_type_wrapperINS9_3SumENS9_22TransformInputIteratorIb7NonZeroIdEPdlEElEEEE10hipError_tPvRmT1_T2_T3_mT4_P12ihipStream_tbEUlT_E0_NS1_11comp_targetILNS1_3genE4ELNS1_11target_archE910ELNS1_3gpuE8ELNS1_3repE0EEENS1_30default_config_static_selectorELNS0_4arch9wavefront6targetE1EEEvSM_,"axG",@progbits,_ZN7rocprim17ROCPRIM_400000_NS6detail17trampoline_kernelINS0_14default_configENS1_22reduce_config_selectorIlEEZNS1_11reduce_implILb1ES3_PlS7_lN6hipcub16HIPCUB_304000_NS6detail34convert_binary_result_type_wrapperINS9_3SumENS9_22TransformInputIteratorIb7NonZeroIdEPdlEElEEEE10hipError_tPvRmT1_T2_T3_mT4_P12ihipStream_tbEUlT_E0_NS1_11comp_targetILNS1_3genE4ELNS1_11target_archE910ELNS1_3gpuE8ELNS1_3repE0EEENS1_30default_config_static_selectorELNS0_4arch9wavefront6targetE1EEEvSM_,comdat
.Lfunc_end287:
	.size	_ZN7rocprim17ROCPRIM_400000_NS6detail17trampoline_kernelINS0_14default_configENS1_22reduce_config_selectorIlEEZNS1_11reduce_implILb1ES3_PlS7_lN6hipcub16HIPCUB_304000_NS6detail34convert_binary_result_type_wrapperINS9_3SumENS9_22TransformInputIteratorIb7NonZeroIdEPdlEElEEEE10hipError_tPvRmT1_T2_T3_mT4_P12ihipStream_tbEUlT_E0_NS1_11comp_targetILNS1_3genE4ELNS1_11target_archE910ELNS1_3gpuE8ELNS1_3repE0EEENS1_30default_config_static_selectorELNS0_4arch9wavefront6targetE1EEEvSM_, .Lfunc_end287-_ZN7rocprim17ROCPRIM_400000_NS6detail17trampoline_kernelINS0_14default_configENS1_22reduce_config_selectorIlEEZNS1_11reduce_implILb1ES3_PlS7_lN6hipcub16HIPCUB_304000_NS6detail34convert_binary_result_type_wrapperINS9_3SumENS9_22TransformInputIteratorIb7NonZeroIdEPdlEElEEEE10hipError_tPvRmT1_T2_T3_mT4_P12ihipStream_tbEUlT_E0_NS1_11comp_targetILNS1_3genE4ELNS1_11target_archE910ELNS1_3gpuE8ELNS1_3repE0EEENS1_30default_config_static_selectorELNS0_4arch9wavefront6targetE1EEEvSM_
                                        ; -- End function
	.set _ZN7rocprim17ROCPRIM_400000_NS6detail17trampoline_kernelINS0_14default_configENS1_22reduce_config_selectorIlEEZNS1_11reduce_implILb1ES3_PlS7_lN6hipcub16HIPCUB_304000_NS6detail34convert_binary_result_type_wrapperINS9_3SumENS9_22TransformInputIteratorIb7NonZeroIdEPdlEElEEEE10hipError_tPvRmT1_T2_T3_mT4_P12ihipStream_tbEUlT_E0_NS1_11comp_targetILNS1_3genE4ELNS1_11target_archE910ELNS1_3gpuE8ELNS1_3repE0EEENS1_30default_config_static_selectorELNS0_4arch9wavefront6targetE1EEEvSM_.num_vgpr, 0
	.set _ZN7rocprim17ROCPRIM_400000_NS6detail17trampoline_kernelINS0_14default_configENS1_22reduce_config_selectorIlEEZNS1_11reduce_implILb1ES3_PlS7_lN6hipcub16HIPCUB_304000_NS6detail34convert_binary_result_type_wrapperINS9_3SumENS9_22TransformInputIteratorIb7NonZeroIdEPdlEElEEEE10hipError_tPvRmT1_T2_T3_mT4_P12ihipStream_tbEUlT_E0_NS1_11comp_targetILNS1_3genE4ELNS1_11target_archE910ELNS1_3gpuE8ELNS1_3repE0EEENS1_30default_config_static_selectorELNS0_4arch9wavefront6targetE1EEEvSM_.num_agpr, 0
	.set _ZN7rocprim17ROCPRIM_400000_NS6detail17trampoline_kernelINS0_14default_configENS1_22reduce_config_selectorIlEEZNS1_11reduce_implILb1ES3_PlS7_lN6hipcub16HIPCUB_304000_NS6detail34convert_binary_result_type_wrapperINS9_3SumENS9_22TransformInputIteratorIb7NonZeroIdEPdlEElEEEE10hipError_tPvRmT1_T2_T3_mT4_P12ihipStream_tbEUlT_E0_NS1_11comp_targetILNS1_3genE4ELNS1_11target_archE910ELNS1_3gpuE8ELNS1_3repE0EEENS1_30default_config_static_selectorELNS0_4arch9wavefront6targetE1EEEvSM_.numbered_sgpr, 0
	.set _ZN7rocprim17ROCPRIM_400000_NS6detail17trampoline_kernelINS0_14default_configENS1_22reduce_config_selectorIlEEZNS1_11reduce_implILb1ES3_PlS7_lN6hipcub16HIPCUB_304000_NS6detail34convert_binary_result_type_wrapperINS9_3SumENS9_22TransformInputIteratorIb7NonZeroIdEPdlEElEEEE10hipError_tPvRmT1_T2_T3_mT4_P12ihipStream_tbEUlT_E0_NS1_11comp_targetILNS1_3genE4ELNS1_11target_archE910ELNS1_3gpuE8ELNS1_3repE0EEENS1_30default_config_static_selectorELNS0_4arch9wavefront6targetE1EEEvSM_.num_named_barrier, 0
	.set _ZN7rocprim17ROCPRIM_400000_NS6detail17trampoline_kernelINS0_14default_configENS1_22reduce_config_selectorIlEEZNS1_11reduce_implILb1ES3_PlS7_lN6hipcub16HIPCUB_304000_NS6detail34convert_binary_result_type_wrapperINS9_3SumENS9_22TransformInputIteratorIb7NonZeroIdEPdlEElEEEE10hipError_tPvRmT1_T2_T3_mT4_P12ihipStream_tbEUlT_E0_NS1_11comp_targetILNS1_3genE4ELNS1_11target_archE910ELNS1_3gpuE8ELNS1_3repE0EEENS1_30default_config_static_selectorELNS0_4arch9wavefront6targetE1EEEvSM_.private_seg_size, 0
	.set _ZN7rocprim17ROCPRIM_400000_NS6detail17trampoline_kernelINS0_14default_configENS1_22reduce_config_selectorIlEEZNS1_11reduce_implILb1ES3_PlS7_lN6hipcub16HIPCUB_304000_NS6detail34convert_binary_result_type_wrapperINS9_3SumENS9_22TransformInputIteratorIb7NonZeroIdEPdlEElEEEE10hipError_tPvRmT1_T2_T3_mT4_P12ihipStream_tbEUlT_E0_NS1_11comp_targetILNS1_3genE4ELNS1_11target_archE910ELNS1_3gpuE8ELNS1_3repE0EEENS1_30default_config_static_selectorELNS0_4arch9wavefront6targetE1EEEvSM_.uses_vcc, 0
	.set _ZN7rocprim17ROCPRIM_400000_NS6detail17trampoline_kernelINS0_14default_configENS1_22reduce_config_selectorIlEEZNS1_11reduce_implILb1ES3_PlS7_lN6hipcub16HIPCUB_304000_NS6detail34convert_binary_result_type_wrapperINS9_3SumENS9_22TransformInputIteratorIb7NonZeroIdEPdlEElEEEE10hipError_tPvRmT1_T2_T3_mT4_P12ihipStream_tbEUlT_E0_NS1_11comp_targetILNS1_3genE4ELNS1_11target_archE910ELNS1_3gpuE8ELNS1_3repE0EEENS1_30default_config_static_selectorELNS0_4arch9wavefront6targetE1EEEvSM_.uses_flat_scratch, 0
	.set _ZN7rocprim17ROCPRIM_400000_NS6detail17trampoline_kernelINS0_14default_configENS1_22reduce_config_selectorIlEEZNS1_11reduce_implILb1ES3_PlS7_lN6hipcub16HIPCUB_304000_NS6detail34convert_binary_result_type_wrapperINS9_3SumENS9_22TransformInputIteratorIb7NonZeroIdEPdlEElEEEE10hipError_tPvRmT1_T2_T3_mT4_P12ihipStream_tbEUlT_E0_NS1_11comp_targetILNS1_3genE4ELNS1_11target_archE910ELNS1_3gpuE8ELNS1_3repE0EEENS1_30default_config_static_selectorELNS0_4arch9wavefront6targetE1EEEvSM_.has_dyn_sized_stack, 0
	.set _ZN7rocprim17ROCPRIM_400000_NS6detail17trampoline_kernelINS0_14default_configENS1_22reduce_config_selectorIlEEZNS1_11reduce_implILb1ES3_PlS7_lN6hipcub16HIPCUB_304000_NS6detail34convert_binary_result_type_wrapperINS9_3SumENS9_22TransformInputIteratorIb7NonZeroIdEPdlEElEEEE10hipError_tPvRmT1_T2_T3_mT4_P12ihipStream_tbEUlT_E0_NS1_11comp_targetILNS1_3genE4ELNS1_11target_archE910ELNS1_3gpuE8ELNS1_3repE0EEENS1_30default_config_static_selectorELNS0_4arch9wavefront6targetE1EEEvSM_.has_recursion, 0
	.set _ZN7rocprim17ROCPRIM_400000_NS6detail17trampoline_kernelINS0_14default_configENS1_22reduce_config_selectorIlEEZNS1_11reduce_implILb1ES3_PlS7_lN6hipcub16HIPCUB_304000_NS6detail34convert_binary_result_type_wrapperINS9_3SumENS9_22TransformInputIteratorIb7NonZeroIdEPdlEElEEEE10hipError_tPvRmT1_T2_T3_mT4_P12ihipStream_tbEUlT_E0_NS1_11comp_targetILNS1_3genE4ELNS1_11target_archE910ELNS1_3gpuE8ELNS1_3repE0EEENS1_30default_config_static_selectorELNS0_4arch9wavefront6targetE1EEEvSM_.has_indirect_call, 0
	.section	.AMDGPU.csdata,"",@progbits
; Kernel info:
; codeLenInByte = 0
; TotalNumSgprs: 4
; NumVgprs: 0
; ScratchSize: 0
; MemoryBound: 0
; FloatMode: 240
; IeeeMode: 1
; LDSByteSize: 0 bytes/workgroup (compile time only)
; SGPRBlocks: 0
; VGPRBlocks: 0
; NumSGPRsForWavesPerEU: 4
; NumVGPRsForWavesPerEU: 1
; Occupancy: 10
; WaveLimiterHint : 0
; COMPUTE_PGM_RSRC2:SCRATCH_EN: 0
; COMPUTE_PGM_RSRC2:USER_SGPR: 6
; COMPUTE_PGM_RSRC2:TRAP_HANDLER: 0
; COMPUTE_PGM_RSRC2:TGID_X_EN: 1
; COMPUTE_PGM_RSRC2:TGID_Y_EN: 0
; COMPUTE_PGM_RSRC2:TGID_Z_EN: 0
; COMPUTE_PGM_RSRC2:TIDIG_COMP_CNT: 0
	.section	.text._ZN7rocprim17ROCPRIM_400000_NS6detail17trampoline_kernelINS0_14default_configENS1_22reduce_config_selectorIlEEZNS1_11reduce_implILb1ES3_PlS7_lN6hipcub16HIPCUB_304000_NS6detail34convert_binary_result_type_wrapperINS9_3SumENS9_22TransformInputIteratorIb7NonZeroIdEPdlEElEEEE10hipError_tPvRmT1_T2_T3_mT4_P12ihipStream_tbEUlT_E0_NS1_11comp_targetILNS1_3genE3ELNS1_11target_archE908ELNS1_3gpuE7ELNS1_3repE0EEENS1_30default_config_static_selectorELNS0_4arch9wavefront6targetE1EEEvSM_,"axG",@progbits,_ZN7rocprim17ROCPRIM_400000_NS6detail17trampoline_kernelINS0_14default_configENS1_22reduce_config_selectorIlEEZNS1_11reduce_implILb1ES3_PlS7_lN6hipcub16HIPCUB_304000_NS6detail34convert_binary_result_type_wrapperINS9_3SumENS9_22TransformInputIteratorIb7NonZeroIdEPdlEElEEEE10hipError_tPvRmT1_T2_T3_mT4_P12ihipStream_tbEUlT_E0_NS1_11comp_targetILNS1_3genE3ELNS1_11target_archE908ELNS1_3gpuE7ELNS1_3repE0EEENS1_30default_config_static_selectorELNS0_4arch9wavefront6targetE1EEEvSM_,comdat
	.protected	_ZN7rocprim17ROCPRIM_400000_NS6detail17trampoline_kernelINS0_14default_configENS1_22reduce_config_selectorIlEEZNS1_11reduce_implILb1ES3_PlS7_lN6hipcub16HIPCUB_304000_NS6detail34convert_binary_result_type_wrapperINS9_3SumENS9_22TransformInputIteratorIb7NonZeroIdEPdlEElEEEE10hipError_tPvRmT1_T2_T3_mT4_P12ihipStream_tbEUlT_E0_NS1_11comp_targetILNS1_3genE3ELNS1_11target_archE908ELNS1_3gpuE7ELNS1_3repE0EEENS1_30default_config_static_selectorELNS0_4arch9wavefront6targetE1EEEvSM_ ; -- Begin function _ZN7rocprim17ROCPRIM_400000_NS6detail17trampoline_kernelINS0_14default_configENS1_22reduce_config_selectorIlEEZNS1_11reduce_implILb1ES3_PlS7_lN6hipcub16HIPCUB_304000_NS6detail34convert_binary_result_type_wrapperINS9_3SumENS9_22TransformInputIteratorIb7NonZeroIdEPdlEElEEEE10hipError_tPvRmT1_T2_T3_mT4_P12ihipStream_tbEUlT_E0_NS1_11comp_targetILNS1_3genE3ELNS1_11target_archE908ELNS1_3gpuE7ELNS1_3repE0EEENS1_30default_config_static_selectorELNS0_4arch9wavefront6targetE1EEEvSM_
	.globl	_ZN7rocprim17ROCPRIM_400000_NS6detail17trampoline_kernelINS0_14default_configENS1_22reduce_config_selectorIlEEZNS1_11reduce_implILb1ES3_PlS7_lN6hipcub16HIPCUB_304000_NS6detail34convert_binary_result_type_wrapperINS9_3SumENS9_22TransformInputIteratorIb7NonZeroIdEPdlEElEEEE10hipError_tPvRmT1_T2_T3_mT4_P12ihipStream_tbEUlT_E0_NS1_11comp_targetILNS1_3genE3ELNS1_11target_archE908ELNS1_3gpuE7ELNS1_3repE0EEENS1_30default_config_static_selectorELNS0_4arch9wavefront6targetE1EEEvSM_
	.p2align	8
	.type	_ZN7rocprim17ROCPRIM_400000_NS6detail17trampoline_kernelINS0_14default_configENS1_22reduce_config_selectorIlEEZNS1_11reduce_implILb1ES3_PlS7_lN6hipcub16HIPCUB_304000_NS6detail34convert_binary_result_type_wrapperINS9_3SumENS9_22TransformInputIteratorIb7NonZeroIdEPdlEElEEEE10hipError_tPvRmT1_T2_T3_mT4_P12ihipStream_tbEUlT_E0_NS1_11comp_targetILNS1_3genE3ELNS1_11target_archE908ELNS1_3gpuE7ELNS1_3repE0EEENS1_30default_config_static_selectorELNS0_4arch9wavefront6targetE1EEEvSM_,@function
_ZN7rocprim17ROCPRIM_400000_NS6detail17trampoline_kernelINS0_14default_configENS1_22reduce_config_selectorIlEEZNS1_11reduce_implILb1ES3_PlS7_lN6hipcub16HIPCUB_304000_NS6detail34convert_binary_result_type_wrapperINS9_3SumENS9_22TransformInputIteratorIb7NonZeroIdEPdlEElEEEE10hipError_tPvRmT1_T2_T3_mT4_P12ihipStream_tbEUlT_E0_NS1_11comp_targetILNS1_3genE3ELNS1_11target_archE908ELNS1_3gpuE7ELNS1_3repE0EEENS1_30default_config_static_selectorELNS0_4arch9wavefront6targetE1EEEvSM_: ; @_ZN7rocprim17ROCPRIM_400000_NS6detail17trampoline_kernelINS0_14default_configENS1_22reduce_config_selectorIlEEZNS1_11reduce_implILb1ES3_PlS7_lN6hipcub16HIPCUB_304000_NS6detail34convert_binary_result_type_wrapperINS9_3SumENS9_22TransformInputIteratorIb7NonZeroIdEPdlEElEEEE10hipError_tPvRmT1_T2_T3_mT4_P12ihipStream_tbEUlT_E0_NS1_11comp_targetILNS1_3genE3ELNS1_11target_archE908ELNS1_3gpuE7ELNS1_3repE0EEENS1_30default_config_static_selectorELNS0_4arch9wavefront6targetE1EEEvSM_
; %bb.0:
	.section	.rodata,"a",@progbits
	.p2align	6, 0x0
	.amdhsa_kernel _ZN7rocprim17ROCPRIM_400000_NS6detail17trampoline_kernelINS0_14default_configENS1_22reduce_config_selectorIlEEZNS1_11reduce_implILb1ES3_PlS7_lN6hipcub16HIPCUB_304000_NS6detail34convert_binary_result_type_wrapperINS9_3SumENS9_22TransformInputIteratorIb7NonZeroIdEPdlEElEEEE10hipError_tPvRmT1_T2_T3_mT4_P12ihipStream_tbEUlT_E0_NS1_11comp_targetILNS1_3genE3ELNS1_11target_archE908ELNS1_3gpuE7ELNS1_3repE0EEENS1_30default_config_static_selectorELNS0_4arch9wavefront6targetE1EEEvSM_
		.amdhsa_group_segment_fixed_size 0
		.amdhsa_private_segment_fixed_size 0
		.amdhsa_kernarg_size 64
		.amdhsa_user_sgpr_count 6
		.amdhsa_user_sgpr_private_segment_buffer 1
		.amdhsa_user_sgpr_dispatch_ptr 0
		.amdhsa_user_sgpr_queue_ptr 0
		.amdhsa_user_sgpr_kernarg_segment_ptr 1
		.amdhsa_user_sgpr_dispatch_id 0
		.amdhsa_user_sgpr_flat_scratch_init 0
		.amdhsa_user_sgpr_private_segment_size 0
		.amdhsa_uses_dynamic_stack 0
		.amdhsa_system_sgpr_private_segment_wavefront_offset 0
		.amdhsa_system_sgpr_workgroup_id_x 1
		.amdhsa_system_sgpr_workgroup_id_y 0
		.amdhsa_system_sgpr_workgroup_id_z 0
		.amdhsa_system_sgpr_workgroup_info 0
		.amdhsa_system_vgpr_workitem_id 0
		.amdhsa_next_free_vgpr 1
		.amdhsa_next_free_sgpr 0
		.amdhsa_reserve_vcc 0
		.amdhsa_reserve_flat_scratch 0
		.amdhsa_float_round_mode_32 0
		.amdhsa_float_round_mode_16_64 0
		.amdhsa_float_denorm_mode_32 3
		.amdhsa_float_denorm_mode_16_64 3
		.amdhsa_dx10_clamp 1
		.amdhsa_ieee_mode 1
		.amdhsa_fp16_overflow 0
		.amdhsa_exception_fp_ieee_invalid_op 0
		.amdhsa_exception_fp_denorm_src 0
		.amdhsa_exception_fp_ieee_div_zero 0
		.amdhsa_exception_fp_ieee_overflow 0
		.amdhsa_exception_fp_ieee_underflow 0
		.amdhsa_exception_fp_ieee_inexact 0
		.amdhsa_exception_int_div_zero 0
	.end_amdhsa_kernel
	.section	.text._ZN7rocprim17ROCPRIM_400000_NS6detail17trampoline_kernelINS0_14default_configENS1_22reduce_config_selectorIlEEZNS1_11reduce_implILb1ES3_PlS7_lN6hipcub16HIPCUB_304000_NS6detail34convert_binary_result_type_wrapperINS9_3SumENS9_22TransformInputIteratorIb7NonZeroIdEPdlEElEEEE10hipError_tPvRmT1_T2_T3_mT4_P12ihipStream_tbEUlT_E0_NS1_11comp_targetILNS1_3genE3ELNS1_11target_archE908ELNS1_3gpuE7ELNS1_3repE0EEENS1_30default_config_static_selectorELNS0_4arch9wavefront6targetE1EEEvSM_,"axG",@progbits,_ZN7rocprim17ROCPRIM_400000_NS6detail17trampoline_kernelINS0_14default_configENS1_22reduce_config_selectorIlEEZNS1_11reduce_implILb1ES3_PlS7_lN6hipcub16HIPCUB_304000_NS6detail34convert_binary_result_type_wrapperINS9_3SumENS9_22TransformInputIteratorIb7NonZeroIdEPdlEElEEEE10hipError_tPvRmT1_T2_T3_mT4_P12ihipStream_tbEUlT_E0_NS1_11comp_targetILNS1_3genE3ELNS1_11target_archE908ELNS1_3gpuE7ELNS1_3repE0EEENS1_30default_config_static_selectorELNS0_4arch9wavefront6targetE1EEEvSM_,comdat
.Lfunc_end288:
	.size	_ZN7rocprim17ROCPRIM_400000_NS6detail17trampoline_kernelINS0_14default_configENS1_22reduce_config_selectorIlEEZNS1_11reduce_implILb1ES3_PlS7_lN6hipcub16HIPCUB_304000_NS6detail34convert_binary_result_type_wrapperINS9_3SumENS9_22TransformInputIteratorIb7NonZeroIdEPdlEElEEEE10hipError_tPvRmT1_T2_T3_mT4_P12ihipStream_tbEUlT_E0_NS1_11comp_targetILNS1_3genE3ELNS1_11target_archE908ELNS1_3gpuE7ELNS1_3repE0EEENS1_30default_config_static_selectorELNS0_4arch9wavefront6targetE1EEEvSM_, .Lfunc_end288-_ZN7rocprim17ROCPRIM_400000_NS6detail17trampoline_kernelINS0_14default_configENS1_22reduce_config_selectorIlEEZNS1_11reduce_implILb1ES3_PlS7_lN6hipcub16HIPCUB_304000_NS6detail34convert_binary_result_type_wrapperINS9_3SumENS9_22TransformInputIteratorIb7NonZeroIdEPdlEElEEEE10hipError_tPvRmT1_T2_T3_mT4_P12ihipStream_tbEUlT_E0_NS1_11comp_targetILNS1_3genE3ELNS1_11target_archE908ELNS1_3gpuE7ELNS1_3repE0EEENS1_30default_config_static_selectorELNS0_4arch9wavefront6targetE1EEEvSM_
                                        ; -- End function
	.set _ZN7rocprim17ROCPRIM_400000_NS6detail17trampoline_kernelINS0_14default_configENS1_22reduce_config_selectorIlEEZNS1_11reduce_implILb1ES3_PlS7_lN6hipcub16HIPCUB_304000_NS6detail34convert_binary_result_type_wrapperINS9_3SumENS9_22TransformInputIteratorIb7NonZeroIdEPdlEElEEEE10hipError_tPvRmT1_T2_T3_mT4_P12ihipStream_tbEUlT_E0_NS1_11comp_targetILNS1_3genE3ELNS1_11target_archE908ELNS1_3gpuE7ELNS1_3repE0EEENS1_30default_config_static_selectorELNS0_4arch9wavefront6targetE1EEEvSM_.num_vgpr, 0
	.set _ZN7rocprim17ROCPRIM_400000_NS6detail17trampoline_kernelINS0_14default_configENS1_22reduce_config_selectorIlEEZNS1_11reduce_implILb1ES3_PlS7_lN6hipcub16HIPCUB_304000_NS6detail34convert_binary_result_type_wrapperINS9_3SumENS9_22TransformInputIteratorIb7NonZeroIdEPdlEElEEEE10hipError_tPvRmT1_T2_T3_mT4_P12ihipStream_tbEUlT_E0_NS1_11comp_targetILNS1_3genE3ELNS1_11target_archE908ELNS1_3gpuE7ELNS1_3repE0EEENS1_30default_config_static_selectorELNS0_4arch9wavefront6targetE1EEEvSM_.num_agpr, 0
	.set _ZN7rocprim17ROCPRIM_400000_NS6detail17trampoline_kernelINS0_14default_configENS1_22reduce_config_selectorIlEEZNS1_11reduce_implILb1ES3_PlS7_lN6hipcub16HIPCUB_304000_NS6detail34convert_binary_result_type_wrapperINS9_3SumENS9_22TransformInputIteratorIb7NonZeroIdEPdlEElEEEE10hipError_tPvRmT1_T2_T3_mT4_P12ihipStream_tbEUlT_E0_NS1_11comp_targetILNS1_3genE3ELNS1_11target_archE908ELNS1_3gpuE7ELNS1_3repE0EEENS1_30default_config_static_selectorELNS0_4arch9wavefront6targetE1EEEvSM_.numbered_sgpr, 0
	.set _ZN7rocprim17ROCPRIM_400000_NS6detail17trampoline_kernelINS0_14default_configENS1_22reduce_config_selectorIlEEZNS1_11reduce_implILb1ES3_PlS7_lN6hipcub16HIPCUB_304000_NS6detail34convert_binary_result_type_wrapperINS9_3SumENS9_22TransformInputIteratorIb7NonZeroIdEPdlEElEEEE10hipError_tPvRmT1_T2_T3_mT4_P12ihipStream_tbEUlT_E0_NS1_11comp_targetILNS1_3genE3ELNS1_11target_archE908ELNS1_3gpuE7ELNS1_3repE0EEENS1_30default_config_static_selectorELNS0_4arch9wavefront6targetE1EEEvSM_.num_named_barrier, 0
	.set _ZN7rocprim17ROCPRIM_400000_NS6detail17trampoline_kernelINS0_14default_configENS1_22reduce_config_selectorIlEEZNS1_11reduce_implILb1ES3_PlS7_lN6hipcub16HIPCUB_304000_NS6detail34convert_binary_result_type_wrapperINS9_3SumENS9_22TransformInputIteratorIb7NonZeroIdEPdlEElEEEE10hipError_tPvRmT1_T2_T3_mT4_P12ihipStream_tbEUlT_E0_NS1_11comp_targetILNS1_3genE3ELNS1_11target_archE908ELNS1_3gpuE7ELNS1_3repE0EEENS1_30default_config_static_selectorELNS0_4arch9wavefront6targetE1EEEvSM_.private_seg_size, 0
	.set _ZN7rocprim17ROCPRIM_400000_NS6detail17trampoline_kernelINS0_14default_configENS1_22reduce_config_selectorIlEEZNS1_11reduce_implILb1ES3_PlS7_lN6hipcub16HIPCUB_304000_NS6detail34convert_binary_result_type_wrapperINS9_3SumENS9_22TransformInputIteratorIb7NonZeroIdEPdlEElEEEE10hipError_tPvRmT1_T2_T3_mT4_P12ihipStream_tbEUlT_E0_NS1_11comp_targetILNS1_3genE3ELNS1_11target_archE908ELNS1_3gpuE7ELNS1_3repE0EEENS1_30default_config_static_selectorELNS0_4arch9wavefront6targetE1EEEvSM_.uses_vcc, 0
	.set _ZN7rocprim17ROCPRIM_400000_NS6detail17trampoline_kernelINS0_14default_configENS1_22reduce_config_selectorIlEEZNS1_11reduce_implILb1ES3_PlS7_lN6hipcub16HIPCUB_304000_NS6detail34convert_binary_result_type_wrapperINS9_3SumENS9_22TransformInputIteratorIb7NonZeroIdEPdlEElEEEE10hipError_tPvRmT1_T2_T3_mT4_P12ihipStream_tbEUlT_E0_NS1_11comp_targetILNS1_3genE3ELNS1_11target_archE908ELNS1_3gpuE7ELNS1_3repE0EEENS1_30default_config_static_selectorELNS0_4arch9wavefront6targetE1EEEvSM_.uses_flat_scratch, 0
	.set _ZN7rocprim17ROCPRIM_400000_NS6detail17trampoline_kernelINS0_14default_configENS1_22reduce_config_selectorIlEEZNS1_11reduce_implILb1ES3_PlS7_lN6hipcub16HIPCUB_304000_NS6detail34convert_binary_result_type_wrapperINS9_3SumENS9_22TransformInputIteratorIb7NonZeroIdEPdlEElEEEE10hipError_tPvRmT1_T2_T3_mT4_P12ihipStream_tbEUlT_E0_NS1_11comp_targetILNS1_3genE3ELNS1_11target_archE908ELNS1_3gpuE7ELNS1_3repE0EEENS1_30default_config_static_selectorELNS0_4arch9wavefront6targetE1EEEvSM_.has_dyn_sized_stack, 0
	.set _ZN7rocprim17ROCPRIM_400000_NS6detail17trampoline_kernelINS0_14default_configENS1_22reduce_config_selectorIlEEZNS1_11reduce_implILb1ES3_PlS7_lN6hipcub16HIPCUB_304000_NS6detail34convert_binary_result_type_wrapperINS9_3SumENS9_22TransformInputIteratorIb7NonZeroIdEPdlEElEEEE10hipError_tPvRmT1_T2_T3_mT4_P12ihipStream_tbEUlT_E0_NS1_11comp_targetILNS1_3genE3ELNS1_11target_archE908ELNS1_3gpuE7ELNS1_3repE0EEENS1_30default_config_static_selectorELNS0_4arch9wavefront6targetE1EEEvSM_.has_recursion, 0
	.set _ZN7rocprim17ROCPRIM_400000_NS6detail17trampoline_kernelINS0_14default_configENS1_22reduce_config_selectorIlEEZNS1_11reduce_implILb1ES3_PlS7_lN6hipcub16HIPCUB_304000_NS6detail34convert_binary_result_type_wrapperINS9_3SumENS9_22TransformInputIteratorIb7NonZeroIdEPdlEElEEEE10hipError_tPvRmT1_T2_T3_mT4_P12ihipStream_tbEUlT_E0_NS1_11comp_targetILNS1_3genE3ELNS1_11target_archE908ELNS1_3gpuE7ELNS1_3repE0EEENS1_30default_config_static_selectorELNS0_4arch9wavefront6targetE1EEEvSM_.has_indirect_call, 0
	.section	.AMDGPU.csdata,"",@progbits
; Kernel info:
; codeLenInByte = 0
; TotalNumSgprs: 4
; NumVgprs: 0
; ScratchSize: 0
; MemoryBound: 0
; FloatMode: 240
; IeeeMode: 1
; LDSByteSize: 0 bytes/workgroup (compile time only)
; SGPRBlocks: 0
; VGPRBlocks: 0
; NumSGPRsForWavesPerEU: 4
; NumVGPRsForWavesPerEU: 1
; Occupancy: 10
; WaveLimiterHint : 0
; COMPUTE_PGM_RSRC2:SCRATCH_EN: 0
; COMPUTE_PGM_RSRC2:USER_SGPR: 6
; COMPUTE_PGM_RSRC2:TRAP_HANDLER: 0
; COMPUTE_PGM_RSRC2:TGID_X_EN: 1
; COMPUTE_PGM_RSRC2:TGID_Y_EN: 0
; COMPUTE_PGM_RSRC2:TGID_Z_EN: 0
; COMPUTE_PGM_RSRC2:TIDIG_COMP_CNT: 0
	.section	.text._ZN7rocprim17ROCPRIM_400000_NS6detail17trampoline_kernelINS0_14default_configENS1_22reduce_config_selectorIlEEZNS1_11reduce_implILb1ES3_PlS7_lN6hipcub16HIPCUB_304000_NS6detail34convert_binary_result_type_wrapperINS9_3SumENS9_22TransformInputIteratorIb7NonZeroIdEPdlEElEEEE10hipError_tPvRmT1_T2_T3_mT4_P12ihipStream_tbEUlT_E0_NS1_11comp_targetILNS1_3genE2ELNS1_11target_archE906ELNS1_3gpuE6ELNS1_3repE0EEENS1_30default_config_static_selectorELNS0_4arch9wavefront6targetE1EEEvSM_,"axG",@progbits,_ZN7rocprim17ROCPRIM_400000_NS6detail17trampoline_kernelINS0_14default_configENS1_22reduce_config_selectorIlEEZNS1_11reduce_implILb1ES3_PlS7_lN6hipcub16HIPCUB_304000_NS6detail34convert_binary_result_type_wrapperINS9_3SumENS9_22TransformInputIteratorIb7NonZeroIdEPdlEElEEEE10hipError_tPvRmT1_T2_T3_mT4_P12ihipStream_tbEUlT_E0_NS1_11comp_targetILNS1_3genE2ELNS1_11target_archE906ELNS1_3gpuE6ELNS1_3repE0EEENS1_30default_config_static_selectorELNS0_4arch9wavefront6targetE1EEEvSM_,comdat
	.protected	_ZN7rocprim17ROCPRIM_400000_NS6detail17trampoline_kernelINS0_14default_configENS1_22reduce_config_selectorIlEEZNS1_11reduce_implILb1ES3_PlS7_lN6hipcub16HIPCUB_304000_NS6detail34convert_binary_result_type_wrapperINS9_3SumENS9_22TransformInputIteratorIb7NonZeroIdEPdlEElEEEE10hipError_tPvRmT1_T2_T3_mT4_P12ihipStream_tbEUlT_E0_NS1_11comp_targetILNS1_3genE2ELNS1_11target_archE906ELNS1_3gpuE6ELNS1_3repE0EEENS1_30default_config_static_selectorELNS0_4arch9wavefront6targetE1EEEvSM_ ; -- Begin function _ZN7rocprim17ROCPRIM_400000_NS6detail17trampoline_kernelINS0_14default_configENS1_22reduce_config_selectorIlEEZNS1_11reduce_implILb1ES3_PlS7_lN6hipcub16HIPCUB_304000_NS6detail34convert_binary_result_type_wrapperINS9_3SumENS9_22TransformInputIteratorIb7NonZeroIdEPdlEElEEEE10hipError_tPvRmT1_T2_T3_mT4_P12ihipStream_tbEUlT_E0_NS1_11comp_targetILNS1_3genE2ELNS1_11target_archE906ELNS1_3gpuE6ELNS1_3repE0EEENS1_30default_config_static_selectorELNS0_4arch9wavefront6targetE1EEEvSM_
	.globl	_ZN7rocprim17ROCPRIM_400000_NS6detail17trampoline_kernelINS0_14default_configENS1_22reduce_config_selectorIlEEZNS1_11reduce_implILb1ES3_PlS7_lN6hipcub16HIPCUB_304000_NS6detail34convert_binary_result_type_wrapperINS9_3SumENS9_22TransformInputIteratorIb7NonZeroIdEPdlEElEEEE10hipError_tPvRmT1_T2_T3_mT4_P12ihipStream_tbEUlT_E0_NS1_11comp_targetILNS1_3genE2ELNS1_11target_archE906ELNS1_3gpuE6ELNS1_3repE0EEENS1_30default_config_static_selectorELNS0_4arch9wavefront6targetE1EEEvSM_
	.p2align	8
	.type	_ZN7rocprim17ROCPRIM_400000_NS6detail17trampoline_kernelINS0_14default_configENS1_22reduce_config_selectorIlEEZNS1_11reduce_implILb1ES3_PlS7_lN6hipcub16HIPCUB_304000_NS6detail34convert_binary_result_type_wrapperINS9_3SumENS9_22TransformInputIteratorIb7NonZeroIdEPdlEElEEEE10hipError_tPvRmT1_T2_T3_mT4_P12ihipStream_tbEUlT_E0_NS1_11comp_targetILNS1_3genE2ELNS1_11target_archE906ELNS1_3gpuE6ELNS1_3repE0EEENS1_30default_config_static_selectorELNS0_4arch9wavefront6targetE1EEEvSM_,@function
_ZN7rocprim17ROCPRIM_400000_NS6detail17trampoline_kernelINS0_14default_configENS1_22reduce_config_selectorIlEEZNS1_11reduce_implILb1ES3_PlS7_lN6hipcub16HIPCUB_304000_NS6detail34convert_binary_result_type_wrapperINS9_3SumENS9_22TransformInputIteratorIb7NonZeroIdEPdlEElEEEE10hipError_tPvRmT1_T2_T3_mT4_P12ihipStream_tbEUlT_E0_NS1_11comp_targetILNS1_3genE2ELNS1_11target_archE906ELNS1_3gpuE6ELNS1_3repE0EEENS1_30default_config_static_selectorELNS0_4arch9wavefront6targetE1EEEvSM_: ; @_ZN7rocprim17ROCPRIM_400000_NS6detail17trampoline_kernelINS0_14default_configENS1_22reduce_config_selectorIlEEZNS1_11reduce_implILb1ES3_PlS7_lN6hipcub16HIPCUB_304000_NS6detail34convert_binary_result_type_wrapperINS9_3SumENS9_22TransformInputIteratorIb7NonZeroIdEPdlEElEEEE10hipError_tPvRmT1_T2_T3_mT4_P12ihipStream_tbEUlT_E0_NS1_11comp_targetILNS1_3genE2ELNS1_11target_archE906ELNS1_3gpuE6ELNS1_3repE0EEENS1_30default_config_static_selectorELNS0_4arch9wavefront6targetE1EEEvSM_
; %bb.0:
	s_load_dwordx8 s[8:15], s[4:5], 0x0
	s_load_dwordx4 s[0:3], s[4:5], 0x20
	s_load_dwordx2 s[16:17], s[4:5], 0x30
	v_lshlrev_b32_e32 v6, 3, v0
	v_mbcnt_lo_u32_b32 v5, -1, 0
	s_waitcnt lgkmcnt(0)
	s_lshl_b64 s[4:5], s[10:11], 3
	s_add_u32 s18, s8, s4
	s_addc_u32 s19, s9, s5
	s_lshl_b32 s8, s6, 9
	s_mov_b32 s9, 0
	s_lshr_b64 s[10:11], s[12:13], 9
	s_lshl_b64 s[4:5], s[8:9], 3
	s_add_u32 s4, s18, s4
	s_mov_b32 s7, s9
	s_addc_u32 s5, s19, s5
	s_cmp_lg_u64 s[10:11], s[6:7]
	s_cbranch_scc0 .LBB289_6
; %bb.1:
	global_load_dwordx2 v[1:2], v6, s[4:5]
	global_load_dwordx2 v[7:8], v6, s[4:5] offset:2048
	v_mbcnt_hi_u32_b32 v3, -1, v5
	v_lshlrev_b32_e32 v4, 2, v3
	v_or_b32_e32 v9, 0xfc, v4
	s_waitcnt vmcnt(0)
	v_add_co_u32_e32 v1, vcc, v7, v1
	v_addc_co_u32_e32 v2, vcc, v8, v2, vcc
	s_nop 0
	v_mov_b32_dpp v7, v1 quad_perm:[1,0,3,2] row_mask:0xf bank_mask:0xf bound_ctrl:1
	v_add_co_u32_e32 v1, vcc, v1, v7
	v_mov_b32_dpp v8, v2 quad_perm:[1,0,3,2] row_mask:0xf bank_mask:0xf bound_ctrl:1
	v_addc_co_u32_e32 v2, vcc, 0, v2, vcc
	v_add_co_u32_e32 v7, vcc, 0, v1
	v_addc_co_u32_e32 v2, vcc, v8, v2, vcc
	v_mov_b32_dpp v1, v1 quad_perm:[2,3,0,1] row_mask:0xf bank_mask:0xf bound_ctrl:1
	v_add_co_u32_e32 v1, vcc, v7, v1
	v_mov_b32_dpp v8, v2 quad_perm:[2,3,0,1] row_mask:0xf bank_mask:0xf bound_ctrl:1
	v_addc_co_u32_e32 v2, vcc, 0, v2, vcc
	v_add_co_u32_e32 v7, vcc, 0, v1
	v_addc_co_u32_e32 v2, vcc, v2, v8, vcc
	v_mov_b32_dpp v1, v1 row_ror:4 row_mask:0xf bank_mask:0xf bound_ctrl:1
	v_add_co_u32_e32 v1, vcc, v7, v1
	v_mov_b32_dpp v8, v2 row_ror:4 row_mask:0xf bank_mask:0xf bound_ctrl:1
	v_addc_co_u32_e32 v2, vcc, 0, v2, vcc
	v_add_co_u32_e32 v7, vcc, 0, v1
	v_addc_co_u32_e32 v2, vcc, v2, v8, vcc
	v_mov_b32_dpp v1, v1 row_ror:8 row_mask:0xf bank_mask:0xf bound_ctrl:1
	v_add_co_u32_e32 v1, vcc, v7, v1
	v_mov_b32_dpp v8, v2 row_ror:8 row_mask:0xf bank_mask:0xf bound_ctrl:1
	v_addc_co_u32_e32 v2, vcc, 0, v2, vcc
	v_add_co_u32_e32 v7, vcc, 0, v1
	v_addc_co_u32_e32 v2, vcc, v2, v8, vcc
	v_mov_b32_dpp v1, v1 row_bcast:15 row_mask:0xf bank_mask:0xf bound_ctrl:1
	v_add_co_u32_e32 v1, vcc, v7, v1
	v_mov_b32_dpp v8, v2 row_bcast:15 row_mask:0xf bank_mask:0xf bound_ctrl:1
	v_addc_co_u32_e32 v2, vcc, 0, v2, vcc
	v_add_co_u32_e32 v7, vcc, 0, v1
	v_addc_co_u32_e32 v2, vcc, v2, v8, vcc
	v_mov_b32_dpp v1, v1 row_bcast:31 row_mask:0xf bank_mask:0xf bound_ctrl:1
	v_add_co_u32_e32 v1, vcc, v7, v1
	v_addc_co_u32_e32 v7, vcc, 0, v2, vcc
	ds_bpermute_b32 v1, v9, v1
	s_nop 0
	v_add_u32_dpp v2, v2, v7 row_bcast:31 row_mask:0xf bank_mask:0xf bound_ctrl:1
	ds_bpermute_b32 v2, v9, v2
	v_cmp_eq_u32_e32 vcc, 0, v3
	s_and_saveexec_b64 s[10:11], vcc
	s_cbranch_execz .LBB289_3
; %bb.2:
	v_lshrrev_b32_e32 v7, 3, v0
	v_and_b32_e32 v7, 24, v7
	s_waitcnt lgkmcnt(0)
	ds_write_b64 v7, v[1:2]
.LBB289_3:
	s_or_b64 exec, exec, s[10:11]
	v_cmp_gt_u32_e32 vcc, 64, v0
	s_waitcnt lgkmcnt(0)
	s_barrier
	s_and_saveexec_b64 s[10:11], vcc
	s_cbranch_execz .LBB289_5
; %bb.4:
	v_and_b32_e32 v7, 3, v3
	v_lshlrev_b32_e32 v1, 3, v7
	ds_read_b64 v[1:2], v1
	v_cmp_ne_u32_e32 vcc, 3, v7
	v_addc_co_u32_e32 v3, vcc, 0, v3, vcc
	v_lshlrev_b32_e32 v3, 2, v3
	s_waitcnt lgkmcnt(0)
	ds_bpermute_b32 v7, v3, v1
	ds_bpermute_b32 v3, v3, v2
	v_or_b32_e32 v4, 8, v4
	s_waitcnt lgkmcnt(1)
	v_add_co_u32_e32 v1, vcc, v1, v7
	v_addc_co_u32_e32 v2, vcc, 0, v2, vcc
	ds_bpermute_b32 v7, v4, v1
	v_add_co_u32_e32 v1, vcc, 0, v1
	s_waitcnt lgkmcnt(1)
	v_addc_co_u32_e32 v2, vcc, v3, v2, vcc
	ds_bpermute_b32 v3, v4, v2
	s_waitcnt lgkmcnt(1)
	v_add_co_u32_e32 v1, vcc, v1, v7
	v_addc_co_u32_e32 v2, vcc, 0, v2, vcc
	v_add_co_u32_e32 v1, vcc, 0, v1
	s_waitcnt lgkmcnt(0)
	v_addc_co_u32_e32 v2, vcc, v2, v3, vcc
.LBB289_5:
	s_or_b64 exec, exec, s[10:11]
	s_branch .LBB289_28
.LBB289_6:
                                        ; implicit-def: $vgpr1_vgpr2
	s_cbranch_execz .LBB289_28
; %bb.7:
	s_sub_i32 s10, s12, s8
	v_mov_b32_e32 v1, 0
	v_cmp_gt_u32_e32 vcc, s10, v0
	v_mov_b32_e32 v2, v1
	v_mov_b32_e32 v3, v1
	;; [unrolled: 1-line block ×3, first 2 shown]
	s_and_saveexec_b64 s[8:9], vcc
	s_cbranch_execz .LBB289_9
; %bb.8:
	global_load_dwordx2 v[7:8], v6, s[4:5]
	v_mov_b32_e32 v9, v1
	v_mov_b32_e32 v10, v1
	s_waitcnt vmcnt(0)
	v_mov_b32_e32 v1, v7
	v_mov_b32_e32 v2, v8
	;; [unrolled: 1-line block ×4, first 2 shown]
.LBB289_9:
	s_or_b64 exec, exec, s[8:9]
	v_or_b32_e32 v7, 0x100, v0
	v_cmp_gt_u32_e32 vcc, s10, v7
	s_and_saveexec_b64 s[8:9], vcc
	s_cbranch_execz .LBB289_11
; %bb.10:
	global_load_dwordx2 v[3:4], v6, s[4:5] offset:2048
.LBB289_11:
	s_or_b64 exec, exec, s[8:9]
	s_waitcnt vmcnt(0)
	v_cndmask_b32_e32 v3, 0, v3, vcc
	v_cndmask_b32_e32 v4, 0, v4, vcc
	v_add_co_u32_e32 v1, vcc, v3, v1
	v_mbcnt_hi_u32_b32 v3, -1, v5
	v_addc_co_u32_e32 v2, vcc, v4, v2, vcc
	v_and_b32_e32 v4, 63, v3
	v_cmp_ne_u32_e32 vcc, 63, v4
	v_addc_co_u32_e32 v6, vcc, 0, v3, vcc
	v_lshlrev_b32_e32 v6, 2, v6
	ds_bpermute_b32 v8, v6, v1
	ds_bpermute_b32 v7, v6, v2
	s_min_u32 s8, s10, 0x100
	v_and_b32_e32 v5, 0xc0, v0
	v_sub_u32_e64 v5, s8, v5 clamp
	v_add_u32_e32 v6, 1, v4
	v_cmp_lt_u32_e32 vcc, v6, v5
	v_mov_b32_e32 v6, v1
	s_and_saveexec_b64 s[4:5], vcc
	s_cbranch_execz .LBB289_13
; %bb.12:
	s_waitcnt lgkmcnt(1)
	v_add_co_u32_e32 v6, vcc, v1, v8
	v_addc_co_u32_e32 v2, vcc, 0, v2, vcc
	v_add_co_u32_e32 v1, vcc, 0, v6
	s_waitcnt lgkmcnt(0)
	v_addc_co_u32_e32 v2, vcc, v7, v2, vcc
.LBB289_13:
	s_or_b64 exec, exec, s[4:5]
	v_cmp_gt_u32_e32 vcc, 62, v4
	s_waitcnt lgkmcnt(0)
	v_cndmask_b32_e64 v7, 0, 2, vcc
	v_add_lshl_u32 v7, v7, v3, 2
	ds_bpermute_b32 v8, v7, v6
	ds_bpermute_b32 v7, v7, v2
	v_add_u32_e32 v9, 2, v4
	v_cmp_lt_u32_e32 vcc, v9, v5
	s_and_saveexec_b64 s[4:5], vcc
	s_cbranch_execz .LBB289_15
; %bb.14:
	s_waitcnt lgkmcnt(1)
	v_add_co_u32_e32 v6, vcc, v1, v8
	v_addc_co_u32_e32 v2, vcc, 0, v2, vcc
	v_add_co_u32_e32 v1, vcc, 0, v6
	s_waitcnt lgkmcnt(0)
	v_addc_co_u32_e32 v2, vcc, v7, v2, vcc
.LBB289_15:
	s_or_b64 exec, exec, s[4:5]
	v_cmp_gt_u32_e32 vcc, 60, v4
	s_waitcnt lgkmcnt(0)
	v_cndmask_b32_e64 v7, 0, 4, vcc
	v_add_lshl_u32 v7, v7, v3, 2
	ds_bpermute_b32 v8, v7, v6
	ds_bpermute_b32 v7, v7, v2
	v_add_u32_e32 v9, 4, v4
	v_cmp_lt_u32_e32 vcc, v9, v5
	;; [unrolled: 19-line block ×4, first 2 shown]
	s_and_saveexec_b64 s[4:5], vcc
	s_cbranch_execz .LBB289_21
; %bb.20:
	s_waitcnt lgkmcnt(1)
	v_add_co_u32_e32 v6, vcc, v1, v8
	v_addc_co_u32_e32 v2, vcc, 0, v2, vcc
	v_add_co_u32_e32 v1, vcc, 0, v6
	s_waitcnt lgkmcnt(0)
	v_addc_co_u32_e32 v2, vcc, v7, v2, vcc
.LBB289_21:
	s_or_b64 exec, exec, s[4:5]
	s_waitcnt lgkmcnt(0)
	v_lshlrev_b32_e32 v7, 2, v3
	v_or_b32_e32 v8, 0x80, v7
	ds_bpermute_b32 v6, v8, v6
	ds_bpermute_b32 v8, v8, v2
	v_add_u32_e32 v4, 32, v4
	s_waitcnt lgkmcnt(1)
	v_add_co_u32_e32 v6, vcc, v1, v6
	v_addc_co_u32_e32 v9, vcc, 0, v2, vcc
	v_add_co_u32_e32 v6, vcc, 0, v6
	s_waitcnt lgkmcnt(0)
	v_addc_co_u32_e32 v8, vcc, v9, v8, vcc
	v_cmp_lt_u32_e32 vcc, v4, v5
	v_cndmask_b32_e32 v2, v2, v8, vcc
	v_cndmask_b32_e32 v1, v1, v6, vcc
	v_cmp_eq_u32_e32 vcc, 0, v3
	s_and_saveexec_b64 s[4:5], vcc
; %bb.22:
	v_lshrrev_b32_e32 v4, 3, v0
	v_and_b32_e32 v4, 24, v4
	ds_write_b64 v4, v[1:2] offset:32
; %bb.23:
	s_or_b64 exec, exec, s[4:5]
	v_cmp_gt_u32_e32 vcc, 4, v0
	s_waitcnt lgkmcnt(0)
	s_barrier
	s_and_saveexec_b64 s[4:5], vcc
	s_cbranch_execz .LBB289_27
; %bb.24:
	v_lshlrev_b32_e32 v1, 3, v3
	ds_read_b64 v[1:2], v1 offset:32
	v_and_b32_e32 v4, 3, v3
	v_cmp_ne_u32_e32 vcc, 3, v4
	v_addc_co_u32_e32 v3, vcc, 0, v3, vcc
	v_lshlrev_b32_e32 v3, 2, v3
	s_waitcnt lgkmcnt(0)
	ds_bpermute_b32 v6, v3, v1
	ds_bpermute_b32 v5, v3, v2
	s_add_i32 s8, s8, 63
	s_lshr_b32 s10, s8, 6
	v_add_u32_e32 v3, 1, v4
	v_cmp_gt_u32_e32 vcc, s10, v3
	v_mov_b32_e32 v3, v1
	s_and_saveexec_b64 s[8:9], vcc
	s_cbranch_execz .LBB289_26
; %bb.25:
	s_waitcnt lgkmcnt(1)
	v_add_co_u32_e32 v3, vcc, v1, v6
	v_addc_co_u32_e32 v2, vcc, 0, v2, vcc
	v_add_co_u32_e32 v1, vcc, 0, v3
	s_waitcnt lgkmcnt(0)
	v_addc_co_u32_e32 v2, vcc, v5, v2, vcc
.LBB289_26:
	s_or_b64 exec, exec, s[8:9]
	s_waitcnt lgkmcnt(0)
	v_or_b32_e32 v5, 8, v7
	ds_bpermute_b32 v3, v5, v3
	ds_bpermute_b32 v5, v5, v2
	v_add_u32_e32 v4, 2, v4
	s_waitcnt lgkmcnt(1)
	v_add_co_u32_e32 v3, vcc, v1, v3
	v_addc_co_u32_e32 v6, vcc, 0, v2, vcc
	v_add_co_u32_e32 v3, vcc, 0, v3
	s_waitcnt lgkmcnt(0)
	v_addc_co_u32_e32 v5, vcc, v6, v5, vcc
	v_cmp_gt_u32_e32 vcc, s10, v4
	v_cndmask_b32_e32 v2, v2, v5, vcc
	v_cndmask_b32_e32 v1, v1, v3, vcc
.LBB289_27:
	s_or_b64 exec, exec, s[4:5]
.LBB289_28:
	v_cmp_eq_u32_e32 vcc, 0, v0
	s_and_saveexec_b64 s[4:5], vcc
	s_cbranch_execnz .LBB289_30
; %bb.29:
	s_endpgm
.LBB289_30:
	s_mul_i32 s1, s2, s1
	s_mul_hi_u32 s4, s2, s0
	s_add_i32 s1, s4, s1
	s_mul_i32 s3, s3, s0
	s_add_i32 s1, s1, s3
	s_mul_i32 s0, s2, s0
	s_lshl_b64 s[0:1], s[0:1], 3
	s_add_u32 s2, s14, s0
	s_addc_u32 s3, s15, s1
	s_cmp_eq_u64 s[12:13], 0
	v_mov_b32_e32 v0, s17
	s_cselect_b64 vcc, -1, 0
	s_lshl_b64 s[0:1], s[6:7], 3
	v_cndmask_b32_e32 v2, v2, v0, vcc
	v_mov_b32_e32 v0, s16
	s_add_u32 s0, s2, s0
	v_cndmask_b32_e32 v1, v1, v0, vcc
	s_addc_u32 s1, s3, s1
	v_mov_b32_e32 v0, 0
	global_store_dwordx2 v0, v[1:2], s[0:1]
	s_endpgm
	.section	.rodata,"a",@progbits
	.p2align	6, 0x0
	.amdhsa_kernel _ZN7rocprim17ROCPRIM_400000_NS6detail17trampoline_kernelINS0_14default_configENS1_22reduce_config_selectorIlEEZNS1_11reduce_implILb1ES3_PlS7_lN6hipcub16HIPCUB_304000_NS6detail34convert_binary_result_type_wrapperINS9_3SumENS9_22TransformInputIteratorIb7NonZeroIdEPdlEElEEEE10hipError_tPvRmT1_T2_T3_mT4_P12ihipStream_tbEUlT_E0_NS1_11comp_targetILNS1_3genE2ELNS1_11target_archE906ELNS1_3gpuE6ELNS1_3repE0EEENS1_30default_config_static_selectorELNS0_4arch9wavefront6targetE1EEEvSM_
		.amdhsa_group_segment_fixed_size 64
		.amdhsa_private_segment_fixed_size 0
		.amdhsa_kernarg_size 64
		.amdhsa_user_sgpr_count 6
		.amdhsa_user_sgpr_private_segment_buffer 1
		.amdhsa_user_sgpr_dispatch_ptr 0
		.amdhsa_user_sgpr_queue_ptr 0
		.amdhsa_user_sgpr_kernarg_segment_ptr 1
		.amdhsa_user_sgpr_dispatch_id 0
		.amdhsa_user_sgpr_flat_scratch_init 0
		.amdhsa_user_sgpr_private_segment_size 0
		.amdhsa_uses_dynamic_stack 0
		.amdhsa_system_sgpr_private_segment_wavefront_offset 0
		.amdhsa_system_sgpr_workgroup_id_x 1
		.amdhsa_system_sgpr_workgroup_id_y 0
		.amdhsa_system_sgpr_workgroup_id_z 0
		.amdhsa_system_sgpr_workgroup_info 0
		.amdhsa_system_vgpr_workitem_id 0
		.amdhsa_next_free_vgpr 11
		.amdhsa_next_free_sgpr 20
		.amdhsa_reserve_vcc 1
		.amdhsa_reserve_flat_scratch 0
		.amdhsa_float_round_mode_32 0
		.amdhsa_float_round_mode_16_64 0
		.amdhsa_float_denorm_mode_32 3
		.amdhsa_float_denorm_mode_16_64 3
		.amdhsa_dx10_clamp 1
		.amdhsa_ieee_mode 1
		.amdhsa_fp16_overflow 0
		.amdhsa_exception_fp_ieee_invalid_op 0
		.amdhsa_exception_fp_denorm_src 0
		.amdhsa_exception_fp_ieee_div_zero 0
		.amdhsa_exception_fp_ieee_overflow 0
		.amdhsa_exception_fp_ieee_underflow 0
		.amdhsa_exception_fp_ieee_inexact 0
		.amdhsa_exception_int_div_zero 0
	.end_amdhsa_kernel
	.section	.text._ZN7rocprim17ROCPRIM_400000_NS6detail17trampoline_kernelINS0_14default_configENS1_22reduce_config_selectorIlEEZNS1_11reduce_implILb1ES3_PlS7_lN6hipcub16HIPCUB_304000_NS6detail34convert_binary_result_type_wrapperINS9_3SumENS9_22TransformInputIteratorIb7NonZeroIdEPdlEElEEEE10hipError_tPvRmT1_T2_T3_mT4_P12ihipStream_tbEUlT_E0_NS1_11comp_targetILNS1_3genE2ELNS1_11target_archE906ELNS1_3gpuE6ELNS1_3repE0EEENS1_30default_config_static_selectorELNS0_4arch9wavefront6targetE1EEEvSM_,"axG",@progbits,_ZN7rocprim17ROCPRIM_400000_NS6detail17trampoline_kernelINS0_14default_configENS1_22reduce_config_selectorIlEEZNS1_11reduce_implILb1ES3_PlS7_lN6hipcub16HIPCUB_304000_NS6detail34convert_binary_result_type_wrapperINS9_3SumENS9_22TransformInputIteratorIb7NonZeroIdEPdlEElEEEE10hipError_tPvRmT1_T2_T3_mT4_P12ihipStream_tbEUlT_E0_NS1_11comp_targetILNS1_3genE2ELNS1_11target_archE906ELNS1_3gpuE6ELNS1_3repE0EEENS1_30default_config_static_selectorELNS0_4arch9wavefront6targetE1EEEvSM_,comdat
.Lfunc_end289:
	.size	_ZN7rocprim17ROCPRIM_400000_NS6detail17trampoline_kernelINS0_14default_configENS1_22reduce_config_selectorIlEEZNS1_11reduce_implILb1ES3_PlS7_lN6hipcub16HIPCUB_304000_NS6detail34convert_binary_result_type_wrapperINS9_3SumENS9_22TransformInputIteratorIb7NonZeroIdEPdlEElEEEE10hipError_tPvRmT1_T2_T3_mT4_P12ihipStream_tbEUlT_E0_NS1_11comp_targetILNS1_3genE2ELNS1_11target_archE906ELNS1_3gpuE6ELNS1_3repE0EEENS1_30default_config_static_selectorELNS0_4arch9wavefront6targetE1EEEvSM_, .Lfunc_end289-_ZN7rocprim17ROCPRIM_400000_NS6detail17trampoline_kernelINS0_14default_configENS1_22reduce_config_selectorIlEEZNS1_11reduce_implILb1ES3_PlS7_lN6hipcub16HIPCUB_304000_NS6detail34convert_binary_result_type_wrapperINS9_3SumENS9_22TransformInputIteratorIb7NonZeroIdEPdlEElEEEE10hipError_tPvRmT1_T2_T3_mT4_P12ihipStream_tbEUlT_E0_NS1_11comp_targetILNS1_3genE2ELNS1_11target_archE906ELNS1_3gpuE6ELNS1_3repE0EEENS1_30default_config_static_selectorELNS0_4arch9wavefront6targetE1EEEvSM_
                                        ; -- End function
	.set _ZN7rocprim17ROCPRIM_400000_NS6detail17trampoline_kernelINS0_14default_configENS1_22reduce_config_selectorIlEEZNS1_11reduce_implILb1ES3_PlS7_lN6hipcub16HIPCUB_304000_NS6detail34convert_binary_result_type_wrapperINS9_3SumENS9_22TransformInputIteratorIb7NonZeroIdEPdlEElEEEE10hipError_tPvRmT1_T2_T3_mT4_P12ihipStream_tbEUlT_E0_NS1_11comp_targetILNS1_3genE2ELNS1_11target_archE906ELNS1_3gpuE6ELNS1_3repE0EEENS1_30default_config_static_selectorELNS0_4arch9wavefront6targetE1EEEvSM_.num_vgpr, 11
	.set _ZN7rocprim17ROCPRIM_400000_NS6detail17trampoline_kernelINS0_14default_configENS1_22reduce_config_selectorIlEEZNS1_11reduce_implILb1ES3_PlS7_lN6hipcub16HIPCUB_304000_NS6detail34convert_binary_result_type_wrapperINS9_3SumENS9_22TransformInputIteratorIb7NonZeroIdEPdlEElEEEE10hipError_tPvRmT1_T2_T3_mT4_P12ihipStream_tbEUlT_E0_NS1_11comp_targetILNS1_3genE2ELNS1_11target_archE906ELNS1_3gpuE6ELNS1_3repE0EEENS1_30default_config_static_selectorELNS0_4arch9wavefront6targetE1EEEvSM_.num_agpr, 0
	.set _ZN7rocprim17ROCPRIM_400000_NS6detail17trampoline_kernelINS0_14default_configENS1_22reduce_config_selectorIlEEZNS1_11reduce_implILb1ES3_PlS7_lN6hipcub16HIPCUB_304000_NS6detail34convert_binary_result_type_wrapperINS9_3SumENS9_22TransformInputIteratorIb7NonZeroIdEPdlEElEEEE10hipError_tPvRmT1_T2_T3_mT4_P12ihipStream_tbEUlT_E0_NS1_11comp_targetILNS1_3genE2ELNS1_11target_archE906ELNS1_3gpuE6ELNS1_3repE0EEENS1_30default_config_static_selectorELNS0_4arch9wavefront6targetE1EEEvSM_.numbered_sgpr, 20
	.set _ZN7rocprim17ROCPRIM_400000_NS6detail17trampoline_kernelINS0_14default_configENS1_22reduce_config_selectorIlEEZNS1_11reduce_implILb1ES3_PlS7_lN6hipcub16HIPCUB_304000_NS6detail34convert_binary_result_type_wrapperINS9_3SumENS9_22TransformInputIteratorIb7NonZeroIdEPdlEElEEEE10hipError_tPvRmT1_T2_T3_mT4_P12ihipStream_tbEUlT_E0_NS1_11comp_targetILNS1_3genE2ELNS1_11target_archE906ELNS1_3gpuE6ELNS1_3repE0EEENS1_30default_config_static_selectorELNS0_4arch9wavefront6targetE1EEEvSM_.num_named_barrier, 0
	.set _ZN7rocprim17ROCPRIM_400000_NS6detail17trampoline_kernelINS0_14default_configENS1_22reduce_config_selectorIlEEZNS1_11reduce_implILb1ES3_PlS7_lN6hipcub16HIPCUB_304000_NS6detail34convert_binary_result_type_wrapperINS9_3SumENS9_22TransformInputIteratorIb7NonZeroIdEPdlEElEEEE10hipError_tPvRmT1_T2_T3_mT4_P12ihipStream_tbEUlT_E0_NS1_11comp_targetILNS1_3genE2ELNS1_11target_archE906ELNS1_3gpuE6ELNS1_3repE0EEENS1_30default_config_static_selectorELNS0_4arch9wavefront6targetE1EEEvSM_.private_seg_size, 0
	.set _ZN7rocprim17ROCPRIM_400000_NS6detail17trampoline_kernelINS0_14default_configENS1_22reduce_config_selectorIlEEZNS1_11reduce_implILb1ES3_PlS7_lN6hipcub16HIPCUB_304000_NS6detail34convert_binary_result_type_wrapperINS9_3SumENS9_22TransformInputIteratorIb7NonZeroIdEPdlEElEEEE10hipError_tPvRmT1_T2_T3_mT4_P12ihipStream_tbEUlT_E0_NS1_11comp_targetILNS1_3genE2ELNS1_11target_archE906ELNS1_3gpuE6ELNS1_3repE0EEENS1_30default_config_static_selectorELNS0_4arch9wavefront6targetE1EEEvSM_.uses_vcc, 1
	.set _ZN7rocprim17ROCPRIM_400000_NS6detail17trampoline_kernelINS0_14default_configENS1_22reduce_config_selectorIlEEZNS1_11reduce_implILb1ES3_PlS7_lN6hipcub16HIPCUB_304000_NS6detail34convert_binary_result_type_wrapperINS9_3SumENS9_22TransformInputIteratorIb7NonZeroIdEPdlEElEEEE10hipError_tPvRmT1_T2_T3_mT4_P12ihipStream_tbEUlT_E0_NS1_11comp_targetILNS1_3genE2ELNS1_11target_archE906ELNS1_3gpuE6ELNS1_3repE0EEENS1_30default_config_static_selectorELNS0_4arch9wavefront6targetE1EEEvSM_.uses_flat_scratch, 0
	.set _ZN7rocprim17ROCPRIM_400000_NS6detail17trampoline_kernelINS0_14default_configENS1_22reduce_config_selectorIlEEZNS1_11reduce_implILb1ES3_PlS7_lN6hipcub16HIPCUB_304000_NS6detail34convert_binary_result_type_wrapperINS9_3SumENS9_22TransformInputIteratorIb7NonZeroIdEPdlEElEEEE10hipError_tPvRmT1_T2_T3_mT4_P12ihipStream_tbEUlT_E0_NS1_11comp_targetILNS1_3genE2ELNS1_11target_archE906ELNS1_3gpuE6ELNS1_3repE0EEENS1_30default_config_static_selectorELNS0_4arch9wavefront6targetE1EEEvSM_.has_dyn_sized_stack, 0
	.set _ZN7rocprim17ROCPRIM_400000_NS6detail17trampoline_kernelINS0_14default_configENS1_22reduce_config_selectorIlEEZNS1_11reduce_implILb1ES3_PlS7_lN6hipcub16HIPCUB_304000_NS6detail34convert_binary_result_type_wrapperINS9_3SumENS9_22TransformInputIteratorIb7NonZeroIdEPdlEElEEEE10hipError_tPvRmT1_T2_T3_mT4_P12ihipStream_tbEUlT_E0_NS1_11comp_targetILNS1_3genE2ELNS1_11target_archE906ELNS1_3gpuE6ELNS1_3repE0EEENS1_30default_config_static_selectorELNS0_4arch9wavefront6targetE1EEEvSM_.has_recursion, 0
	.set _ZN7rocprim17ROCPRIM_400000_NS6detail17trampoline_kernelINS0_14default_configENS1_22reduce_config_selectorIlEEZNS1_11reduce_implILb1ES3_PlS7_lN6hipcub16HIPCUB_304000_NS6detail34convert_binary_result_type_wrapperINS9_3SumENS9_22TransformInputIteratorIb7NonZeroIdEPdlEElEEEE10hipError_tPvRmT1_T2_T3_mT4_P12ihipStream_tbEUlT_E0_NS1_11comp_targetILNS1_3genE2ELNS1_11target_archE906ELNS1_3gpuE6ELNS1_3repE0EEENS1_30default_config_static_selectorELNS0_4arch9wavefront6targetE1EEEvSM_.has_indirect_call, 0
	.section	.AMDGPU.csdata,"",@progbits
; Kernel info:
; codeLenInByte = 1496
; TotalNumSgprs: 24
; NumVgprs: 11
; ScratchSize: 0
; MemoryBound: 0
; FloatMode: 240
; IeeeMode: 1
; LDSByteSize: 64 bytes/workgroup (compile time only)
; SGPRBlocks: 2
; VGPRBlocks: 2
; NumSGPRsForWavesPerEU: 24
; NumVGPRsForWavesPerEU: 11
; Occupancy: 10
; WaveLimiterHint : 1
; COMPUTE_PGM_RSRC2:SCRATCH_EN: 0
; COMPUTE_PGM_RSRC2:USER_SGPR: 6
; COMPUTE_PGM_RSRC2:TRAP_HANDLER: 0
; COMPUTE_PGM_RSRC2:TGID_X_EN: 1
; COMPUTE_PGM_RSRC2:TGID_Y_EN: 0
; COMPUTE_PGM_RSRC2:TGID_Z_EN: 0
; COMPUTE_PGM_RSRC2:TIDIG_COMP_CNT: 0
	.section	.text._ZN7rocprim17ROCPRIM_400000_NS6detail17trampoline_kernelINS0_14default_configENS1_22reduce_config_selectorIlEEZNS1_11reduce_implILb1ES3_PlS7_lN6hipcub16HIPCUB_304000_NS6detail34convert_binary_result_type_wrapperINS9_3SumENS9_22TransformInputIteratorIb7NonZeroIdEPdlEElEEEE10hipError_tPvRmT1_T2_T3_mT4_P12ihipStream_tbEUlT_E0_NS1_11comp_targetILNS1_3genE10ELNS1_11target_archE1201ELNS1_3gpuE5ELNS1_3repE0EEENS1_30default_config_static_selectorELNS0_4arch9wavefront6targetE1EEEvSM_,"axG",@progbits,_ZN7rocprim17ROCPRIM_400000_NS6detail17trampoline_kernelINS0_14default_configENS1_22reduce_config_selectorIlEEZNS1_11reduce_implILb1ES3_PlS7_lN6hipcub16HIPCUB_304000_NS6detail34convert_binary_result_type_wrapperINS9_3SumENS9_22TransformInputIteratorIb7NonZeroIdEPdlEElEEEE10hipError_tPvRmT1_T2_T3_mT4_P12ihipStream_tbEUlT_E0_NS1_11comp_targetILNS1_3genE10ELNS1_11target_archE1201ELNS1_3gpuE5ELNS1_3repE0EEENS1_30default_config_static_selectorELNS0_4arch9wavefront6targetE1EEEvSM_,comdat
	.protected	_ZN7rocprim17ROCPRIM_400000_NS6detail17trampoline_kernelINS0_14default_configENS1_22reduce_config_selectorIlEEZNS1_11reduce_implILb1ES3_PlS7_lN6hipcub16HIPCUB_304000_NS6detail34convert_binary_result_type_wrapperINS9_3SumENS9_22TransformInputIteratorIb7NonZeroIdEPdlEElEEEE10hipError_tPvRmT1_T2_T3_mT4_P12ihipStream_tbEUlT_E0_NS1_11comp_targetILNS1_3genE10ELNS1_11target_archE1201ELNS1_3gpuE5ELNS1_3repE0EEENS1_30default_config_static_selectorELNS0_4arch9wavefront6targetE1EEEvSM_ ; -- Begin function _ZN7rocprim17ROCPRIM_400000_NS6detail17trampoline_kernelINS0_14default_configENS1_22reduce_config_selectorIlEEZNS1_11reduce_implILb1ES3_PlS7_lN6hipcub16HIPCUB_304000_NS6detail34convert_binary_result_type_wrapperINS9_3SumENS9_22TransformInputIteratorIb7NonZeroIdEPdlEElEEEE10hipError_tPvRmT1_T2_T3_mT4_P12ihipStream_tbEUlT_E0_NS1_11comp_targetILNS1_3genE10ELNS1_11target_archE1201ELNS1_3gpuE5ELNS1_3repE0EEENS1_30default_config_static_selectorELNS0_4arch9wavefront6targetE1EEEvSM_
	.globl	_ZN7rocprim17ROCPRIM_400000_NS6detail17trampoline_kernelINS0_14default_configENS1_22reduce_config_selectorIlEEZNS1_11reduce_implILb1ES3_PlS7_lN6hipcub16HIPCUB_304000_NS6detail34convert_binary_result_type_wrapperINS9_3SumENS9_22TransformInputIteratorIb7NonZeroIdEPdlEElEEEE10hipError_tPvRmT1_T2_T3_mT4_P12ihipStream_tbEUlT_E0_NS1_11comp_targetILNS1_3genE10ELNS1_11target_archE1201ELNS1_3gpuE5ELNS1_3repE0EEENS1_30default_config_static_selectorELNS0_4arch9wavefront6targetE1EEEvSM_
	.p2align	8
	.type	_ZN7rocprim17ROCPRIM_400000_NS6detail17trampoline_kernelINS0_14default_configENS1_22reduce_config_selectorIlEEZNS1_11reduce_implILb1ES3_PlS7_lN6hipcub16HIPCUB_304000_NS6detail34convert_binary_result_type_wrapperINS9_3SumENS9_22TransformInputIteratorIb7NonZeroIdEPdlEElEEEE10hipError_tPvRmT1_T2_T3_mT4_P12ihipStream_tbEUlT_E0_NS1_11comp_targetILNS1_3genE10ELNS1_11target_archE1201ELNS1_3gpuE5ELNS1_3repE0EEENS1_30default_config_static_selectorELNS0_4arch9wavefront6targetE1EEEvSM_,@function
_ZN7rocprim17ROCPRIM_400000_NS6detail17trampoline_kernelINS0_14default_configENS1_22reduce_config_selectorIlEEZNS1_11reduce_implILb1ES3_PlS7_lN6hipcub16HIPCUB_304000_NS6detail34convert_binary_result_type_wrapperINS9_3SumENS9_22TransformInputIteratorIb7NonZeroIdEPdlEElEEEE10hipError_tPvRmT1_T2_T3_mT4_P12ihipStream_tbEUlT_E0_NS1_11comp_targetILNS1_3genE10ELNS1_11target_archE1201ELNS1_3gpuE5ELNS1_3repE0EEENS1_30default_config_static_selectorELNS0_4arch9wavefront6targetE1EEEvSM_: ; @_ZN7rocprim17ROCPRIM_400000_NS6detail17trampoline_kernelINS0_14default_configENS1_22reduce_config_selectorIlEEZNS1_11reduce_implILb1ES3_PlS7_lN6hipcub16HIPCUB_304000_NS6detail34convert_binary_result_type_wrapperINS9_3SumENS9_22TransformInputIteratorIb7NonZeroIdEPdlEElEEEE10hipError_tPvRmT1_T2_T3_mT4_P12ihipStream_tbEUlT_E0_NS1_11comp_targetILNS1_3genE10ELNS1_11target_archE1201ELNS1_3gpuE5ELNS1_3repE0EEENS1_30default_config_static_selectorELNS0_4arch9wavefront6targetE1EEEvSM_
; %bb.0:
	.section	.rodata,"a",@progbits
	.p2align	6, 0x0
	.amdhsa_kernel _ZN7rocprim17ROCPRIM_400000_NS6detail17trampoline_kernelINS0_14default_configENS1_22reduce_config_selectorIlEEZNS1_11reduce_implILb1ES3_PlS7_lN6hipcub16HIPCUB_304000_NS6detail34convert_binary_result_type_wrapperINS9_3SumENS9_22TransformInputIteratorIb7NonZeroIdEPdlEElEEEE10hipError_tPvRmT1_T2_T3_mT4_P12ihipStream_tbEUlT_E0_NS1_11comp_targetILNS1_3genE10ELNS1_11target_archE1201ELNS1_3gpuE5ELNS1_3repE0EEENS1_30default_config_static_selectorELNS0_4arch9wavefront6targetE1EEEvSM_
		.amdhsa_group_segment_fixed_size 0
		.amdhsa_private_segment_fixed_size 0
		.amdhsa_kernarg_size 64
		.amdhsa_user_sgpr_count 6
		.amdhsa_user_sgpr_private_segment_buffer 1
		.amdhsa_user_sgpr_dispatch_ptr 0
		.amdhsa_user_sgpr_queue_ptr 0
		.amdhsa_user_sgpr_kernarg_segment_ptr 1
		.amdhsa_user_sgpr_dispatch_id 0
		.amdhsa_user_sgpr_flat_scratch_init 0
		.amdhsa_user_sgpr_private_segment_size 0
		.amdhsa_uses_dynamic_stack 0
		.amdhsa_system_sgpr_private_segment_wavefront_offset 0
		.amdhsa_system_sgpr_workgroup_id_x 1
		.amdhsa_system_sgpr_workgroup_id_y 0
		.amdhsa_system_sgpr_workgroup_id_z 0
		.amdhsa_system_sgpr_workgroup_info 0
		.amdhsa_system_vgpr_workitem_id 0
		.amdhsa_next_free_vgpr 1
		.amdhsa_next_free_sgpr 0
		.amdhsa_reserve_vcc 0
		.amdhsa_reserve_flat_scratch 0
		.amdhsa_float_round_mode_32 0
		.amdhsa_float_round_mode_16_64 0
		.amdhsa_float_denorm_mode_32 3
		.amdhsa_float_denorm_mode_16_64 3
		.amdhsa_dx10_clamp 1
		.amdhsa_ieee_mode 1
		.amdhsa_fp16_overflow 0
		.amdhsa_exception_fp_ieee_invalid_op 0
		.amdhsa_exception_fp_denorm_src 0
		.amdhsa_exception_fp_ieee_div_zero 0
		.amdhsa_exception_fp_ieee_overflow 0
		.amdhsa_exception_fp_ieee_underflow 0
		.amdhsa_exception_fp_ieee_inexact 0
		.amdhsa_exception_int_div_zero 0
	.end_amdhsa_kernel
	.section	.text._ZN7rocprim17ROCPRIM_400000_NS6detail17trampoline_kernelINS0_14default_configENS1_22reduce_config_selectorIlEEZNS1_11reduce_implILb1ES3_PlS7_lN6hipcub16HIPCUB_304000_NS6detail34convert_binary_result_type_wrapperINS9_3SumENS9_22TransformInputIteratorIb7NonZeroIdEPdlEElEEEE10hipError_tPvRmT1_T2_T3_mT4_P12ihipStream_tbEUlT_E0_NS1_11comp_targetILNS1_3genE10ELNS1_11target_archE1201ELNS1_3gpuE5ELNS1_3repE0EEENS1_30default_config_static_selectorELNS0_4arch9wavefront6targetE1EEEvSM_,"axG",@progbits,_ZN7rocprim17ROCPRIM_400000_NS6detail17trampoline_kernelINS0_14default_configENS1_22reduce_config_selectorIlEEZNS1_11reduce_implILb1ES3_PlS7_lN6hipcub16HIPCUB_304000_NS6detail34convert_binary_result_type_wrapperINS9_3SumENS9_22TransformInputIteratorIb7NonZeroIdEPdlEElEEEE10hipError_tPvRmT1_T2_T3_mT4_P12ihipStream_tbEUlT_E0_NS1_11comp_targetILNS1_3genE10ELNS1_11target_archE1201ELNS1_3gpuE5ELNS1_3repE0EEENS1_30default_config_static_selectorELNS0_4arch9wavefront6targetE1EEEvSM_,comdat
.Lfunc_end290:
	.size	_ZN7rocprim17ROCPRIM_400000_NS6detail17trampoline_kernelINS0_14default_configENS1_22reduce_config_selectorIlEEZNS1_11reduce_implILb1ES3_PlS7_lN6hipcub16HIPCUB_304000_NS6detail34convert_binary_result_type_wrapperINS9_3SumENS9_22TransformInputIteratorIb7NonZeroIdEPdlEElEEEE10hipError_tPvRmT1_T2_T3_mT4_P12ihipStream_tbEUlT_E0_NS1_11comp_targetILNS1_3genE10ELNS1_11target_archE1201ELNS1_3gpuE5ELNS1_3repE0EEENS1_30default_config_static_selectorELNS0_4arch9wavefront6targetE1EEEvSM_, .Lfunc_end290-_ZN7rocprim17ROCPRIM_400000_NS6detail17trampoline_kernelINS0_14default_configENS1_22reduce_config_selectorIlEEZNS1_11reduce_implILb1ES3_PlS7_lN6hipcub16HIPCUB_304000_NS6detail34convert_binary_result_type_wrapperINS9_3SumENS9_22TransformInputIteratorIb7NonZeroIdEPdlEElEEEE10hipError_tPvRmT1_T2_T3_mT4_P12ihipStream_tbEUlT_E0_NS1_11comp_targetILNS1_3genE10ELNS1_11target_archE1201ELNS1_3gpuE5ELNS1_3repE0EEENS1_30default_config_static_selectorELNS0_4arch9wavefront6targetE1EEEvSM_
                                        ; -- End function
	.set _ZN7rocprim17ROCPRIM_400000_NS6detail17trampoline_kernelINS0_14default_configENS1_22reduce_config_selectorIlEEZNS1_11reduce_implILb1ES3_PlS7_lN6hipcub16HIPCUB_304000_NS6detail34convert_binary_result_type_wrapperINS9_3SumENS9_22TransformInputIteratorIb7NonZeroIdEPdlEElEEEE10hipError_tPvRmT1_T2_T3_mT4_P12ihipStream_tbEUlT_E0_NS1_11comp_targetILNS1_3genE10ELNS1_11target_archE1201ELNS1_3gpuE5ELNS1_3repE0EEENS1_30default_config_static_selectorELNS0_4arch9wavefront6targetE1EEEvSM_.num_vgpr, 0
	.set _ZN7rocprim17ROCPRIM_400000_NS6detail17trampoline_kernelINS0_14default_configENS1_22reduce_config_selectorIlEEZNS1_11reduce_implILb1ES3_PlS7_lN6hipcub16HIPCUB_304000_NS6detail34convert_binary_result_type_wrapperINS9_3SumENS9_22TransformInputIteratorIb7NonZeroIdEPdlEElEEEE10hipError_tPvRmT1_T2_T3_mT4_P12ihipStream_tbEUlT_E0_NS1_11comp_targetILNS1_3genE10ELNS1_11target_archE1201ELNS1_3gpuE5ELNS1_3repE0EEENS1_30default_config_static_selectorELNS0_4arch9wavefront6targetE1EEEvSM_.num_agpr, 0
	.set _ZN7rocprim17ROCPRIM_400000_NS6detail17trampoline_kernelINS0_14default_configENS1_22reduce_config_selectorIlEEZNS1_11reduce_implILb1ES3_PlS7_lN6hipcub16HIPCUB_304000_NS6detail34convert_binary_result_type_wrapperINS9_3SumENS9_22TransformInputIteratorIb7NonZeroIdEPdlEElEEEE10hipError_tPvRmT1_T2_T3_mT4_P12ihipStream_tbEUlT_E0_NS1_11comp_targetILNS1_3genE10ELNS1_11target_archE1201ELNS1_3gpuE5ELNS1_3repE0EEENS1_30default_config_static_selectorELNS0_4arch9wavefront6targetE1EEEvSM_.numbered_sgpr, 0
	.set _ZN7rocprim17ROCPRIM_400000_NS6detail17trampoline_kernelINS0_14default_configENS1_22reduce_config_selectorIlEEZNS1_11reduce_implILb1ES3_PlS7_lN6hipcub16HIPCUB_304000_NS6detail34convert_binary_result_type_wrapperINS9_3SumENS9_22TransformInputIteratorIb7NonZeroIdEPdlEElEEEE10hipError_tPvRmT1_T2_T3_mT4_P12ihipStream_tbEUlT_E0_NS1_11comp_targetILNS1_3genE10ELNS1_11target_archE1201ELNS1_3gpuE5ELNS1_3repE0EEENS1_30default_config_static_selectorELNS0_4arch9wavefront6targetE1EEEvSM_.num_named_barrier, 0
	.set _ZN7rocprim17ROCPRIM_400000_NS6detail17trampoline_kernelINS0_14default_configENS1_22reduce_config_selectorIlEEZNS1_11reduce_implILb1ES3_PlS7_lN6hipcub16HIPCUB_304000_NS6detail34convert_binary_result_type_wrapperINS9_3SumENS9_22TransformInputIteratorIb7NonZeroIdEPdlEElEEEE10hipError_tPvRmT1_T2_T3_mT4_P12ihipStream_tbEUlT_E0_NS1_11comp_targetILNS1_3genE10ELNS1_11target_archE1201ELNS1_3gpuE5ELNS1_3repE0EEENS1_30default_config_static_selectorELNS0_4arch9wavefront6targetE1EEEvSM_.private_seg_size, 0
	.set _ZN7rocprim17ROCPRIM_400000_NS6detail17trampoline_kernelINS0_14default_configENS1_22reduce_config_selectorIlEEZNS1_11reduce_implILb1ES3_PlS7_lN6hipcub16HIPCUB_304000_NS6detail34convert_binary_result_type_wrapperINS9_3SumENS9_22TransformInputIteratorIb7NonZeroIdEPdlEElEEEE10hipError_tPvRmT1_T2_T3_mT4_P12ihipStream_tbEUlT_E0_NS1_11comp_targetILNS1_3genE10ELNS1_11target_archE1201ELNS1_3gpuE5ELNS1_3repE0EEENS1_30default_config_static_selectorELNS0_4arch9wavefront6targetE1EEEvSM_.uses_vcc, 0
	.set _ZN7rocprim17ROCPRIM_400000_NS6detail17trampoline_kernelINS0_14default_configENS1_22reduce_config_selectorIlEEZNS1_11reduce_implILb1ES3_PlS7_lN6hipcub16HIPCUB_304000_NS6detail34convert_binary_result_type_wrapperINS9_3SumENS9_22TransformInputIteratorIb7NonZeroIdEPdlEElEEEE10hipError_tPvRmT1_T2_T3_mT4_P12ihipStream_tbEUlT_E0_NS1_11comp_targetILNS1_3genE10ELNS1_11target_archE1201ELNS1_3gpuE5ELNS1_3repE0EEENS1_30default_config_static_selectorELNS0_4arch9wavefront6targetE1EEEvSM_.uses_flat_scratch, 0
	.set _ZN7rocprim17ROCPRIM_400000_NS6detail17trampoline_kernelINS0_14default_configENS1_22reduce_config_selectorIlEEZNS1_11reduce_implILb1ES3_PlS7_lN6hipcub16HIPCUB_304000_NS6detail34convert_binary_result_type_wrapperINS9_3SumENS9_22TransformInputIteratorIb7NonZeroIdEPdlEElEEEE10hipError_tPvRmT1_T2_T3_mT4_P12ihipStream_tbEUlT_E0_NS1_11comp_targetILNS1_3genE10ELNS1_11target_archE1201ELNS1_3gpuE5ELNS1_3repE0EEENS1_30default_config_static_selectorELNS0_4arch9wavefront6targetE1EEEvSM_.has_dyn_sized_stack, 0
	.set _ZN7rocprim17ROCPRIM_400000_NS6detail17trampoline_kernelINS0_14default_configENS1_22reduce_config_selectorIlEEZNS1_11reduce_implILb1ES3_PlS7_lN6hipcub16HIPCUB_304000_NS6detail34convert_binary_result_type_wrapperINS9_3SumENS9_22TransformInputIteratorIb7NonZeroIdEPdlEElEEEE10hipError_tPvRmT1_T2_T3_mT4_P12ihipStream_tbEUlT_E0_NS1_11comp_targetILNS1_3genE10ELNS1_11target_archE1201ELNS1_3gpuE5ELNS1_3repE0EEENS1_30default_config_static_selectorELNS0_4arch9wavefront6targetE1EEEvSM_.has_recursion, 0
	.set _ZN7rocprim17ROCPRIM_400000_NS6detail17trampoline_kernelINS0_14default_configENS1_22reduce_config_selectorIlEEZNS1_11reduce_implILb1ES3_PlS7_lN6hipcub16HIPCUB_304000_NS6detail34convert_binary_result_type_wrapperINS9_3SumENS9_22TransformInputIteratorIb7NonZeroIdEPdlEElEEEE10hipError_tPvRmT1_T2_T3_mT4_P12ihipStream_tbEUlT_E0_NS1_11comp_targetILNS1_3genE10ELNS1_11target_archE1201ELNS1_3gpuE5ELNS1_3repE0EEENS1_30default_config_static_selectorELNS0_4arch9wavefront6targetE1EEEvSM_.has_indirect_call, 0
	.section	.AMDGPU.csdata,"",@progbits
; Kernel info:
; codeLenInByte = 0
; TotalNumSgprs: 4
; NumVgprs: 0
; ScratchSize: 0
; MemoryBound: 0
; FloatMode: 240
; IeeeMode: 1
; LDSByteSize: 0 bytes/workgroup (compile time only)
; SGPRBlocks: 0
; VGPRBlocks: 0
; NumSGPRsForWavesPerEU: 4
; NumVGPRsForWavesPerEU: 1
; Occupancy: 10
; WaveLimiterHint : 0
; COMPUTE_PGM_RSRC2:SCRATCH_EN: 0
; COMPUTE_PGM_RSRC2:USER_SGPR: 6
; COMPUTE_PGM_RSRC2:TRAP_HANDLER: 0
; COMPUTE_PGM_RSRC2:TGID_X_EN: 1
; COMPUTE_PGM_RSRC2:TGID_Y_EN: 0
; COMPUTE_PGM_RSRC2:TGID_Z_EN: 0
; COMPUTE_PGM_RSRC2:TIDIG_COMP_CNT: 0
	.section	.text._ZN7rocprim17ROCPRIM_400000_NS6detail17trampoline_kernelINS0_14default_configENS1_22reduce_config_selectorIlEEZNS1_11reduce_implILb1ES3_PlS7_lN6hipcub16HIPCUB_304000_NS6detail34convert_binary_result_type_wrapperINS9_3SumENS9_22TransformInputIteratorIb7NonZeroIdEPdlEElEEEE10hipError_tPvRmT1_T2_T3_mT4_P12ihipStream_tbEUlT_E0_NS1_11comp_targetILNS1_3genE10ELNS1_11target_archE1200ELNS1_3gpuE4ELNS1_3repE0EEENS1_30default_config_static_selectorELNS0_4arch9wavefront6targetE1EEEvSM_,"axG",@progbits,_ZN7rocprim17ROCPRIM_400000_NS6detail17trampoline_kernelINS0_14default_configENS1_22reduce_config_selectorIlEEZNS1_11reduce_implILb1ES3_PlS7_lN6hipcub16HIPCUB_304000_NS6detail34convert_binary_result_type_wrapperINS9_3SumENS9_22TransformInputIteratorIb7NonZeroIdEPdlEElEEEE10hipError_tPvRmT1_T2_T3_mT4_P12ihipStream_tbEUlT_E0_NS1_11comp_targetILNS1_3genE10ELNS1_11target_archE1200ELNS1_3gpuE4ELNS1_3repE0EEENS1_30default_config_static_selectorELNS0_4arch9wavefront6targetE1EEEvSM_,comdat
	.protected	_ZN7rocprim17ROCPRIM_400000_NS6detail17trampoline_kernelINS0_14default_configENS1_22reduce_config_selectorIlEEZNS1_11reduce_implILb1ES3_PlS7_lN6hipcub16HIPCUB_304000_NS6detail34convert_binary_result_type_wrapperINS9_3SumENS9_22TransformInputIteratorIb7NonZeroIdEPdlEElEEEE10hipError_tPvRmT1_T2_T3_mT4_P12ihipStream_tbEUlT_E0_NS1_11comp_targetILNS1_3genE10ELNS1_11target_archE1200ELNS1_3gpuE4ELNS1_3repE0EEENS1_30default_config_static_selectorELNS0_4arch9wavefront6targetE1EEEvSM_ ; -- Begin function _ZN7rocprim17ROCPRIM_400000_NS6detail17trampoline_kernelINS0_14default_configENS1_22reduce_config_selectorIlEEZNS1_11reduce_implILb1ES3_PlS7_lN6hipcub16HIPCUB_304000_NS6detail34convert_binary_result_type_wrapperINS9_3SumENS9_22TransformInputIteratorIb7NonZeroIdEPdlEElEEEE10hipError_tPvRmT1_T2_T3_mT4_P12ihipStream_tbEUlT_E0_NS1_11comp_targetILNS1_3genE10ELNS1_11target_archE1200ELNS1_3gpuE4ELNS1_3repE0EEENS1_30default_config_static_selectorELNS0_4arch9wavefront6targetE1EEEvSM_
	.globl	_ZN7rocprim17ROCPRIM_400000_NS6detail17trampoline_kernelINS0_14default_configENS1_22reduce_config_selectorIlEEZNS1_11reduce_implILb1ES3_PlS7_lN6hipcub16HIPCUB_304000_NS6detail34convert_binary_result_type_wrapperINS9_3SumENS9_22TransformInputIteratorIb7NonZeroIdEPdlEElEEEE10hipError_tPvRmT1_T2_T3_mT4_P12ihipStream_tbEUlT_E0_NS1_11comp_targetILNS1_3genE10ELNS1_11target_archE1200ELNS1_3gpuE4ELNS1_3repE0EEENS1_30default_config_static_selectorELNS0_4arch9wavefront6targetE1EEEvSM_
	.p2align	8
	.type	_ZN7rocprim17ROCPRIM_400000_NS6detail17trampoline_kernelINS0_14default_configENS1_22reduce_config_selectorIlEEZNS1_11reduce_implILb1ES3_PlS7_lN6hipcub16HIPCUB_304000_NS6detail34convert_binary_result_type_wrapperINS9_3SumENS9_22TransformInputIteratorIb7NonZeroIdEPdlEElEEEE10hipError_tPvRmT1_T2_T3_mT4_P12ihipStream_tbEUlT_E0_NS1_11comp_targetILNS1_3genE10ELNS1_11target_archE1200ELNS1_3gpuE4ELNS1_3repE0EEENS1_30default_config_static_selectorELNS0_4arch9wavefront6targetE1EEEvSM_,@function
_ZN7rocprim17ROCPRIM_400000_NS6detail17trampoline_kernelINS0_14default_configENS1_22reduce_config_selectorIlEEZNS1_11reduce_implILb1ES3_PlS7_lN6hipcub16HIPCUB_304000_NS6detail34convert_binary_result_type_wrapperINS9_3SumENS9_22TransformInputIteratorIb7NonZeroIdEPdlEElEEEE10hipError_tPvRmT1_T2_T3_mT4_P12ihipStream_tbEUlT_E0_NS1_11comp_targetILNS1_3genE10ELNS1_11target_archE1200ELNS1_3gpuE4ELNS1_3repE0EEENS1_30default_config_static_selectorELNS0_4arch9wavefront6targetE1EEEvSM_: ; @_ZN7rocprim17ROCPRIM_400000_NS6detail17trampoline_kernelINS0_14default_configENS1_22reduce_config_selectorIlEEZNS1_11reduce_implILb1ES3_PlS7_lN6hipcub16HIPCUB_304000_NS6detail34convert_binary_result_type_wrapperINS9_3SumENS9_22TransformInputIteratorIb7NonZeroIdEPdlEElEEEE10hipError_tPvRmT1_T2_T3_mT4_P12ihipStream_tbEUlT_E0_NS1_11comp_targetILNS1_3genE10ELNS1_11target_archE1200ELNS1_3gpuE4ELNS1_3repE0EEENS1_30default_config_static_selectorELNS0_4arch9wavefront6targetE1EEEvSM_
; %bb.0:
	.section	.rodata,"a",@progbits
	.p2align	6, 0x0
	.amdhsa_kernel _ZN7rocprim17ROCPRIM_400000_NS6detail17trampoline_kernelINS0_14default_configENS1_22reduce_config_selectorIlEEZNS1_11reduce_implILb1ES3_PlS7_lN6hipcub16HIPCUB_304000_NS6detail34convert_binary_result_type_wrapperINS9_3SumENS9_22TransformInputIteratorIb7NonZeroIdEPdlEElEEEE10hipError_tPvRmT1_T2_T3_mT4_P12ihipStream_tbEUlT_E0_NS1_11comp_targetILNS1_3genE10ELNS1_11target_archE1200ELNS1_3gpuE4ELNS1_3repE0EEENS1_30default_config_static_selectorELNS0_4arch9wavefront6targetE1EEEvSM_
		.amdhsa_group_segment_fixed_size 0
		.amdhsa_private_segment_fixed_size 0
		.amdhsa_kernarg_size 64
		.amdhsa_user_sgpr_count 6
		.amdhsa_user_sgpr_private_segment_buffer 1
		.amdhsa_user_sgpr_dispatch_ptr 0
		.amdhsa_user_sgpr_queue_ptr 0
		.amdhsa_user_sgpr_kernarg_segment_ptr 1
		.amdhsa_user_sgpr_dispatch_id 0
		.amdhsa_user_sgpr_flat_scratch_init 0
		.amdhsa_user_sgpr_private_segment_size 0
		.amdhsa_uses_dynamic_stack 0
		.amdhsa_system_sgpr_private_segment_wavefront_offset 0
		.amdhsa_system_sgpr_workgroup_id_x 1
		.amdhsa_system_sgpr_workgroup_id_y 0
		.amdhsa_system_sgpr_workgroup_id_z 0
		.amdhsa_system_sgpr_workgroup_info 0
		.amdhsa_system_vgpr_workitem_id 0
		.amdhsa_next_free_vgpr 1
		.amdhsa_next_free_sgpr 0
		.amdhsa_reserve_vcc 0
		.amdhsa_reserve_flat_scratch 0
		.amdhsa_float_round_mode_32 0
		.amdhsa_float_round_mode_16_64 0
		.amdhsa_float_denorm_mode_32 3
		.amdhsa_float_denorm_mode_16_64 3
		.amdhsa_dx10_clamp 1
		.amdhsa_ieee_mode 1
		.amdhsa_fp16_overflow 0
		.amdhsa_exception_fp_ieee_invalid_op 0
		.amdhsa_exception_fp_denorm_src 0
		.amdhsa_exception_fp_ieee_div_zero 0
		.amdhsa_exception_fp_ieee_overflow 0
		.amdhsa_exception_fp_ieee_underflow 0
		.amdhsa_exception_fp_ieee_inexact 0
		.amdhsa_exception_int_div_zero 0
	.end_amdhsa_kernel
	.section	.text._ZN7rocprim17ROCPRIM_400000_NS6detail17trampoline_kernelINS0_14default_configENS1_22reduce_config_selectorIlEEZNS1_11reduce_implILb1ES3_PlS7_lN6hipcub16HIPCUB_304000_NS6detail34convert_binary_result_type_wrapperINS9_3SumENS9_22TransformInputIteratorIb7NonZeroIdEPdlEElEEEE10hipError_tPvRmT1_T2_T3_mT4_P12ihipStream_tbEUlT_E0_NS1_11comp_targetILNS1_3genE10ELNS1_11target_archE1200ELNS1_3gpuE4ELNS1_3repE0EEENS1_30default_config_static_selectorELNS0_4arch9wavefront6targetE1EEEvSM_,"axG",@progbits,_ZN7rocprim17ROCPRIM_400000_NS6detail17trampoline_kernelINS0_14default_configENS1_22reduce_config_selectorIlEEZNS1_11reduce_implILb1ES3_PlS7_lN6hipcub16HIPCUB_304000_NS6detail34convert_binary_result_type_wrapperINS9_3SumENS9_22TransformInputIteratorIb7NonZeroIdEPdlEElEEEE10hipError_tPvRmT1_T2_T3_mT4_P12ihipStream_tbEUlT_E0_NS1_11comp_targetILNS1_3genE10ELNS1_11target_archE1200ELNS1_3gpuE4ELNS1_3repE0EEENS1_30default_config_static_selectorELNS0_4arch9wavefront6targetE1EEEvSM_,comdat
.Lfunc_end291:
	.size	_ZN7rocprim17ROCPRIM_400000_NS6detail17trampoline_kernelINS0_14default_configENS1_22reduce_config_selectorIlEEZNS1_11reduce_implILb1ES3_PlS7_lN6hipcub16HIPCUB_304000_NS6detail34convert_binary_result_type_wrapperINS9_3SumENS9_22TransformInputIteratorIb7NonZeroIdEPdlEElEEEE10hipError_tPvRmT1_T2_T3_mT4_P12ihipStream_tbEUlT_E0_NS1_11comp_targetILNS1_3genE10ELNS1_11target_archE1200ELNS1_3gpuE4ELNS1_3repE0EEENS1_30default_config_static_selectorELNS0_4arch9wavefront6targetE1EEEvSM_, .Lfunc_end291-_ZN7rocprim17ROCPRIM_400000_NS6detail17trampoline_kernelINS0_14default_configENS1_22reduce_config_selectorIlEEZNS1_11reduce_implILb1ES3_PlS7_lN6hipcub16HIPCUB_304000_NS6detail34convert_binary_result_type_wrapperINS9_3SumENS9_22TransformInputIteratorIb7NonZeroIdEPdlEElEEEE10hipError_tPvRmT1_T2_T3_mT4_P12ihipStream_tbEUlT_E0_NS1_11comp_targetILNS1_3genE10ELNS1_11target_archE1200ELNS1_3gpuE4ELNS1_3repE0EEENS1_30default_config_static_selectorELNS0_4arch9wavefront6targetE1EEEvSM_
                                        ; -- End function
	.set _ZN7rocprim17ROCPRIM_400000_NS6detail17trampoline_kernelINS0_14default_configENS1_22reduce_config_selectorIlEEZNS1_11reduce_implILb1ES3_PlS7_lN6hipcub16HIPCUB_304000_NS6detail34convert_binary_result_type_wrapperINS9_3SumENS9_22TransformInputIteratorIb7NonZeroIdEPdlEElEEEE10hipError_tPvRmT1_T2_T3_mT4_P12ihipStream_tbEUlT_E0_NS1_11comp_targetILNS1_3genE10ELNS1_11target_archE1200ELNS1_3gpuE4ELNS1_3repE0EEENS1_30default_config_static_selectorELNS0_4arch9wavefront6targetE1EEEvSM_.num_vgpr, 0
	.set _ZN7rocprim17ROCPRIM_400000_NS6detail17trampoline_kernelINS0_14default_configENS1_22reduce_config_selectorIlEEZNS1_11reduce_implILb1ES3_PlS7_lN6hipcub16HIPCUB_304000_NS6detail34convert_binary_result_type_wrapperINS9_3SumENS9_22TransformInputIteratorIb7NonZeroIdEPdlEElEEEE10hipError_tPvRmT1_T2_T3_mT4_P12ihipStream_tbEUlT_E0_NS1_11comp_targetILNS1_3genE10ELNS1_11target_archE1200ELNS1_3gpuE4ELNS1_3repE0EEENS1_30default_config_static_selectorELNS0_4arch9wavefront6targetE1EEEvSM_.num_agpr, 0
	.set _ZN7rocprim17ROCPRIM_400000_NS6detail17trampoline_kernelINS0_14default_configENS1_22reduce_config_selectorIlEEZNS1_11reduce_implILb1ES3_PlS7_lN6hipcub16HIPCUB_304000_NS6detail34convert_binary_result_type_wrapperINS9_3SumENS9_22TransformInputIteratorIb7NonZeroIdEPdlEElEEEE10hipError_tPvRmT1_T2_T3_mT4_P12ihipStream_tbEUlT_E0_NS1_11comp_targetILNS1_3genE10ELNS1_11target_archE1200ELNS1_3gpuE4ELNS1_3repE0EEENS1_30default_config_static_selectorELNS0_4arch9wavefront6targetE1EEEvSM_.numbered_sgpr, 0
	.set _ZN7rocprim17ROCPRIM_400000_NS6detail17trampoline_kernelINS0_14default_configENS1_22reduce_config_selectorIlEEZNS1_11reduce_implILb1ES3_PlS7_lN6hipcub16HIPCUB_304000_NS6detail34convert_binary_result_type_wrapperINS9_3SumENS9_22TransformInputIteratorIb7NonZeroIdEPdlEElEEEE10hipError_tPvRmT1_T2_T3_mT4_P12ihipStream_tbEUlT_E0_NS1_11comp_targetILNS1_3genE10ELNS1_11target_archE1200ELNS1_3gpuE4ELNS1_3repE0EEENS1_30default_config_static_selectorELNS0_4arch9wavefront6targetE1EEEvSM_.num_named_barrier, 0
	.set _ZN7rocprim17ROCPRIM_400000_NS6detail17trampoline_kernelINS0_14default_configENS1_22reduce_config_selectorIlEEZNS1_11reduce_implILb1ES3_PlS7_lN6hipcub16HIPCUB_304000_NS6detail34convert_binary_result_type_wrapperINS9_3SumENS9_22TransformInputIteratorIb7NonZeroIdEPdlEElEEEE10hipError_tPvRmT1_T2_T3_mT4_P12ihipStream_tbEUlT_E0_NS1_11comp_targetILNS1_3genE10ELNS1_11target_archE1200ELNS1_3gpuE4ELNS1_3repE0EEENS1_30default_config_static_selectorELNS0_4arch9wavefront6targetE1EEEvSM_.private_seg_size, 0
	.set _ZN7rocprim17ROCPRIM_400000_NS6detail17trampoline_kernelINS0_14default_configENS1_22reduce_config_selectorIlEEZNS1_11reduce_implILb1ES3_PlS7_lN6hipcub16HIPCUB_304000_NS6detail34convert_binary_result_type_wrapperINS9_3SumENS9_22TransformInputIteratorIb7NonZeroIdEPdlEElEEEE10hipError_tPvRmT1_T2_T3_mT4_P12ihipStream_tbEUlT_E0_NS1_11comp_targetILNS1_3genE10ELNS1_11target_archE1200ELNS1_3gpuE4ELNS1_3repE0EEENS1_30default_config_static_selectorELNS0_4arch9wavefront6targetE1EEEvSM_.uses_vcc, 0
	.set _ZN7rocprim17ROCPRIM_400000_NS6detail17trampoline_kernelINS0_14default_configENS1_22reduce_config_selectorIlEEZNS1_11reduce_implILb1ES3_PlS7_lN6hipcub16HIPCUB_304000_NS6detail34convert_binary_result_type_wrapperINS9_3SumENS9_22TransformInputIteratorIb7NonZeroIdEPdlEElEEEE10hipError_tPvRmT1_T2_T3_mT4_P12ihipStream_tbEUlT_E0_NS1_11comp_targetILNS1_3genE10ELNS1_11target_archE1200ELNS1_3gpuE4ELNS1_3repE0EEENS1_30default_config_static_selectorELNS0_4arch9wavefront6targetE1EEEvSM_.uses_flat_scratch, 0
	.set _ZN7rocprim17ROCPRIM_400000_NS6detail17trampoline_kernelINS0_14default_configENS1_22reduce_config_selectorIlEEZNS1_11reduce_implILb1ES3_PlS7_lN6hipcub16HIPCUB_304000_NS6detail34convert_binary_result_type_wrapperINS9_3SumENS9_22TransformInputIteratorIb7NonZeroIdEPdlEElEEEE10hipError_tPvRmT1_T2_T3_mT4_P12ihipStream_tbEUlT_E0_NS1_11comp_targetILNS1_3genE10ELNS1_11target_archE1200ELNS1_3gpuE4ELNS1_3repE0EEENS1_30default_config_static_selectorELNS0_4arch9wavefront6targetE1EEEvSM_.has_dyn_sized_stack, 0
	.set _ZN7rocprim17ROCPRIM_400000_NS6detail17trampoline_kernelINS0_14default_configENS1_22reduce_config_selectorIlEEZNS1_11reduce_implILb1ES3_PlS7_lN6hipcub16HIPCUB_304000_NS6detail34convert_binary_result_type_wrapperINS9_3SumENS9_22TransformInputIteratorIb7NonZeroIdEPdlEElEEEE10hipError_tPvRmT1_T2_T3_mT4_P12ihipStream_tbEUlT_E0_NS1_11comp_targetILNS1_3genE10ELNS1_11target_archE1200ELNS1_3gpuE4ELNS1_3repE0EEENS1_30default_config_static_selectorELNS0_4arch9wavefront6targetE1EEEvSM_.has_recursion, 0
	.set _ZN7rocprim17ROCPRIM_400000_NS6detail17trampoline_kernelINS0_14default_configENS1_22reduce_config_selectorIlEEZNS1_11reduce_implILb1ES3_PlS7_lN6hipcub16HIPCUB_304000_NS6detail34convert_binary_result_type_wrapperINS9_3SumENS9_22TransformInputIteratorIb7NonZeroIdEPdlEElEEEE10hipError_tPvRmT1_T2_T3_mT4_P12ihipStream_tbEUlT_E0_NS1_11comp_targetILNS1_3genE10ELNS1_11target_archE1200ELNS1_3gpuE4ELNS1_3repE0EEENS1_30default_config_static_selectorELNS0_4arch9wavefront6targetE1EEEvSM_.has_indirect_call, 0
	.section	.AMDGPU.csdata,"",@progbits
; Kernel info:
; codeLenInByte = 0
; TotalNumSgprs: 4
; NumVgprs: 0
; ScratchSize: 0
; MemoryBound: 0
; FloatMode: 240
; IeeeMode: 1
; LDSByteSize: 0 bytes/workgroup (compile time only)
; SGPRBlocks: 0
; VGPRBlocks: 0
; NumSGPRsForWavesPerEU: 4
; NumVGPRsForWavesPerEU: 1
; Occupancy: 10
; WaveLimiterHint : 0
; COMPUTE_PGM_RSRC2:SCRATCH_EN: 0
; COMPUTE_PGM_RSRC2:USER_SGPR: 6
; COMPUTE_PGM_RSRC2:TRAP_HANDLER: 0
; COMPUTE_PGM_RSRC2:TGID_X_EN: 1
; COMPUTE_PGM_RSRC2:TGID_Y_EN: 0
; COMPUTE_PGM_RSRC2:TGID_Z_EN: 0
; COMPUTE_PGM_RSRC2:TIDIG_COMP_CNT: 0
	.section	.text._ZN7rocprim17ROCPRIM_400000_NS6detail17trampoline_kernelINS0_14default_configENS1_22reduce_config_selectorIlEEZNS1_11reduce_implILb1ES3_PlS7_lN6hipcub16HIPCUB_304000_NS6detail34convert_binary_result_type_wrapperINS9_3SumENS9_22TransformInputIteratorIb7NonZeroIdEPdlEElEEEE10hipError_tPvRmT1_T2_T3_mT4_P12ihipStream_tbEUlT_E0_NS1_11comp_targetILNS1_3genE9ELNS1_11target_archE1100ELNS1_3gpuE3ELNS1_3repE0EEENS1_30default_config_static_selectorELNS0_4arch9wavefront6targetE1EEEvSM_,"axG",@progbits,_ZN7rocprim17ROCPRIM_400000_NS6detail17trampoline_kernelINS0_14default_configENS1_22reduce_config_selectorIlEEZNS1_11reduce_implILb1ES3_PlS7_lN6hipcub16HIPCUB_304000_NS6detail34convert_binary_result_type_wrapperINS9_3SumENS9_22TransformInputIteratorIb7NonZeroIdEPdlEElEEEE10hipError_tPvRmT1_T2_T3_mT4_P12ihipStream_tbEUlT_E0_NS1_11comp_targetILNS1_3genE9ELNS1_11target_archE1100ELNS1_3gpuE3ELNS1_3repE0EEENS1_30default_config_static_selectorELNS0_4arch9wavefront6targetE1EEEvSM_,comdat
	.protected	_ZN7rocprim17ROCPRIM_400000_NS6detail17trampoline_kernelINS0_14default_configENS1_22reduce_config_selectorIlEEZNS1_11reduce_implILb1ES3_PlS7_lN6hipcub16HIPCUB_304000_NS6detail34convert_binary_result_type_wrapperINS9_3SumENS9_22TransformInputIteratorIb7NonZeroIdEPdlEElEEEE10hipError_tPvRmT1_T2_T3_mT4_P12ihipStream_tbEUlT_E0_NS1_11comp_targetILNS1_3genE9ELNS1_11target_archE1100ELNS1_3gpuE3ELNS1_3repE0EEENS1_30default_config_static_selectorELNS0_4arch9wavefront6targetE1EEEvSM_ ; -- Begin function _ZN7rocprim17ROCPRIM_400000_NS6detail17trampoline_kernelINS0_14default_configENS1_22reduce_config_selectorIlEEZNS1_11reduce_implILb1ES3_PlS7_lN6hipcub16HIPCUB_304000_NS6detail34convert_binary_result_type_wrapperINS9_3SumENS9_22TransformInputIteratorIb7NonZeroIdEPdlEElEEEE10hipError_tPvRmT1_T2_T3_mT4_P12ihipStream_tbEUlT_E0_NS1_11comp_targetILNS1_3genE9ELNS1_11target_archE1100ELNS1_3gpuE3ELNS1_3repE0EEENS1_30default_config_static_selectorELNS0_4arch9wavefront6targetE1EEEvSM_
	.globl	_ZN7rocprim17ROCPRIM_400000_NS6detail17trampoline_kernelINS0_14default_configENS1_22reduce_config_selectorIlEEZNS1_11reduce_implILb1ES3_PlS7_lN6hipcub16HIPCUB_304000_NS6detail34convert_binary_result_type_wrapperINS9_3SumENS9_22TransformInputIteratorIb7NonZeroIdEPdlEElEEEE10hipError_tPvRmT1_T2_T3_mT4_P12ihipStream_tbEUlT_E0_NS1_11comp_targetILNS1_3genE9ELNS1_11target_archE1100ELNS1_3gpuE3ELNS1_3repE0EEENS1_30default_config_static_selectorELNS0_4arch9wavefront6targetE1EEEvSM_
	.p2align	8
	.type	_ZN7rocprim17ROCPRIM_400000_NS6detail17trampoline_kernelINS0_14default_configENS1_22reduce_config_selectorIlEEZNS1_11reduce_implILb1ES3_PlS7_lN6hipcub16HIPCUB_304000_NS6detail34convert_binary_result_type_wrapperINS9_3SumENS9_22TransformInputIteratorIb7NonZeroIdEPdlEElEEEE10hipError_tPvRmT1_T2_T3_mT4_P12ihipStream_tbEUlT_E0_NS1_11comp_targetILNS1_3genE9ELNS1_11target_archE1100ELNS1_3gpuE3ELNS1_3repE0EEENS1_30default_config_static_selectorELNS0_4arch9wavefront6targetE1EEEvSM_,@function
_ZN7rocprim17ROCPRIM_400000_NS6detail17trampoline_kernelINS0_14default_configENS1_22reduce_config_selectorIlEEZNS1_11reduce_implILb1ES3_PlS7_lN6hipcub16HIPCUB_304000_NS6detail34convert_binary_result_type_wrapperINS9_3SumENS9_22TransformInputIteratorIb7NonZeroIdEPdlEElEEEE10hipError_tPvRmT1_T2_T3_mT4_P12ihipStream_tbEUlT_E0_NS1_11comp_targetILNS1_3genE9ELNS1_11target_archE1100ELNS1_3gpuE3ELNS1_3repE0EEENS1_30default_config_static_selectorELNS0_4arch9wavefront6targetE1EEEvSM_: ; @_ZN7rocprim17ROCPRIM_400000_NS6detail17trampoline_kernelINS0_14default_configENS1_22reduce_config_selectorIlEEZNS1_11reduce_implILb1ES3_PlS7_lN6hipcub16HIPCUB_304000_NS6detail34convert_binary_result_type_wrapperINS9_3SumENS9_22TransformInputIteratorIb7NonZeroIdEPdlEElEEEE10hipError_tPvRmT1_T2_T3_mT4_P12ihipStream_tbEUlT_E0_NS1_11comp_targetILNS1_3genE9ELNS1_11target_archE1100ELNS1_3gpuE3ELNS1_3repE0EEENS1_30default_config_static_selectorELNS0_4arch9wavefront6targetE1EEEvSM_
; %bb.0:
	.section	.rodata,"a",@progbits
	.p2align	6, 0x0
	.amdhsa_kernel _ZN7rocprim17ROCPRIM_400000_NS6detail17trampoline_kernelINS0_14default_configENS1_22reduce_config_selectorIlEEZNS1_11reduce_implILb1ES3_PlS7_lN6hipcub16HIPCUB_304000_NS6detail34convert_binary_result_type_wrapperINS9_3SumENS9_22TransformInputIteratorIb7NonZeroIdEPdlEElEEEE10hipError_tPvRmT1_T2_T3_mT4_P12ihipStream_tbEUlT_E0_NS1_11comp_targetILNS1_3genE9ELNS1_11target_archE1100ELNS1_3gpuE3ELNS1_3repE0EEENS1_30default_config_static_selectorELNS0_4arch9wavefront6targetE1EEEvSM_
		.amdhsa_group_segment_fixed_size 0
		.amdhsa_private_segment_fixed_size 0
		.amdhsa_kernarg_size 64
		.amdhsa_user_sgpr_count 6
		.amdhsa_user_sgpr_private_segment_buffer 1
		.amdhsa_user_sgpr_dispatch_ptr 0
		.amdhsa_user_sgpr_queue_ptr 0
		.amdhsa_user_sgpr_kernarg_segment_ptr 1
		.amdhsa_user_sgpr_dispatch_id 0
		.amdhsa_user_sgpr_flat_scratch_init 0
		.amdhsa_user_sgpr_private_segment_size 0
		.amdhsa_uses_dynamic_stack 0
		.amdhsa_system_sgpr_private_segment_wavefront_offset 0
		.amdhsa_system_sgpr_workgroup_id_x 1
		.amdhsa_system_sgpr_workgroup_id_y 0
		.amdhsa_system_sgpr_workgroup_id_z 0
		.amdhsa_system_sgpr_workgroup_info 0
		.amdhsa_system_vgpr_workitem_id 0
		.amdhsa_next_free_vgpr 1
		.amdhsa_next_free_sgpr 0
		.amdhsa_reserve_vcc 0
		.amdhsa_reserve_flat_scratch 0
		.amdhsa_float_round_mode_32 0
		.amdhsa_float_round_mode_16_64 0
		.amdhsa_float_denorm_mode_32 3
		.amdhsa_float_denorm_mode_16_64 3
		.amdhsa_dx10_clamp 1
		.amdhsa_ieee_mode 1
		.amdhsa_fp16_overflow 0
		.amdhsa_exception_fp_ieee_invalid_op 0
		.amdhsa_exception_fp_denorm_src 0
		.amdhsa_exception_fp_ieee_div_zero 0
		.amdhsa_exception_fp_ieee_overflow 0
		.amdhsa_exception_fp_ieee_underflow 0
		.amdhsa_exception_fp_ieee_inexact 0
		.amdhsa_exception_int_div_zero 0
	.end_amdhsa_kernel
	.section	.text._ZN7rocprim17ROCPRIM_400000_NS6detail17trampoline_kernelINS0_14default_configENS1_22reduce_config_selectorIlEEZNS1_11reduce_implILb1ES3_PlS7_lN6hipcub16HIPCUB_304000_NS6detail34convert_binary_result_type_wrapperINS9_3SumENS9_22TransformInputIteratorIb7NonZeroIdEPdlEElEEEE10hipError_tPvRmT1_T2_T3_mT4_P12ihipStream_tbEUlT_E0_NS1_11comp_targetILNS1_3genE9ELNS1_11target_archE1100ELNS1_3gpuE3ELNS1_3repE0EEENS1_30default_config_static_selectorELNS0_4arch9wavefront6targetE1EEEvSM_,"axG",@progbits,_ZN7rocprim17ROCPRIM_400000_NS6detail17trampoline_kernelINS0_14default_configENS1_22reduce_config_selectorIlEEZNS1_11reduce_implILb1ES3_PlS7_lN6hipcub16HIPCUB_304000_NS6detail34convert_binary_result_type_wrapperINS9_3SumENS9_22TransformInputIteratorIb7NonZeroIdEPdlEElEEEE10hipError_tPvRmT1_T2_T3_mT4_P12ihipStream_tbEUlT_E0_NS1_11comp_targetILNS1_3genE9ELNS1_11target_archE1100ELNS1_3gpuE3ELNS1_3repE0EEENS1_30default_config_static_selectorELNS0_4arch9wavefront6targetE1EEEvSM_,comdat
.Lfunc_end292:
	.size	_ZN7rocprim17ROCPRIM_400000_NS6detail17trampoline_kernelINS0_14default_configENS1_22reduce_config_selectorIlEEZNS1_11reduce_implILb1ES3_PlS7_lN6hipcub16HIPCUB_304000_NS6detail34convert_binary_result_type_wrapperINS9_3SumENS9_22TransformInputIteratorIb7NonZeroIdEPdlEElEEEE10hipError_tPvRmT1_T2_T3_mT4_P12ihipStream_tbEUlT_E0_NS1_11comp_targetILNS1_3genE9ELNS1_11target_archE1100ELNS1_3gpuE3ELNS1_3repE0EEENS1_30default_config_static_selectorELNS0_4arch9wavefront6targetE1EEEvSM_, .Lfunc_end292-_ZN7rocprim17ROCPRIM_400000_NS6detail17trampoline_kernelINS0_14default_configENS1_22reduce_config_selectorIlEEZNS1_11reduce_implILb1ES3_PlS7_lN6hipcub16HIPCUB_304000_NS6detail34convert_binary_result_type_wrapperINS9_3SumENS9_22TransformInputIteratorIb7NonZeroIdEPdlEElEEEE10hipError_tPvRmT1_T2_T3_mT4_P12ihipStream_tbEUlT_E0_NS1_11comp_targetILNS1_3genE9ELNS1_11target_archE1100ELNS1_3gpuE3ELNS1_3repE0EEENS1_30default_config_static_selectorELNS0_4arch9wavefront6targetE1EEEvSM_
                                        ; -- End function
	.set _ZN7rocprim17ROCPRIM_400000_NS6detail17trampoline_kernelINS0_14default_configENS1_22reduce_config_selectorIlEEZNS1_11reduce_implILb1ES3_PlS7_lN6hipcub16HIPCUB_304000_NS6detail34convert_binary_result_type_wrapperINS9_3SumENS9_22TransformInputIteratorIb7NonZeroIdEPdlEElEEEE10hipError_tPvRmT1_T2_T3_mT4_P12ihipStream_tbEUlT_E0_NS1_11comp_targetILNS1_3genE9ELNS1_11target_archE1100ELNS1_3gpuE3ELNS1_3repE0EEENS1_30default_config_static_selectorELNS0_4arch9wavefront6targetE1EEEvSM_.num_vgpr, 0
	.set _ZN7rocprim17ROCPRIM_400000_NS6detail17trampoline_kernelINS0_14default_configENS1_22reduce_config_selectorIlEEZNS1_11reduce_implILb1ES3_PlS7_lN6hipcub16HIPCUB_304000_NS6detail34convert_binary_result_type_wrapperINS9_3SumENS9_22TransformInputIteratorIb7NonZeroIdEPdlEElEEEE10hipError_tPvRmT1_T2_T3_mT4_P12ihipStream_tbEUlT_E0_NS1_11comp_targetILNS1_3genE9ELNS1_11target_archE1100ELNS1_3gpuE3ELNS1_3repE0EEENS1_30default_config_static_selectorELNS0_4arch9wavefront6targetE1EEEvSM_.num_agpr, 0
	.set _ZN7rocprim17ROCPRIM_400000_NS6detail17trampoline_kernelINS0_14default_configENS1_22reduce_config_selectorIlEEZNS1_11reduce_implILb1ES3_PlS7_lN6hipcub16HIPCUB_304000_NS6detail34convert_binary_result_type_wrapperINS9_3SumENS9_22TransformInputIteratorIb7NonZeroIdEPdlEElEEEE10hipError_tPvRmT1_T2_T3_mT4_P12ihipStream_tbEUlT_E0_NS1_11comp_targetILNS1_3genE9ELNS1_11target_archE1100ELNS1_3gpuE3ELNS1_3repE0EEENS1_30default_config_static_selectorELNS0_4arch9wavefront6targetE1EEEvSM_.numbered_sgpr, 0
	.set _ZN7rocprim17ROCPRIM_400000_NS6detail17trampoline_kernelINS0_14default_configENS1_22reduce_config_selectorIlEEZNS1_11reduce_implILb1ES3_PlS7_lN6hipcub16HIPCUB_304000_NS6detail34convert_binary_result_type_wrapperINS9_3SumENS9_22TransformInputIteratorIb7NonZeroIdEPdlEElEEEE10hipError_tPvRmT1_T2_T3_mT4_P12ihipStream_tbEUlT_E0_NS1_11comp_targetILNS1_3genE9ELNS1_11target_archE1100ELNS1_3gpuE3ELNS1_3repE0EEENS1_30default_config_static_selectorELNS0_4arch9wavefront6targetE1EEEvSM_.num_named_barrier, 0
	.set _ZN7rocprim17ROCPRIM_400000_NS6detail17trampoline_kernelINS0_14default_configENS1_22reduce_config_selectorIlEEZNS1_11reduce_implILb1ES3_PlS7_lN6hipcub16HIPCUB_304000_NS6detail34convert_binary_result_type_wrapperINS9_3SumENS9_22TransformInputIteratorIb7NonZeroIdEPdlEElEEEE10hipError_tPvRmT1_T2_T3_mT4_P12ihipStream_tbEUlT_E0_NS1_11comp_targetILNS1_3genE9ELNS1_11target_archE1100ELNS1_3gpuE3ELNS1_3repE0EEENS1_30default_config_static_selectorELNS0_4arch9wavefront6targetE1EEEvSM_.private_seg_size, 0
	.set _ZN7rocprim17ROCPRIM_400000_NS6detail17trampoline_kernelINS0_14default_configENS1_22reduce_config_selectorIlEEZNS1_11reduce_implILb1ES3_PlS7_lN6hipcub16HIPCUB_304000_NS6detail34convert_binary_result_type_wrapperINS9_3SumENS9_22TransformInputIteratorIb7NonZeroIdEPdlEElEEEE10hipError_tPvRmT1_T2_T3_mT4_P12ihipStream_tbEUlT_E0_NS1_11comp_targetILNS1_3genE9ELNS1_11target_archE1100ELNS1_3gpuE3ELNS1_3repE0EEENS1_30default_config_static_selectorELNS0_4arch9wavefront6targetE1EEEvSM_.uses_vcc, 0
	.set _ZN7rocprim17ROCPRIM_400000_NS6detail17trampoline_kernelINS0_14default_configENS1_22reduce_config_selectorIlEEZNS1_11reduce_implILb1ES3_PlS7_lN6hipcub16HIPCUB_304000_NS6detail34convert_binary_result_type_wrapperINS9_3SumENS9_22TransformInputIteratorIb7NonZeroIdEPdlEElEEEE10hipError_tPvRmT1_T2_T3_mT4_P12ihipStream_tbEUlT_E0_NS1_11comp_targetILNS1_3genE9ELNS1_11target_archE1100ELNS1_3gpuE3ELNS1_3repE0EEENS1_30default_config_static_selectorELNS0_4arch9wavefront6targetE1EEEvSM_.uses_flat_scratch, 0
	.set _ZN7rocprim17ROCPRIM_400000_NS6detail17trampoline_kernelINS0_14default_configENS1_22reduce_config_selectorIlEEZNS1_11reduce_implILb1ES3_PlS7_lN6hipcub16HIPCUB_304000_NS6detail34convert_binary_result_type_wrapperINS9_3SumENS9_22TransformInputIteratorIb7NonZeroIdEPdlEElEEEE10hipError_tPvRmT1_T2_T3_mT4_P12ihipStream_tbEUlT_E0_NS1_11comp_targetILNS1_3genE9ELNS1_11target_archE1100ELNS1_3gpuE3ELNS1_3repE0EEENS1_30default_config_static_selectorELNS0_4arch9wavefront6targetE1EEEvSM_.has_dyn_sized_stack, 0
	.set _ZN7rocprim17ROCPRIM_400000_NS6detail17trampoline_kernelINS0_14default_configENS1_22reduce_config_selectorIlEEZNS1_11reduce_implILb1ES3_PlS7_lN6hipcub16HIPCUB_304000_NS6detail34convert_binary_result_type_wrapperINS9_3SumENS9_22TransformInputIteratorIb7NonZeroIdEPdlEElEEEE10hipError_tPvRmT1_T2_T3_mT4_P12ihipStream_tbEUlT_E0_NS1_11comp_targetILNS1_3genE9ELNS1_11target_archE1100ELNS1_3gpuE3ELNS1_3repE0EEENS1_30default_config_static_selectorELNS0_4arch9wavefront6targetE1EEEvSM_.has_recursion, 0
	.set _ZN7rocprim17ROCPRIM_400000_NS6detail17trampoline_kernelINS0_14default_configENS1_22reduce_config_selectorIlEEZNS1_11reduce_implILb1ES3_PlS7_lN6hipcub16HIPCUB_304000_NS6detail34convert_binary_result_type_wrapperINS9_3SumENS9_22TransformInputIteratorIb7NonZeroIdEPdlEElEEEE10hipError_tPvRmT1_T2_T3_mT4_P12ihipStream_tbEUlT_E0_NS1_11comp_targetILNS1_3genE9ELNS1_11target_archE1100ELNS1_3gpuE3ELNS1_3repE0EEENS1_30default_config_static_selectorELNS0_4arch9wavefront6targetE1EEEvSM_.has_indirect_call, 0
	.section	.AMDGPU.csdata,"",@progbits
; Kernel info:
; codeLenInByte = 0
; TotalNumSgprs: 4
; NumVgprs: 0
; ScratchSize: 0
; MemoryBound: 0
; FloatMode: 240
; IeeeMode: 1
; LDSByteSize: 0 bytes/workgroup (compile time only)
; SGPRBlocks: 0
; VGPRBlocks: 0
; NumSGPRsForWavesPerEU: 4
; NumVGPRsForWavesPerEU: 1
; Occupancy: 10
; WaveLimiterHint : 0
; COMPUTE_PGM_RSRC2:SCRATCH_EN: 0
; COMPUTE_PGM_RSRC2:USER_SGPR: 6
; COMPUTE_PGM_RSRC2:TRAP_HANDLER: 0
; COMPUTE_PGM_RSRC2:TGID_X_EN: 1
; COMPUTE_PGM_RSRC2:TGID_Y_EN: 0
; COMPUTE_PGM_RSRC2:TGID_Z_EN: 0
; COMPUTE_PGM_RSRC2:TIDIG_COMP_CNT: 0
	.section	.text._ZN7rocprim17ROCPRIM_400000_NS6detail17trampoline_kernelINS0_14default_configENS1_22reduce_config_selectorIlEEZNS1_11reduce_implILb1ES3_PlS7_lN6hipcub16HIPCUB_304000_NS6detail34convert_binary_result_type_wrapperINS9_3SumENS9_22TransformInputIteratorIb7NonZeroIdEPdlEElEEEE10hipError_tPvRmT1_T2_T3_mT4_P12ihipStream_tbEUlT_E0_NS1_11comp_targetILNS1_3genE8ELNS1_11target_archE1030ELNS1_3gpuE2ELNS1_3repE0EEENS1_30default_config_static_selectorELNS0_4arch9wavefront6targetE1EEEvSM_,"axG",@progbits,_ZN7rocprim17ROCPRIM_400000_NS6detail17trampoline_kernelINS0_14default_configENS1_22reduce_config_selectorIlEEZNS1_11reduce_implILb1ES3_PlS7_lN6hipcub16HIPCUB_304000_NS6detail34convert_binary_result_type_wrapperINS9_3SumENS9_22TransformInputIteratorIb7NonZeroIdEPdlEElEEEE10hipError_tPvRmT1_T2_T3_mT4_P12ihipStream_tbEUlT_E0_NS1_11comp_targetILNS1_3genE8ELNS1_11target_archE1030ELNS1_3gpuE2ELNS1_3repE0EEENS1_30default_config_static_selectorELNS0_4arch9wavefront6targetE1EEEvSM_,comdat
	.protected	_ZN7rocprim17ROCPRIM_400000_NS6detail17trampoline_kernelINS0_14default_configENS1_22reduce_config_selectorIlEEZNS1_11reduce_implILb1ES3_PlS7_lN6hipcub16HIPCUB_304000_NS6detail34convert_binary_result_type_wrapperINS9_3SumENS9_22TransformInputIteratorIb7NonZeroIdEPdlEElEEEE10hipError_tPvRmT1_T2_T3_mT4_P12ihipStream_tbEUlT_E0_NS1_11comp_targetILNS1_3genE8ELNS1_11target_archE1030ELNS1_3gpuE2ELNS1_3repE0EEENS1_30default_config_static_selectorELNS0_4arch9wavefront6targetE1EEEvSM_ ; -- Begin function _ZN7rocprim17ROCPRIM_400000_NS6detail17trampoline_kernelINS0_14default_configENS1_22reduce_config_selectorIlEEZNS1_11reduce_implILb1ES3_PlS7_lN6hipcub16HIPCUB_304000_NS6detail34convert_binary_result_type_wrapperINS9_3SumENS9_22TransformInputIteratorIb7NonZeroIdEPdlEElEEEE10hipError_tPvRmT1_T2_T3_mT4_P12ihipStream_tbEUlT_E0_NS1_11comp_targetILNS1_3genE8ELNS1_11target_archE1030ELNS1_3gpuE2ELNS1_3repE0EEENS1_30default_config_static_selectorELNS0_4arch9wavefront6targetE1EEEvSM_
	.globl	_ZN7rocprim17ROCPRIM_400000_NS6detail17trampoline_kernelINS0_14default_configENS1_22reduce_config_selectorIlEEZNS1_11reduce_implILb1ES3_PlS7_lN6hipcub16HIPCUB_304000_NS6detail34convert_binary_result_type_wrapperINS9_3SumENS9_22TransformInputIteratorIb7NonZeroIdEPdlEElEEEE10hipError_tPvRmT1_T2_T3_mT4_P12ihipStream_tbEUlT_E0_NS1_11comp_targetILNS1_3genE8ELNS1_11target_archE1030ELNS1_3gpuE2ELNS1_3repE0EEENS1_30default_config_static_selectorELNS0_4arch9wavefront6targetE1EEEvSM_
	.p2align	8
	.type	_ZN7rocprim17ROCPRIM_400000_NS6detail17trampoline_kernelINS0_14default_configENS1_22reduce_config_selectorIlEEZNS1_11reduce_implILb1ES3_PlS7_lN6hipcub16HIPCUB_304000_NS6detail34convert_binary_result_type_wrapperINS9_3SumENS9_22TransformInputIteratorIb7NonZeroIdEPdlEElEEEE10hipError_tPvRmT1_T2_T3_mT4_P12ihipStream_tbEUlT_E0_NS1_11comp_targetILNS1_3genE8ELNS1_11target_archE1030ELNS1_3gpuE2ELNS1_3repE0EEENS1_30default_config_static_selectorELNS0_4arch9wavefront6targetE1EEEvSM_,@function
_ZN7rocprim17ROCPRIM_400000_NS6detail17trampoline_kernelINS0_14default_configENS1_22reduce_config_selectorIlEEZNS1_11reduce_implILb1ES3_PlS7_lN6hipcub16HIPCUB_304000_NS6detail34convert_binary_result_type_wrapperINS9_3SumENS9_22TransformInputIteratorIb7NonZeroIdEPdlEElEEEE10hipError_tPvRmT1_T2_T3_mT4_P12ihipStream_tbEUlT_E0_NS1_11comp_targetILNS1_3genE8ELNS1_11target_archE1030ELNS1_3gpuE2ELNS1_3repE0EEENS1_30default_config_static_selectorELNS0_4arch9wavefront6targetE1EEEvSM_: ; @_ZN7rocprim17ROCPRIM_400000_NS6detail17trampoline_kernelINS0_14default_configENS1_22reduce_config_selectorIlEEZNS1_11reduce_implILb1ES3_PlS7_lN6hipcub16HIPCUB_304000_NS6detail34convert_binary_result_type_wrapperINS9_3SumENS9_22TransformInputIteratorIb7NonZeroIdEPdlEElEEEE10hipError_tPvRmT1_T2_T3_mT4_P12ihipStream_tbEUlT_E0_NS1_11comp_targetILNS1_3genE8ELNS1_11target_archE1030ELNS1_3gpuE2ELNS1_3repE0EEENS1_30default_config_static_selectorELNS0_4arch9wavefront6targetE1EEEvSM_
; %bb.0:
	.section	.rodata,"a",@progbits
	.p2align	6, 0x0
	.amdhsa_kernel _ZN7rocprim17ROCPRIM_400000_NS6detail17trampoline_kernelINS0_14default_configENS1_22reduce_config_selectorIlEEZNS1_11reduce_implILb1ES3_PlS7_lN6hipcub16HIPCUB_304000_NS6detail34convert_binary_result_type_wrapperINS9_3SumENS9_22TransformInputIteratorIb7NonZeroIdEPdlEElEEEE10hipError_tPvRmT1_T2_T3_mT4_P12ihipStream_tbEUlT_E0_NS1_11comp_targetILNS1_3genE8ELNS1_11target_archE1030ELNS1_3gpuE2ELNS1_3repE0EEENS1_30default_config_static_selectorELNS0_4arch9wavefront6targetE1EEEvSM_
		.amdhsa_group_segment_fixed_size 0
		.amdhsa_private_segment_fixed_size 0
		.amdhsa_kernarg_size 64
		.amdhsa_user_sgpr_count 6
		.amdhsa_user_sgpr_private_segment_buffer 1
		.amdhsa_user_sgpr_dispatch_ptr 0
		.amdhsa_user_sgpr_queue_ptr 0
		.amdhsa_user_sgpr_kernarg_segment_ptr 1
		.amdhsa_user_sgpr_dispatch_id 0
		.amdhsa_user_sgpr_flat_scratch_init 0
		.amdhsa_user_sgpr_private_segment_size 0
		.amdhsa_uses_dynamic_stack 0
		.amdhsa_system_sgpr_private_segment_wavefront_offset 0
		.amdhsa_system_sgpr_workgroup_id_x 1
		.amdhsa_system_sgpr_workgroup_id_y 0
		.amdhsa_system_sgpr_workgroup_id_z 0
		.amdhsa_system_sgpr_workgroup_info 0
		.amdhsa_system_vgpr_workitem_id 0
		.amdhsa_next_free_vgpr 1
		.amdhsa_next_free_sgpr 0
		.amdhsa_reserve_vcc 0
		.amdhsa_reserve_flat_scratch 0
		.amdhsa_float_round_mode_32 0
		.amdhsa_float_round_mode_16_64 0
		.amdhsa_float_denorm_mode_32 3
		.amdhsa_float_denorm_mode_16_64 3
		.amdhsa_dx10_clamp 1
		.amdhsa_ieee_mode 1
		.amdhsa_fp16_overflow 0
		.amdhsa_exception_fp_ieee_invalid_op 0
		.amdhsa_exception_fp_denorm_src 0
		.amdhsa_exception_fp_ieee_div_zero 0
		.amdhsa_exception_fp_ieee_overflow 0
		.amdhsa_exception_fp_ieee_underflow 0
		.amdhsa_exception_fp_ieee_inexact 0
		.amdhsa_exception_int_div_zero 0
	.end_amdhsa_kernel
	.section	.text._ZN7rocprim17ROCPRIM_400000_NS6detail17trampoline_kernelINS0_14default_configENS1_22reduce_config_selectorIlEEZNS1_11reduce_implILb1ES3_PlS7_lN6hipcub16HIPCUB_304000_NS6detail34convert_binary_result_type_wrapperINS9_3SumENS9_22TransformInputIteratorIb7NonZeroIdEPdlEElEEEE10hipError_tPvRmT1_T2_T3_mT4_P12ihipStream_tbEUlT_E0_NS1_11comp_targetILNS1_3genE8ELNS1_11target_archE1030ELNS1_3gpuE2ELNS1_3repE0EEENS1_30default_config_static_selectorELNS0_4arch9wavefront6targetE1EEEvSM_,"axG",@progbits,_ZN7rocprim17ROCPRIM_400000_NS6detail17trampoline_kernelINS0_14default_configENS1_22reduce_config_selectorIlEEZNS1_11reduce_implILb1ES3_PlS7_lN6hipcub16HIPCUB_304000_NS6detail34convert_binary_result_type_wrapperINS9_3SumENS9_22TransformInputIteratorIb7NonZeroIdEPdlEElEEEE10hipError_tPvRmT1_T2_T3_mT4_P12ihipStream_tbEUlT_E0_NS1_11comp_targetILNS1_3genE8ELNS1_11target_archE1030ELNS1_3gpuE2ELNS1_3repE0EEENS1_30default_config_static_selectorELNS0_4arch9wavefront6targetE1EEEvSM_,comdat
.Lfunc_end293:
	.size	_ZN7rocprim17ROCPRIM_400000_NS6detail17trampoline_kernelINS0_14default_configENS1_22reduce_config_selectorIlEEZNS1_11reduce_implILb1ES3_PlS7_lN6hipcub16HIPCUB_304000_NS6detail34convert_binary_result_type_wrapperINS9_3SumENS9_22TransformInputIteratorIb7NonZeroIdEPdlEElEEEE10hipError_tPvRmT1_T2_T3_mT4_P12ihipStream_tbEUlT_E0_NS1_11comp_targetILNS1_3genE8ELNS1_11target_archE1030ELNS1_3gpuE2ELNS1_3repE0EEENS1_30default_config_static_selectorELNS0_4arch9wavefront6targetE1EEEvSM_, .Lfunc_end293-_ZN7rocprim17ROCPRIM_400000_NS6detail17trampoline_kernelINS0_14default_configENS1_22reduce_config_selectorIlEEZNS1_11reduce_implILb1ES3_PlS7_lN6hipcub16HIPCUB_304000_NS6detail34convert_binary_result_type_wrapperINS9_3SumENS9_22TransformInputIteratorIb7NonZeroIdEPdlEElEEEE10hipError_tPvRmT1_T2_T3_mT4_P12ihipStream_tbEUlT_E0_NS1_11comp_targetILNS1_3genE8ELNS1_11target_archE1030ELNS1_3gpuE2ELNS1_3repE0EEENS1_30default_config_static_selectorELNS0_4arch9wavefront6targetE1EEEvSM_
                                        ; -- End function
	.set _ZN7rocprim17ROCPRIM_400000_NS6detail17trampoline_kernelINS0_14default_configENS1_22reduce_config_selectorIlEEZNS1_11reduce_implILb1ES3_PlS7_lN6hipcub16HIPCUB_304000_NS6detail34convert_binary_result_type_wrapperINS9_3SumENS9_22TransformInputIteratorIb7NonZeroIdEPdlEElEEEE10hipError_tPvRmT1_T2_T3_mT4_P12ihipStream_tbEUlT_E0_NS1_11comp_targetILNS1_3genE8ELNS1_11target_archE1030ELNS1_3gpuE2ELNS1_3repE0EEENS1_30default_config_static_selectorELNS0_4arch9wavefront6targetE1EEEvSM_.num_vgpr, 0
	.set _ZN7rocprim17ROCPRIM_400000_NS6detail17trampoline_kernelINS0_14default_configENS1_22reduce_config_selectorIlEEZNS1_11reduce_implILb1ES3_PlS7_lN6hipcub16HIPCUB_304000_NS6detail34convert_binary_result_type_wrapperINS9_3SumENS9_22TransformInputIteratorIb7NonZeroIdEPdlEElEEEE10hipError_tPvRmT1_T2_T3_mT4_P12ihipStream_tbEUlT_E0_NS1_11comp_targetILNS1_3genE8ELNS1_11target_archE1030ELNS1_3gpuE2ELNS1_3repE0EEENS1_30default_config_static_selectorELNS0_4arch9wavefront6targetE1EEEvSM_.num_agpr, 0
	.set _ZN7rocprim17ROCPRIM_400000_NS6detail17trampoline_kernelINS0_14default_configENS1_22reduce_config_selectorIlEEZNS1_11reduce_implILb1ES3_PlS7_lN6hipcub16HIPCUB_304000_NS6detail34convert_binary_result_type_wrapperINS9_3SumENS9_22TransformInputIteratorIb7NonZeroIdEPdlEElEEEE10hipError_tPvRmT1_T2_T3_mT4_P12ihipStream_tbEUlT_E0_NS1_11comp_targetILNS1_3genE8ELNS1_11target_archE1030ELNS1_3gpuE2ELNS1_3repE0EEENS1_30default_config_static_selectorELNS0_4arch9wavefront6targetE1EEEvSM_.numbered_sgpr, 0
	.set _ZN7rocprim17ROCPRIM_400000_NS6detail17trampoline_kernelINS0_14default_configENS1_22reduce_config_selectorIlEEZNS1_11reduce_implILb1ES3_PlS7_lN6hipcub16HIPCUB_304000_NS6detail34convert_binary_result_type_wrapperINS9_3SumENS9_22TransformInputIteratorIb7NonZeroIdEPdlEElEEEE10hipError_tPvRmT1_T2_T3_mT4_P12ihipStream_tbEUlT_E0_NS1_11comp_targetILNS1_3genE8ELNS1_11target_archE1030ELNS1_3gpuE2ELNS1_3repE0EEENS1_30default_config_static_selectorELNS0_4arch9wavefront6targetE1EEEvSM_.num_named_barrier, 0
	.set _ZN7rocprim17ROCPRIM_400000_NS6detail17trampoline_kernelINS0_14default_configENS1_22reduce_config_selectorIlEEZNS1_11reduce_implILb1ES3_PlS7_lN6hipcub16HIPCUB_304000_NS6detail34convert_binary_result_type_wrapperINS9_3SumENS9_22TransformInputIteratorIb7NonZeroIdEPdlEElEEEE10hipError_tPvRmT1_T2_T3_mT4_P12ihipStream_tbEUlT_E0_NS1_11comp_targetILNS1_3genE8ELNS1_11target_archE1030ELNS1_3gpuE2ELNS1_3repE0EEENS1_30default_config_static_selectorELNS0_4arch9wavefront6targetE1EEEvSM_.private_seg_size, 0
	.set _ZN7rocprim17ROCPRIM_400000_NS6detail17trampoline_kernelINS0_14default_configENS1_22reduce_config_selectorIlEEZNS1_11reduce_implILb1ES3_PlS7_lN6hipcub16HIPCUB_304000_NS6detail34convert_binary_result_type_wrapperINS9_3SumENS9_22TransformInputIteratorIb7NonZeroIdEPdlEElEEEE10hipError_tPvRmT1_T2_T3_mT4_P12ihipStream_tbEUlT_E0_NS1_11comp_targetILNS1_3genE8ELNS1_11target_archE1030ELNS1_3gpuE2ELNS1_3repE0EEENS1_30default_config_static_selectorELNS0_4arch9wavefront6targetE1EEEvSM_.uses_vcc, 0
	.set _ZN7rocprim17ROCPRIM_400000_NS6detail17trampoline_kernelINS0_14default_configENS1_22reduce_config_selectorIlEEZNS1_11reduce_implILb1ES3_PlS7_lN6hipcub16HIPCUB_304000_NS6detail34convert_binary_result_type_wrapperINS9_3SumENS9_22TransformInputIteratorIb7NonZeroIdEPdlEElEEEE10hipError_tPvRmT1_T2_T3_mT4_P12ihipStream_tbEUlT_E0_NS1_11comp_targetILNS1_3genE8ELNS1_11target_archE1030ELNS1_3gpuE2ELNS1_3repE0EEENS1_30default_config_static_selectorELNS0_4arch9wavefront6targetE1EEEvSM_.uses_flat_scratch, 0
	.set _ZN7rocprim17ROCPRIM_400000_NS6detail17trampoline_kernelINS0_14default_configENS1_22reduce_config_selectorIlEEZNS1_11reduce_implILb1ES3_PlS7_lN6hipcub16HIPCUB_304000_NS6detail34convert_binary_result_type_wrapperINS9_3SumENS9_22TransformInputIteratorIb7NonZeroIdEPdlEElEEEE10hipError_tPvRmT1_T2_T3_mT4_P12ihipStream_tbEUlT_E0_NS1_11comp_targetILNS1_3genE8ELNS1_11target_archE1030ELNS1_3gpuE2ELNS1_3repE0EEENS1_30default_config_static_selectorELNS0_4arch9wavefront6targetE1EEEvSM_.has_dyn_sized_stack, 0
	.set _ZN7rocprim17ROCPRIM_400000_NS6detail17trampoline_kernelINS0_14default_configENS1_22reduce_config_selectorIlEEZNS1_11reduce_implILb1ES3_PlS7_lN6hipcub16HIPCUB_304000_NS6detail34convert_binary_result_type_wrapperINS9_3SumENS9_22TransformInputIteratorIb7NonZeroIdEPdlEElEEEE10hipError_tPvRmT1_T2_T3_mT4_P12ihipStream_tbEUlT_E0_NS1_11comp_targetILNS1_3genE8ELNS1_11target_archE1030ELNS1_3gpuE2ELNS1_3repE0EEENS1_30default_config_static_selectorELNS0_4arch9wavefront6targetE1EEEvSM_.has_recursion, 0
	.set _ZN7rocprim17ROCPRIM_400000_NS6detail17trampoline_kernelINS0_14default_configENS1_22reduce_config_selectorIlEEZNS1_11reduce_implILb1ES3_PlS7_lN6hipcub16HIPCUB_304000_NS6detail34convert_binary_result_type_wrapperINS9_3SumENS9_22TransformInputIteratorIb7NonZeroIdEPdlEElEEEE10hipError_tPvRmT1_T2_T3_mT4_P12ihipStream_tbEUlT_E0_NS1_11comp_targetILNS1_3genE8ELNS1_11target_archE1030ELNS1_3gpuE2ELNS1_3repE0EEENS1_30default_config_static_selectorELNS0_4arch9wavefront6targetE1EEEvSM_.has_indirect_call, 0
	.section	.AMDGPU.csdata,"",@progbits
; Kernel info:
; codeLenInByte = 0
; TotalNumSgprs: 4
; NumVgprs: 0
; ScratchSize: 0
; MemoryBound: 0
; FloatMode: 240
; IeeeMode: 1
; LDSByteSize: 0 bytes/workgroup (compile time only)
; SGPRBlocks: 0
; VGPRBlocks: 0
; NumSGPRsForWavesPerEU: 4
; NumVGPRsForWavesPerEU: 1
; Occupancy: 10
; WaveLimiterHint : 0
; COMPUTE_PGM_RSRC2:SCRATCH_EN: 0
; COMPUTE_PGM_RSRC2:USER_SGPR: 6
; COMPUTE_PGM_RSRC2:TRAP_HANDLER: 0
; COMPUTE_PGM_RSRC2:TGID_X_EN: 1
; COMPUTE_PGM_RSRC2:TGID_Y_EN: 0
; COMPUTE_PGM_RSRC2:TGID_Z_EN: 0
; COMPUTE_PGM_RSRC2:TIDIG_COMP_CNT: 0
	.section	.text._ZN7rocprim17ROCPRIM_400000_NS6detail17trampoline_kernelINS0_14default_configENS1_22reduce_config_selectorIlEEZNS1_11reduce_implILb1ES3_PlS7_lN6hipcub16HIPCUB_304000_NS6detail34convert_binary_result_type_wrapperINS9_3SumENS9_22TransformInputIteratorIb7NonZeroIdEPdlEElEEEE10hipError_tPvRmT1_T2_T3_mT4_P12ihipStream_tbEUlT_E1_NS1_11comp_targetILNS1_3genE0ELNS1_11target_archE4294967295ELNS1_3gpuE0ELNS1_3repE0EEENS1_30default_config_static_selectorELNS0_4arch9wavefront6targetE1EEEvSM_,"axG",@progbits,_ZN7rocprim17ROCPRIM_400000_NS6detail17trampoline_kernelINS0_14default_configENS1_22reduce_config_selectorIlEEZNS1_11reduce_implILb1ES3_PlS7_lN6hipcub16HIPCUB_304000_NS6detail34convert_binary_result_type_wrapperINS9_3SumENS9_22TransformInputIteratorIb7NonZeroIdEPdlEElEEEE10hipError_tPvRmT1_T2_T3_mT4_P12ihipStream_tbEUlT_E1_NS1_11comp_targetILNS1_3genE0ELNS1_11target_archE4294967295ELNS1_3gpuE0ELNS1_3repE0EEENS1_30default_config_static_selectorELNS0_4arch9wavefront6targetE1EEEvSM_,comdat
	.protected	_ZN7rocprim17ROCPRIM_400000_NS6detail17trampoline_kernelINS0_14default_configENS1_22reduce_config_selectorIlEEZNS1_11reduce_implILb1ES3_PlS7_lN6hipcub16HIPCUB_304000_NS6detail34convert_binary_result_type_wrapperINS9_3SumENS9_22TransformInputIteratorIb7NonZeroIdEPdlEElEEEE10hipError_tPvRmT1_T2_T3_mT4_P12ihipStream_tbEUlT_E1_NS1_11comp_targetILNS1_3genE0ELNS1_11target_archE4294967295ELNS1_3gpuE0ELNS1_3repE0EEENS1_30default_config_static_selectorELNS0_4arch9wavefront6targetE1EEEvSM_ ; -- Begin function _ZN7rocprim17ROCPRIM_400000_NS6detail17trampoline_kernelINS0_14default_configENS1_22reduce_config_selectorIlEEZNS1_11reduce_implILb1ES3_PlS7_lN6hipcub16HIPCUB_304000_NS6detail34convert_binary_result_type_wrapperINS9_3SumENS9_22TransformInputIteratorIb7NonZeroIdEPdlEElEEEE10hipError_tPvRmT1_T2_T3_mT4_P12ihipStream_tbEUlT_E1_NS1_11comp_targetILNS1_3genE0ELNS1_11target_archE4294967295ELNS1_3gpuE0ELNS1_3repE0EEENS1_30default_config_static_selectorELNS0_4arch9wavefront6targetE1EEEvSM_
	.globl	_ZN7rocprim17ROCPRIM_400000_NS6detail17trampoline_kernelINS0_14default_configENS1_22reduce_config_selectorIlEEZNS1_11reduce_implILb1ES3_PlS7_lN6hipcub16HIPCUB_304000_NS6detail34convert_binary_result_type_wrapperINS9_3SumENS9_22TransformInputIteratorIb7NonZeroIdEPdlEElEEEE10hipError_tPvRmT1_T2_T3_mT4_P12ihipStream_tbEUlT_E1_NS1_11comp_targetILNS1_3genE0ELNS1_11target_archE4294967295ELNS1_3gpuE0ELNS1_3repE0EEENS1_30default_config_static_selectorELNS0_4arch9wavefront6targetE1EEEvSM_
	.p2align	8
	.type	_ZN7rocprim17ROCPRIM_400000_NS6detail17trampoline_kernelINS0_14default_configENS1_22reduce_config_selectorIlEEZNS1_11reduce_implILb1ES3_PlS7_lN6hipcub16HIPCUB_304000_NS6detail34convert_binary_result_type_wrapperINS9_3SumENS9_22TransformInputIteratorIb7NonZeroIdEPdlEElEEEE10hipError_tPvRmT1_T2_T3_mT4_P12ihipStream_tbEUlT_E1_NS1_11comp_targetILNS1_3genE0ELNS1_11target_archE4294967295ELNS1_3gpuE0ELNS1_3repE0EEENS1_30default_config_static_selectorELNS0_4arch9wavefront6targetE1EEEvSM_,@function
_ZN7rocprim17ROCPRIM_400000_NS6detail17trampoline_kernelINS0_14default_configENS1_22reduce_config_selectorIlEEZNS1_11reduce_implILb1ES3_PlS7_lN6hipcub16HIPCUB_304000_NS6detail34convert_binary_result_type_wrapperINS9_3SumENS9_22TransformInputIteratorIb7NonZeroIdEPdlEElEEEE10hipError_tPvRmT1_T2_T3_mT4_P12ihipStream_tbEUlT_E1_NS1_11comp_targetILNS1_3genE0ELNS1_11target_archE4294967295ELNS1_3gpuE0ELNS1_3repE0EEENS1_30default_config_static_selectorELNS0_4arch9wavefront6targetE1EEEvSM_: ; @_ZN7rocprim17ROCPRIM_400000_NS6detail17trampoline_kernelINS0_14default_configENS1_22reduce_config_selectorIlEEZNS1_11reduce_implILb1ES3_PlS7_lN6hipcub16HIPCUB_304000_NS6detail34convert_binary_result_type_wrapperINS9_3SumENS9_22TransformInputIteratorIb7NonZeroIdEPdlEElEEEE10hipError_tPvRmT1_T2_T3_mT4_P12ihipStream_tbEUlT_E1_NS1_11comp_targetILNS1_3genE0ELNS1_11target_archE4294967295ELNS1_3gpuE0ELNS1_3repE0EEENS1_30default_config_static_selectorELNS0_4arch9wavefront6targetE1EEEvSM_
; %bb.0:
	.section	.rodata,"a",@progbits
	.p2align	6, 0x0
	.amdhsa_kernel _ZN7rocprim17ROCPRIM_400000_NS6detail17trampoline_kernelINS0_14default_configENS1_22reduce_config_selectorIlEEZNS1_11reduce_implILb1ES3_PlS7_lN6hipcub16HIPCUB_304000_NS6detail34convert_binary_result_type_wrapperINS9_3SumENS9_22TransformInputIteratorIb7NonZeroIdEPdlEElEEEE10hipError_tPvRmT1_T2_T3_mT4_P12ihipStream_tbEUlT_E1_NS1_11comp_targetILNS1_3genE0ELNS1_11target_archE4294967295ELNS1_3gpuE0ELNS1_3repE0EEENS1_30default_config_static_selectorELNS0_4arch9wavefront6targetE1EEEvSM_
		.amdhsa_group_segment_fixed_size 0
		.amdhsa_private_segment_fixed_size 0
		.amdhsa_kernarg_size 48
		.amdhsa_user_sgpr_count 6
		.amdhsa_user_sgpr_private_segment_buffer 1
		.amdhsa_user_sgpr_dispatch_ptr 0
		.amdhsa_user_sgpr_queue_ptr 0
		.amdhsa_user_sgpr_kernarg_segment_ptr 1
		.amdhsa_user_sgpr_dispatch_id 0
		.amdhsa_user_sgpr_flat_scratch_init 0
		.amdhsa_user_sgpr_private_segment_size 0
		.amdhsa_uses_dynamic_stack 0
		.amdhsa_system_sgpr_private_segment_wavefront_offset 0
		.amdhsa_system_sgpr_workgroup_id_x 1
		.amdhsa_system_sgpr_workgroup_id_y 0
		.amdhsa_system_sgpr_workgroup_id_z 0
		.amdhsa_system_sgpr_workgroup_info 0
		.amdhsa_system_vgpr_workitem_id 0
		.amdhsa_next_free_vgpr 1
		.amdhsa_next_free_sgpr 0
		.amdhsa_reserve_vcc 0
		.amdhsa_reserve_flat_scratch 0
		.amdhsa_float_round_mode_32 0
		.amdhsa_float_round_mode_16_64 0
		.amdhsa_float_denorm_mode_32 3
		.amdhsa_float_denorm_mode_16_64 3
		.amdhsa_dx10_clamp 1
		.amdhsa_ieee_mode 1
		.amdhsa_fp16_overflow 0
		.amdhsa_exception_fp_ieee_invalid_op 0
		.amdhsa_exception_fp_denorm_src 0
		.amdhsa_exception_fp_ieee_div_zero 0
		.amdhsa_exception_fp_ieee_overflow 0
		.amdhsa_exception_fp_ieee_underflow 0
		.amdhsa_exception_fp_ieee_inexact 0
		.amdhsa_exception_int_div_zero 0
	.end_amdhsa_kernel
	.section	.text._ZN7rocprim17ROCPRIM_400000_NS6detail17trampoline_kernelINS0_14default_configENS1_22reduce_config_selectorIlEEZNS1_11reduce_implILb1ES3_PlS7_lN6hipcub16HIPCUB_304000_NS6detail34convert_binary_result_type_wrapperINS9_3SumENS9_22TransformInputIteratorIb7NonZeroIdEPdlEElEEEE10hipError_tPvRmT1_T2_T3_mT4_P12ihipStream_tbEUlT_E1_NS1_11comp_targetILNS1_3genE0ELNS1_11target_archE4294967295ELNS1_3gpuE0ELNS1_3repE0EEENS1_30default_config_static_selectorELNS0_4arch9wavefront6targetE1EEEvSM_,"axG",@progbits,_ZN7rocprim17ROCPRIM_400000_NS6detail17trampoline_kernelINS0_14default_configENS1_22reduce_config_selectorIlEEZNS1_11reduce_implILb1ES3_PlS7_lN6hipcub16HIPCUB_304000_NS6detail34convert_binary_result_type_wrapperINS9_3SumENS9_22TransformInputIteratorIb7NonZeroIdEPdlEElEEEE10hipError_tPvRmT1_T2_T3_mT4_P12ihipStream_tbEUlT_E1_NS1_11comp_targetILNS1_3genE0ELNS1_11target_archE4294967295ELNS1_3gpuE0ELNS1_3repE0EEENS1_30default_config_static_selectorELNS0_4arch9wavefront6targetE1EEEvSM_,comdat
.Lfunc_end294:
	.size	_ZN7rocprim17ROCPRIM_400000_NS6detail17trampoline_kernelINS0_14default_configENS1_22reduce_config_selectorIlEEZNS1_11reduce_implILb1ES3_PlS7_lN6hipcub16HIPCUB_304000_NS6detail34convert_binary_result_type_wrapperINS9_3SumENS9_22TransformInputIteratorIb7NonZeroIdEPdlEElEEEE10hipError_tPvRmT1_T2_T3_mT4_P12ihipStream_tbEUlT_E1_NS1_11comp_targetILNS1_3genE0ELNS1_11target_archE4294967295ELNS1_3gpuE0ELNS1_3repE0EEENS1_30default_config_static_selectorELNS0_4arch9wavefront6targetE1EEEvSM_, .Lfunc_end294-_ZN7rocprim17ROCPRIM_400000_NS6detail17trampoline_kernelINS0_14default_configENS1_22reduce_config_selectorIlEEZNS1_11reduce_implILb1ES3_PlS7_lN6hipcub16HIPCUB_304000_NS6detail34convert_binary_result_type_wrapperINS9_3SumENS9_22TransformInputIteratorIb7NonZeroIdEPdlEElEEEE10hipError_tPvRmT1_T2_T3_mT4_P12ihipStream_tbEUlT_E1_NS1_11comp_targetILNS1_3genE0ELNS1_11target_archE4294967295ELNS1_3gpuE0ELNS1_3repE0EEENS1_30default_config_static_selectorELNS0_4arch9wavefront6targetE1EEEvSM_
                                        ; -- End function
	.set _ZN7rocprim17ROCPRIM_400000_NS6detail17trampoline_kernelINS0_14default_configENS1_22reduce_config_selectorIlEEZNS1_11reduce_implILb1ES3_PlS7_lN6hipcub16HIPCUB_304000_NS6detail34convert_binary_result_type_wrapperINS9_3SumENS9_22TransformInputIteratorIb7NonZeroIdEPdlEElEEEE10hipError_tPvRmT1_T2_T3_mT4_P12ihipStream_tbEUlT_E1_NS1_11comp_targetILNS1_3genE0ELNS1_11target_archE4294967295ELNS1_3gpuE0ELNS1_3repE0EEENS1_30default_config_static_selectorELNS0_4arch9wavefront6targetE1EEEvSM_.num_vgpr, 0
	.set _ZN7rocprim17ROCPRIM_400000_NS6detail17trampoline_kernelINS0_14default_configENS1_22reduce_config_selectorIlEEZNS1_11reduce_implILb1ES3_PlS7_lN6hipcub16HIPCUB_304000_NS6detail34convert_binary_result_type_wrapperINS9_3SumENS9_22TransformInputIteratorIb7NonZeroIdEPdlEElEEEE10hipError_tPvRmT1_T2_T3_mT4_P12ihipStream_tbEUlT_E1_NS1_11comp_targetILNS1_3genE0ELNS1_11target_archE4294967295ELNS1_3gpuE0ELNS1_3repE0EEENS1_30default_config_static_selectorELNS0_4arch9wavefront6targetE1EEEvSM_.num_agpr, 0
	.set _ZN7rocprim17ROCPRIM_400000_NS6detail17trampoline_kernelINS0_14default_configENS1_22reduce_config_selectorIlEEZNS1_11reduce_implILb1ES3_PlS7_lN6hipcub16HIPCUB_304000_NS6detail34convert_binary_result_type_wrapperINS9_3SumENS9_22TransformInputIteratorIb7NonZeroIdEPdlEElEEEE10hipError_tPvRmT1_T2_T3_mT4_P12ihipStream_tbEUlT_E1_NS1_11comp_targetILNS1_3genE0ELNS1_11target_archE4294967295ELNS1_3gpuE0ELNS1_3repE0EEENS1_30default_config_static_selectorELNS0_4arch9wavefront6targetE1EEEvSM_.numbered_sgpr, 0
	.set _ZN7rocprim17ROCPRIM_400000_NS6detail17trampoline_kernelINS0_14default_configENS1_22reduce_config_selectorIlEEZNS1_11reduce_implILb1ES3_PlS7_lN6hipcub16HIPCUB_304000_NS6detail34convert_binary_result_type_wrapperINS9_3SumENS9_22TransformInputIteratorIb7NonZeroIdEPdlEElEEEE10hipError_tPvRmT1_T2_T3_mT4_P12ihipStream_tbEUlT_E1_NS1_11comp_targetILNS1_3genE0ELNS1_11target_archE4294967295ELNS1_3gpuE0ELNS1_3repE0EEENS1_30default_config_static_selectorELNS0_4arch9wavefront6targetE1EEEvSM_.num_named_barrier, 0
	.set _ZN7rocprim17ROCPRIM_400000_NS6detail17trampoline_kernelINS0_14default_configENS1_22reduce_config_selectorIlEEZNS1_11reduce_implILb1ES3_PlS7_lN6hipcub16HIPCUB_304000_NS6detail34convert_binary_result_type_wrapperINS9_3SumENS9_22TransformInputIteratorIb7NonZeroIdEPdlEElEEEE10hipError_tPvRmT1_T2_T3_mT4_P12ihipStream_tbEUlT_E1_NS1_11comp_targetILNS1_3genE0ELNS1_11target_archE4294967295ELNS1_3gpuE0ELNS1_3repE0EEENS1_30default_config_static_selectorELNS0_4arch9wavefront6targetE1EEEvSM_.private_seg_size, 0
	.set _ZN7rocprim17ROCPRIM_400000_NS6detail17trampoline_kernelINS0_14default_configENS1_22reduce_config_selectorIlEEZNS1_11reduce_implILb1ES3_PlS7_lN6hipcub16HIPCUB_304000_NS6detail34convert_binary_result_type_wrapperINS9_3SumENS9_22TransformInputIteratorIb7NonZeroIdEPdlEElEEEE10hipError_tPvRmT1_T2_T3_mT4_P12ihipStream_tbEUlT_E1_NS1_11comp_targetILNS1_3genE0ELNS1_11target_archE4294967295ELNS1_3gpuE0ELNS1_3repE0EEENS1_30default_config_static_selectorELNS0_4arch9wavefront6targetE1EEEvSM_.uses_vcc, 0
	.set _ZN7rocprim17ROCPRIM_400000_NS6detail17trampoline_kernelINS0_14default_configENS1_22reduce_config_selectorIlEEZNS1_11reduce_implILb1ES3_PlS7_lN6hipcub16HIPCUB_304000_NS6detail34convert_binary_result_type_wrapperINS9_3SumENS9_22TransformInputIteratorIb7NonZeroIdEPdlEElEEEE10hipError_tPvRmT1_T2_T3_mT4_P12ihipStream_tbEUlT_E1_NS1_11comp_targetILNS1_3genE0ELNS1_11target_archE4294967295ELNS1_3gpuE0ELNS1_3repE0EEENS1_30default_config_static_selectorELNS0_4arch9wavefront6targetE1EEEvSM_.uses_flat_scratch, 0
	.set _ZN7rocprim17ROCPRIM_400000_NS6detail17trampoline_kernelINS0_14default_configENS1_22reduce_config_selectorIlEEZNS1_11reduce_implILb1ES3_PlS7_lN6hipcub16HIPCUB_304000_NS6detail34convert_binary_result_type_wrapperINS9_3SumENS9_22TransformInputIteratorIb7NonZeroIdEPdlEElEEEE10hipError_tPvRmT1_T2_T3_mT4_P12ihipStream_tbEUlT_E1_NS1_11comp_targetILNS1_3genE0ELNS1_11target_archE4294967295ELNS1_3gpuE0ELNS1_3repE0EEENS1_30default_config_static_selectorELNS0_4arch9wavefront6targetE1EEEvSM_.has_dyn_sized_stack, 0
	.set _ZN7rocprim17ROCPRIM_400000_NS6detail17trampoline_kernelINS0_14default_configENS1_22reduce_config_selectorIlEEZNS1_11reduce_implILb1ES3_PlS7_lN6hipcub16HIPCUB_304000_NS6detail34convert_binary_result_type_wrapperINS9_3SumENS9_22TransformInputIteratorIb7NonZeroIdEPdlEElEEEE10hipError_tPvRmT1_T2_T3_mT4_P12ihipStream_tbEUlT_E1_NS1_11comp_targetILNS1_3genE0ELNS1_11target_archE4294967295ELNS1_3gpuE0ELNS1_3repE0EEENS1_30default_config_static_selectorELNS0_4arch9wavefront6targetE1EEEvSM_.has_recursion, 0
	.set _ZN7rocprim17ROCPRIM_400000_NS6detail17trampoline_kernelINS0_14default_configENS1_22reduce_config_selectorIlEEZNS1_11reduce_implILb1ES3_PlS7_lN6hipcub16HIPCUB_304000_NS6detail34convert_binary_result_type_wrapperINS9_3SumENS9_22TransformInputIteratorIb7NonZeroIdEPdlEElEEEE10hipError_tPvRmT1_T2_T3_mT4_P12ihipStream_tbEUlT_E1_NS1_11comp_targetILNS1_3genE0ELNS1_11target_archE4294967295ELNS1_3gpuE0ELNS1_3repE0EEENS1_30default_config_static_selectorELNS0_4arch9wavefront6targetE1EEEvSM_.has_indirect_call, 0
	.section	.AMDGPU.csdata,"",@progbits
; Kernel info:
; codeLenInByte = 0
; TotalNumSgprs: 4
; NumVgprs: 0
; ScratchSize: 0
; MemoryBound: 0
; FloatMode: 240
; IeeeMode: 1
; LDSByteSize: 0 bytes/workgroup (compile time only)
; SGPRBlocks: 0
; VGPRBlocks: 0
; NumSGPRsForWavesPerEU: 4
; NumVGPRsForWavesPerEU: 1
; Occupancy: 10
; WaveLimiterHint : 0
; COMPUTE_PGM_RSRC2:SCRATCH_EN: 0
; COMPUTE_PGM_RSRC2:USER_SGPR: 6
; COMPUTE_PGM_RSRC2:TRAP_HANDLER: 0
; COMPUTE_PGM_RSRC2:TGID_X_EN: 1
; COMPUTE_PGM_RSRC2:TGID_Y_EN: 0
; COMPUTE_PGM_RSRC2:TGID_Z_EN: 0
; COMPUTE_PGM_RSRC2:TIDIG_COMP_CNT: 0
	.section	.text._ZN7rocprim17ROCPRIM_400000_NS6detail17trampoline_kernelINS0_14default_configENS1_22reduce_config_selectorIlEEZNS1_11reduce_implILb1ES3_PlS7_lN6hipcub16HIPCUB_304000_NS6detail34convert_binary_result_type_wrapperINS9_3SumENS9_22TransformInputIteratorIb7NonZeroIdEPdlEElEEEE10hipError_tPvRmT1_T2_T3_mT4_P12ihipStream_tbEUlT_E1_NS1_11comp_targetILNS1_3genE5ELNS1_11target_archE942ELNS1_3gpuE9ELNS1_3repE0EEENS1_30default_config_static_selectorELNS0_4arch9wavefront6targetE1EEEvSM_,"axG",@progbits,_ZN7rocprim17ROCPRIM_400000_NS6detail17trampoline_kernelINS0_14default_configENS1_22reduce_config_selectorIlEEZNS1_11reduce_implILb1ES3_PlS7_lN6hipcub16HIPCUB_304000_NS6detail34convert_binary_result_type_wrapperINS9_3SumENS9_22TransformInputIteratorIb7NonZeroIdEPdlEElEEEE10hipError_tPvRmT1_T2_T3_mT4_P12ihipStream_tbEUlT_E1_NS1_11comp_targetILNS1_3genE5ELNS1_11target_archE942ELNS1_3gpuE9ELNS1_3repE0EEENS1_30default_config_static_selectorELNS0_4arch9wavefront6targetE1EEEvSM_,comdat
	.protected	_ZN7rocprim17ROCPRIM_400000_NS6detail17trampoline_kernelINS0_14default_configENS1_22reduce_config_selectorIlEEZNS1_11reduce_implILb1ES3_PlS7_lN6hipcub16HIPCUB_304000_NS6detail34convert_binary_result_type_wrapperINS9_3SumENS9_22TransformInputIteratorIb7NonZeroIdEPdlEElEEEE10hipError_tPvRmT1_T2_T3_mT4_P12ihipStream_tbEUlT_E1_NS1_11comp_targetILNS1_3genE5ELNS1_11target_archE942ELNS1_3gpuE9ELNS1_3repE0EEENS1_30default_config_static_selectorELNS0_4arch9wavefront6targetE1EEEvSM_ ; -- Begin function _ZN7rocprim17ROCPRIM_400000_NS6detail17trampoline_kernelINS0_14default_configENS1_22reduce_config_selectorIlEEZNS1_11reduce_implILb1ES3_PlS7_lN6hipcub16HIPCUB_304000_NS6detail34convert_binary_result_type_wrapperINS9_3SumENS9_22TransformInputIteratorIb7NonZeroIdEPdlEElEEEE10hipError_tPvRmT1_T2_T3_mT4_P12ihipStream_tbEUlT_E1_NS1_11comp_targetILNS1_3genE5ELNS1_11target_archE942ELNS1_3gpuE9ELNS1_3repE0EEENS1_30default_config_static_selectorELNS0_4arch9wavefront6targetE1EEEvSM_
	.globl	_ZN7rocprim17ROCPRIM_400000_NS6detail17trampoline_kernelINS0_14default_configENS1_22reduce_config_selectorIlEEZNS1_11reduce_implILb1ES3_PlS7_lN6hipcub16HIPCUB_304000_NS6detail34convert_binary_result_type_wrapperINS9_3SumENS9_22TransformInputIteratorIb7NonZeroIdEPdlEElEEEE10hipError_tPvRmT1_T2_T3_mT4_P12ihipStream_tbEUlT_E1_NS1_11comp_targetILNS1_3genE5ELNS1_11target_archE942ELNS1_3gpuE9ELNS1_3repE0EEENS1_30default_config_static_selectorELNS0_4arch9wavefront6targetE1EEEvSM_
	.p2align	8
	.type	_ZN7rocprim17ROCPRIM_400000_NS6detail17trampoline_kernelINS0_14default_configENS1_22reduce_config_selectorIlEEZNS1_11reduce_implILb1ES3_PlS7_lN6hipcub16HIPCUB_304000_NS6detail34convert_binary_result_type_wrapperINS9_3SumENS9_22TransformInputIteratorIb7NonZeroIdEPdlEElEEEE10hipError_tPvRmT1_T2_T3_mT4_P12ihipStream_tbEUlT_E1_NS1_11comp_targetILNS1_3genE5ELNS1_11target_archE942ELNS1_3gpuE9ELNS1_3repE0EEENS1_30default_config_static_selectorELNS0_4arch9wavefront6targetE1EEEvSM_,@function
_ZN7rocprim17ROCPRIM_400000_NS6detail17trampoline_kernelINS0_14default_configENS1_22reduce_config_selectorIlEEZNS1_11reduce_implILb1ES3_PlS7_lN6hipcub16HIPCUB_304000_NS6detail34convert_binary_result_type_wrapperINS9_3SumENS9_22TransformInputIteratorIb7NonZeroIdEPdlEElEEEE10hipError_tPvRmT1_T2_T3_mT4_P12ihipStream_tbEUlT_E1_NS1_11comp_targetILNS1_3genE5ELNS1_11target_archE942ELNS1_3gpuE9ELNS1_3repE0EEENS1_30default_config_static_selectorELNS0_4arch9wavefront6targetE1EEEvSM_: ; @_ZN7rocprim17ROCPRIM_400000_NS6detail17trampoline_kernelINS0_14default_configENS1_22reduce_config_selectorIlEEZNS1_11reduce_implILb1ES3_PlS7_lN6hipcub16HIPCUB_304000_NS6detail34convert_binary_result_type_wrapperINS9_3SumENS9_22TransformInputIteratorIb7NonZeroIdEPdlEElEEEE10hipError_tPvRmT1_T2_T3_mT4_P12ihipStream_tbEUlT_E1_NS1_11comp_targetILNS1_3genE5ELNS1_11target_archE942ELNS1_3gpuE9ELNS1_3repE0EEENS1_30default_config_static_selectorELNS0_4arch9wavefront6targetE1EEEvSM_
; %bb.0:
	.section	.rodata,"a",@progbits
	.p2align	6, 0x0
	.amdhsa_kernel _ZN7rocprim17ROCPRIM_400000_NS6detail17trampoline_kernelINS0_14default_configENS1_22reduce_config_selectorIlEEZNS1_11reduce_implILb1ES3_PlS7_lN6hipcub16HIPCUB_304000_NS6detail34convert_binary_result_type_wrapperINS9_3SumENS9_22TransformInputIteratorIb7NonZeroIdEPdlEElEEEE10hipError_tPvRmT1_T2_T3_mT4_P12ihipStream_tbEUlT_E1_NS1_11comp_targetILNS1_3genE5ELNS1_11target_archE942ELNS1_3gpuE9ELNS1_3repE0EEENS1_30default_config_static_selectorELNS0_4arch9wavefront6targetE1EEEvSM_
		.amdhsa_group_segment_fixed_size 0
		.amdhsa_private_segment_fixed_size 0
		.amdhsa_kernarg_size 48
		.amdhsa_user_sgpr_count 6
		.amdhsa_user_sgpr_private_segment_buffer 1
		.amdhsa_user_sgpr_dispatch_ptr 0
		.amdhsa_user_sgpr_queue_ptr 0
		.amdhsa_user_sgpr_kernarg_segment_ptr 1
		.amdhsa_user_sgpr_dispatch_id 0
		.amdhsa_user_sgpr_flat_scratch_init 0
		.amdhsa_user_sgpr_private_segment_size 0
		.amdhsa_uses_dynamic_stack 0
		.amdhsa_system_sgpr_private_segment_wavefront_offset 0
		.amdhsa_system_sgpr_workgroup_id_x 1
		.amdhsa_system_sgpr_workgroup_id_y 0
		.amdhsa_system_sgpr_workgroup_id_z 0
		.amdhsa_system_sgpr_workgroup_info 0
		.amdhsa_system_vgpr_workitem_id 0
		.amdhsa_next_free_vgpr 1
		.amdhsa_next_free_sgpr 0
		.amdhsa_reserve_vcc 0
		.amdhsa_reserve_flat_scratch 0
		.amdhsa_float_round_mode_32 0
		.amdhsa_float_round_mode_16_64 0
		.amdhsa_float_denorm_mode_32 3
		.amdhsa_float_denorm_mode_16_64 3
		.amdhsa_dx10_clamp 1
		.amdhsa_ieee_mode 1
		.amdhsa_fp16_overflow 0
		.amdhsa_exception_fp_ieee_invalid_op 0
		.amdhsa_exception_fp_denorm_src 0
		.amdhsa_exception_fp_ieee_div_zero 0
		.amdhsa_exception_fp_ieee_overflow 0
		.amdhsa_exception_fp_ieee_underflow 0
		.amdhsa_exception_fp_ieee_inexact 0
		.amdhsa_exception_int_div_zero 0
	.end_amdhsa_kernel
	.section	.text._ZN7rocprim17ROCPRIM_400000_NS6detail17trampoline_kernelINS0_14default_configENS1_22reduce_config_selectorIlEEZNS1_11reduce_implILb1ES3_PlS7_lN6hipcub16HIPCUB_304000_NS6detail34convert_binary_result_type_wrapperINS9_3SumENS9_22TransformInputIteratorIb7NonZeroIdEPdlEElEEEE10hipError_tPvRmT1_T2_T3_mT4_P12ihipStream_tbEUlT_E1_NS1_11comp_targetILNS1_3genE5ELNS1_11target_archE942ELNS1_3gpuE9ELNS1_3repE0EEENS1_30default_config_static_selectorELNS0_4arch9wavefront6targetE1EEEvSM_,"axG",@progbits,_ZN7rocprim17ROCPRIM_400000_NS6detail17trampoline_kernelINS0_14default_configENS1_22reduce_config_selectorIlEEZNS1_11reduce_implILb1ES3_PlS7_lN6hipcub16HIPCUB_304000_NS6detail34convert_binary_result_type_wrapperINS9_3SumENS9_22TransformInputIteratorIb7NonZeroIdEPdlEElEEEE10hipError_tPvRmT1_T2_T3_mT4_P12ihipStream_tbEUlT_E1_NS1_11comp_targetILNS1_3genE5ELNS1_11target_archE942ELNS1_3gpuE9ELNS1_3repE0EEENS1_30default_config_static_selectorELNS0_4arch9wavefront6targetE1EEEvSM_,comdat
.Lfunc_end295:
	.size	_ZN7rocprim17ROCPRIM_400000_NS6detail17trampoline_kernelINS0_14default_configENS1_22reduce_config_selectorIlEEZNS1_11reduce_implILb1ES3_PlS7_lN6hipcub16HIPCUB_304000_NS6detail34convert_binary_result_type_wrapperINS9_3SumENS9_22TransformInputIteratorIb7NonZeroIdEPdlEElEEEE10hipError_tPvRmT1_T2_T3_mT4_P12ihipStream_tbEUlT_E1_NS1_11comp_targetILNS1_3genE5ELNS1_11target_archE942ELNS1_3gpuE9ELNS1_3repE0EEENS1_30default_config_static_selectorELNS0_4arch9wavefront6targetE1EEEvSM_, .Lfunc_end295-_ZN7rocprim17ROCPRIM_400000_NS6detail17trampoline_kernelINS0_14default_configENS1_22reduce_config_selectorIlEEZNS1_11reduce_implILb1ES3_PlS7_lN6hipcub16HIPCUB_304000_NS6detail34convert_binary_result_type_wrapperINS9_3SumENS9_22TransformInputIteratorIb7NonZeroIdEPdlEElEEEE10hipError_tPvRmT1_T2_T3_mT4_P12ihipStream_tbEUlT_E1_NS1_11comp_targetILNS1_3genE5ELNS1_11target_archE942ELNS1_3gpuE9ELNS1_3repE0EEENS1_30default_config_static_selectorELNS0_4arch9wavefront6targetE1EEEvSM_
                                        ; -- End function
	.set _ZN7rocprim17ROCPRIM_400000_NS6detail17trampoline_kernelINS0_14default_configENS1_22reduce_config_selectorIlEEZNS1_11reduce_implILb1ES3_PlS7_lN6hipcub16HIPCUB_304000_NS6detail34convert_binary_result_type_wrapperINS9_3SumENS9_22TransformInputIteratorIb7NonZeroIdEPdlEElEEEE10hipError_tPvRmT1_T2_T3_mT4_P12ihipStream_tbEUlT_E1_NS1_11comp_targetILNS1_3genE5ELNS1_11target_archE942ELNS1_3gpuE9ELNS1_3repE0EEENS1_30default_config_static_selectorELNS0_4arch9wavefront6targetE1EEEvSM_.num_vgpr, 0
	.set _ZN7rocprim17ROCPRIM_400000_NS6detail17trampoline_kernelINS0_14default_configENS1_22reduce_config_selectorIlEEZNS1_11reduce_implILb1ES3_PlS7_lN6hipcub16HIPCUB_304000_NS6detail34convert_binary_result_type_wrapperINS9_3SumENS9_22TransformInputIteratorIb7NonZeroIdEPdlEElEEEE10hipError_tPvRmT1_T2_T3_mT4_P12ihipStream_tbEUlT_E1_NS1_11comp_targetILNS1_3genE5ELNS1_11target_archE942ELNS1_3gpuE9ELNS1_3repE0EEENS1_30default_config_static_selectorELNS0_4arch9wavefront6targetE1EEEvSM_.num_agpr, 0
	.set _ZN7rocprim17ROCPRIM_400000_NS6detail17trampoline_kernelINS0_14default_configENS1_22reduce_config_selectorIlEEZNS1_11reduce_implILb1ES3_PlS7_lN6hipcub16HIPCUB_304000_NS6detail34convert_binary_result_type_wrapperINS9_3SumENS9_22TransformInputIteratorIb7NonZeroIdEPdlEElEEEE10hipError_tPvRmT1_T2_T3_mT4_P12ihipStream_tbEUlT_E1_NS1_11comp_targetILNS1_3genE5ELNS1_11target_archE942ELNS1_3gpuE9ELNS1_3repE0EEENS1_30default_config_static_selectorELNS0_4arch9wavefront6targetE1EEEvSM_.numbered_sgpr, 0
	.set _ZN7rocprim17ROCPRIM_400000_NS6detail17trampoline_kernelINS0_14default_configENS1_22reduce_config_selectorIlEEZNS1_11reduce_implILb1ES3_PlS7_lN6hipcub16HIPCUB_304000_NS6detail34convert_binary_result_type_wrapperINS9_3SumENS9_22TransformInputIteratorIb7NonZeroIdEPdlEElEEEE10hipError_tPvRmT1_T2_T3_mT4_P12ihipStream_tbEUlT_E1_NS1_11comp_targetILNS1_3genE5ELNS1_11target_archE942ELNS1_3gpuE9ELNS1_3repE0EEENS1_30default_config_static_selectorELNS0_4arch9wavefront6targetE1EEEvSM_.num_named_barrier, 0
	.set _ZN7rocprim17ROCPRIM_400000_NS6detail17trampoline_kernelINS0_14default_configENS1_22reduce_config_selectorIlEEZNS1_11reduce_implILb1ES3_PlS7_lN6hipcub16HIPCUB_304000_NS6detail34convert_binary_result_type_wrapperINS9_3SumENS9_22TransformInputIteratorIb7NonZeroIdEPdlEElEEEE10hipError_tPvRmT1_T2_T3_mT4_P12ihipStream_tbEUlT_E1_NS1_11comp_targetILNS1_3genE5ELNS1_11target_archE942ELNS1_3gpuE9ELNS1_3repE0EEENS1_30default_config_static_selectorELNS0_4arch9wavefront6targetE1EEEvSM_.private_seg_size, 0
	.set _ZN7rocprim17ROCPRIM_400000_NS6detail17trampoline_kernelINS0_14default_configENS1_22reduce_config_selectorIlEEZNS1_11reduce_implILb1ES3_PlS7_lN6hipcub16HIPCUB_304000_NS6detail34convert_binary_result_type_wrapperINS9_3SumENS9_22TransformInputIteratorIb7NonZeroIdEPdlEElEEEE10hipError_tPvRmT1_T2_T3_mT4_P12ihipStream_tbEUlT_E1_NS1_11comp_targetILNS1_3genE5ELNS1_11target_archE942ELNS1_3gpuE9ELNS1_3repE0EEENS1_30default_config_static_selectorELNS0_4arch9wavefront6targetE1EEEvSM_.uses_vcc, 0
	.set _ZN7rocprim17ROCPRIM_400000_NS6detail17trampoline_kernelINS0_14default_configENS1_22reduce_config_selectorIlEEZNS1_11reduce_implILb1ES3_PlS7_lN6hipcub16HIPCUB_304000_NS6detail34convert_binary_result_type_wrapperINS9_3SumENS9_22TransformInputIteratorIb7NonZeroIdEPdlEElEEEE10hipError_tPvRmT1_T2_T3_mT4_P12ihipStream_tbEUlT_E1_NS1_11comp_targetILNS1_3genE5ELNS1_11target_archE942ELNS1_3gpuE9ELNS1_3repE0EEENS1_30default_config_static_selectorELNS0_4arch9wavefront6targetE1EEEvSM_.uses_flat_scratch, 0
	.set _ZN7rocprim17ROCPRIM_400000_NS6detail17trampoline_kernelINS0_14default_configENS1_22reduce_config_selectorIlEEZNS1_11reduce_implILb1ES3_PlS7_lN6hipcub16HIPCUB_304000_NS6detail34convert_binary_result_type_wrapperINS9_3SumENS9_22TransformInputIteratorIb7NonZeroIdEPdlEElEEEE10hipError_tPvRmT1_T2_T3_mT4_P12ihipStream_tbEUlT_E1_NS1_11comp_targetILNS1_3genE5ELNS1_11target_archE942ELNS1_3gpuE9ELNS1_3repE0EEENS1_30default_config_static_selectorELNS0_4arch9wavefront6targetE1EEEvSM_.has_dyn_sized_stack, 0
	.set _ZN7rocprim17ROCPRIM_400000_NS6detail17trampoline_kernelINS0_14default_configENS1_22reduce_config_selectorIlEEZNS1_11reduce_implILb1ES3_PlS7_lN6hipcub16HIPCUB_304000_NS6detail34convert_binary_result_type_wrapperINS9_3SumENS9_22TransformInputIteratorIb7NonZeroIdEPdlEElEEEE10hipError_tPvRmT1_T2_T3_mT4_P12ihipStream_tbEUlT_E1_NS1_11comp_targetILNS1_3genE5ELNS1_11target_archE942ELNS1_3gpuE9ELNS1_3repE0EEENS1_30default_config_static_selectorELNS0_4arch9wavefront6targetE1EEEvSM_.has_recursion, 0
	.set _ZN7rocprim17ROCPRIM_400000_NS6detail17trampoline_kernelINS0_14default_configENS1_22reduce_config_selectorIlEEZNS1_11reduce_implILb1ES3_PlS7_lN6hipcub16HIPCUB_304000_NS6detail34convert_binary_result_type_wrapperINS9_3SumENS9_22TransformInputIteratorIb7NonZeroIdEPdlEElEEEE10hipError_tPvRmT1_T2_T3_mT4_P12ihipStream_tbEUlT_E1_NS1_11comp_targetILNS1_3genE5ELNS1_11target_archE942ELNS1_3gpuE9ELNS1_3repE0EEENS1_30default_config_static_selectorELNS0_4arch9wavefront6targetE1EEEvSM_.has_indirect_call, 0
	.section	.AMDGPU.csdata,"",@progbits
; Kernel info:
; codeLenInByte = 0
; TotalNumSgprs: 4
; NumVgprs: 0
; ScratchSize: 0
; MemoryBound: 0
; FloatMode: 240
; IeeeMode: 1
; LDSByteSize: 0 bytes/workgroup (compile time only)
; SGPRBlocks: 0
; VGPRBlocks: 0
; NumSGPRsForWavesPerEU: 4
; NumVGPRsForWavesPerEU: 1
; Occupancy: 10
; WaveLimiterHint : 0
; COMPUTE_PGM_RSRC2:SCRATCH_EN: 0
; COMPUTE_PGM_RSRC2:USER_SGPR: 6
; COMPUTE_PGM_RSRC2:TRAP_HANDLER: 0
; COMPUTE_PGM_RSRC2:TGID_X_EN: 1
; COMPUTE_PGM_RSRC2:TGID_Y_EN: 0
; COMPUTE_PGM_RSRC2:TGID_Z_EN: 0
; COMPUTE_PGM_RSRC2:TIDIG_COMP_CNT: 0
	.section	.text._ZN7rocprim17ROCPRIM_400000_NS6detail17trampoline_kernelINS0_14default_configENS1_22reduce_config_selectorIlEEZNS1_11reduce_implILb1ES3_PlS7_lN6hipcub16HIPCUB_304000_NS6detail34convert_binary_result_type_wrapperINS9_3SumENS9_22TransformInputIteratorIb7NonZeroIdEPdlEElEEEE10hipError_tPvRmT1_T2_T3_mT4_P12ihipStream_tbEUlT_E1_NS1_11comp_targetILNS1_3genE4ELNS1_11target_archE910ELNS1_3gpuE8ELNS1_3repE0EEENS1_30default_config_static_selectorELNS0_4arch9wavefront6targetE1EEEvSM_,"axG",@progbits,_ZN7rocprim17ROCPRIM_400000_NS6detail17trampoline_kernelINS0_14default_configENS1_22reduce_config_selectorIlEEZNS1_11reduce_implILb1ES3_PlS7_lN6hipcub16HIPCUB_304000_NS6detail34convert_binary_result_type_wrapperINS9_3SumENS9_22TransformInputIteratorIb7NonZeroIdEPdlEElEEEE10hipError_tPvRmT1_T2_T3_mT4_P12ihipStream_tbEUlT_E1_NS1_11comp_targetILNS1_3genE4ELNS1_11target_archE910ELNS1_3gpuE8ELNS1_3repE0EEENS1_30default_config_static_selectorELNS0_4arch9wavefront6targetE1EEEvSM_,comdat
	.protected	_ZN7rocprim17ROCPRIM_400000_NS6detail17trampoline_kernelINS0_14default_configENS1_22reduce_config_selectorIlEEZNS1_11reduce_implILb1ES3_PlS7_lN6hipcub16HIPCUB_304000_NS6detail34convert_binary_result_type_wrapperINS9_3SumENS9_22TransformInputIteratorIb7NonZeroIdEPdlEElEEEE10hipError_tPvRmT1_T2_T3_mT4_P12ihipStream_tbEUlT_E1_NS1_11comp_targetILNS1_3genE4ELNS1_11target_archE910ELNS1_3gpuE8ELNS1_3repE0EEENS1_30default_config_static_selectorELNS0_4arch9wavefront6targetE1EEEvSM_ ; -- Begin function _ZN7rocprim17ROCPRIM_400000_NS6detail17trampoline_kernelINS0_14default_configENS1_22reduce_config_selectorIlEEZNS1_11reduce_implILb1ES3_PlS7_lN6hipcub16HIPCUB_304000_NS6detail34convert_binary_result_type_wrapperINS9_3SumENS9_22TransformInputIteratorIb7NonZeroIdEPdlEElEEEE10hipError_tPvRmT1_T2_T3_mT4_P12ihipStream_tbEUlT_E1_NS1_11comp_targetILNS1_3genE4ELNS1_11target_archE910ELNS1_3gpuE8ELNS1_3repE0EEENS1_30default_config_static_selectorELNS0_4arch9wavefront6targetE1EEEvSM_
	.globl	_ZN7rocprim17ROCPRIM_400000_NS6detail17trampoline_kernelINS0_14default_configENS1_22reduce_config_selectorIlEEZNS1_11reduce_implILb1ES3_PlS7_lN6hipcub16HIPCUB_304000_NS6detail34convert_binary_result_type_wrapperINS9_3SumENS9_22TransformInputIteratorIb7NonZeroIdEPdlEElEEEE10hipError_tPvRmT1_T2_T3_mT4_P12ihipStream_tbEUlT_E1_NS1_11comp_targetILNS1_3genE4ELNS1_11target_archE910ELNS1_3gpuE8ELNS1_3repE0EEENS1_30default_config_static_selectorELNS0_4arch9wavefront6targetE1EEEvSM_
	.p2align	8
	.type	_ZN7rocprim17ROCPRIM_400000_NS6detail17trampoline_kernelINS0_14default_configENS1_22reduce_config_selectorIlEEZNS1_11reduce_implILb1ES3_PlS7_lN6hipcub16HIPCUB_304000_NS6detail34convert_binary_result_type_wrapperINS9_3SumENS9_22TransformInputIteratorIb7NonZeroIdEPdlEElEEEE10hipError_tPvRmT1_T2_T3_mT4_P12ihipStream_tbEUlT_E1_NS1_11comp_targetILNS1_3genE4ELNS1_11target_archE910ELNS1_3gpuE8ELNS1_3repE0EEENS1_30default_config_static_selectorELNS0_4arch9wavefront6targetE1EEEvSM_,@function
_ZN7rocprim17ROCPRIM_400000_NS6detail17trampoline_kernelINS0_14default_configENS1_22reduce_config_selectorIlEEZNS1_11reduce_implILb1ES3_PlS7_lN6hipcub16HIPCUB_304000_NS6detail34convert_binary_result_type_wrapperINS9_3SumENS9_22TransformInputIteratorIb7NonZeroIdEPdlEElEEEE10hipError_tPvRmT1_T2_T3_mT4_P12ihipStream_tbEUlT_E1_NS1_11comp_targetILNS1_3genE4ELNS1_11target_archE910ELNS1_3gpuE8ELNS1_3repE0EEENS1_30default_config_static_selectorELNS0_4arch9wavefront6targetE1EEEvSM_: ; @_ZN7rocprim17ROCPRIM_400000_NS6detail17trampoline_kernelINS0_14default_configENS1_22reduce_config_selectorIlEEZNS1_11reduce_implILb1ES3_PlS7_lN6hipcub16HIPCUB_304000_NS6detail34convert_binary_result_type_wrapperINS9_3SumENS9_22TransformInputIteratorIb7NonZeroIdEPdlEElEEEE10hipError_tPvRmT1_T2_T3_mT4_P12ihipStream_tbEUlT_E1_NS1_11comp_targetILNS1_3genE4ELNS1_11target_archE910ELNS1_3gpuE8ELNS1_3repE0EEENS1_30default_config_static_selectorELNS0_4arch9wavefront6targetE1EEEvSM_
; %bb.0:
	.section	.rodata,"a",@progbits
	.p2align	6, 0x0
	.amdhsa_kernel _ZN7rocprim17ROCPRIM_400000_NS6detail17trampoline_kernelINS0_14default_configENS1_22reduce_config_selectorIlEEZNS1_11reduce_implILb1ES3_PlS7_lN6hipcub16HIPCUB_304000_NS6detail34convert_binary_result_type_wrapperINS9_3SumENS9_22TransformInputIteratorIb7NonZeroIdEPdlEElEEEE10hipError_tPvRmT1_T2_T3_mT4_P12ihipStream_tbEUlT_E1_NS1_11comp_targetILNS1_3genE4ELNS1_11target_archE910ELNS1_3gpuE8ELNS1_3repE0EEENS1_30default_config_static_selectorELNS0_4arch9wavefront6targetE1EEEvSM_
		.amdhsa_group_segment_fixed_size 0
		.amdhsa_private_segment_fixed_size 0
		.amdhsa_kernarg_size 48
		.amdhsa_user_sgpr_count 6
		.amdhsa_user_sgpr_private_segment_buffer 1
		.amdhsa_user_sgpr_dispatch_ptr 0
		.amdhsa_user_sgpr_queue_ptr 0
		.amdhsa_user_sgpr_kernarg_segment_ptr 1
		.amdhsa_user_sgpr_dispatch_id 0
		.amdhsa_user_sgpr_flat_scratch_init 0
		.amdhsa_user_sgpr_private_segment_size 0
		.amdhsa_uses_dynamic_stack 0
		.amdhsa_system_sgpr_private_segment_wavefront_offset 0
		.amdhsa_system_sgpr_workgroup_id_x 1
		.amdhsa_system_sgpr_workgroup_id_y 0
		.amdhsa_system_sgpr_workgroup_id_z 0
		.amdhsa_system_sgpr_workgroup_info 0
		.amdhsa_system_vgpr_workitem_id 0
		.amdhsa_next_free_vgpr 1
		.amdhsa_next_free_sgpr 0
		.amdhsa_reserve_vcc 0
		.amdhsa_reserve_flat_scratch 0
		.amdhsa_float_round_mode_32 0
		.amdhsa_float_round_mode_16_64 0
		.amdhsa_float_denorm_mode_32 3
		.amdhsa_float_denorm_mode_16_64 3
		.amdhsa_dx10_clamp 1
		.amdhsa_ieee_mode 1
		.amdhsa_fp16_overflow 0
		.amdhsa_exception_fp_ieee_invalid_op 0
		.amdhsa_exception_fp_denorm_src 0
		.amdhsa_exception_fp_ieee_div_zero 0
		.amdhsa_exception_fp_ieee_overflow 0
		.amdhsa_exception_fp_ieee_underflow 0
		.amdhsa_exception_fp_ieee_inexact 0
		.amdhsa_exception_int_div_zero 0
	.end_amdhsa_kernel
	.section	.text._ZN7rocprim17ROCPRIM_400000_NS6detail17trampoline_kernelINS0_14default_configENS1_22reduce_config_selectorIlEEZNS1_11reduce_implILb1ES3_PlS7_lN6hipcub16HIPCUB_304000_NS6detail34convert_binary_result_type_wrapperINS9_3SumENS9_22TransformInputIteratorIb7NonZeroIdEPdlEElEEEE10hipError_tPvRmT1_T2_T3_mT4_P12ihipStream_tbEUlT_E1_NS1_11comp_targetILNS1_3genE4ELNS1_11target_archE910ELNS1_3gpuE8ELNS1_3repE0EEENS1_30default_config_static_selectorELNS0_4arch9wavefront6targetE1EEEvSM_,"axG",@progbits,_ZN7rocprim17ROCPRIM_400000_NS6detail17trampoline_kernelINS0_14default_configENS1_22reduce_config_selectorIlEEZNS1_11reduce_implILb1ES3_PlS7_lN6hipcub16HIPCUB_304000_NS6detail34convert_binary_result_type_wrapperINS9_3SumENS9_22TransformInputIteratorIb7NonZeroIdEPdlEElEEEE10hipError_tPvRmT1_T2_T3_mT4_P12ihipStream_tbEUlT_E1_NS1_11comp_targetILNS1_3genE4ELNS1_11target_archE910ELNS1_3gpuE8ELNS1_3repE0EEENS1_30default_config_static_selectorELNS0_4arch9wavefront6targetE1EEEvSM_,comdat
.Lfunc_end296:
	.size	_ZN7rocprim17ROCPRIM_400000_NS6detail17trampoline_kernelINS0_14default_configENS1_22reduce_config_selectorIlEEZNS1_11reduce_implILb1ES3_PlS7_lN6hipcub16HIPCUB_304000_NS6detail34convert_binary_result_type_wrapperINS9_3SumENS9_22TransformInputIteratorIb7NonZeroIdEPdlEElEEEE10hipError_tPvRmT1_T2_T3_mT4_P12ihipStream_tbEUlT_E1_NS1_11comp_targetILNS1_3genE4ELNS1_11target_archE910ELNS1_3gpuE8ELNS1_3repE0EEENS1_30default_config_static_selectorELNS0_4arch9wavefront6targetE1EEEvSM_, .Lfunc_end296-_ZN7rocprim17ROCPRIM_400000_NS6detail17trampoline_kernelINS0_14default_configENS1_22reduce_config_selectorIlEEZNS1_11reduce_implILb1ES3_PlS7_lN6hipcub16HIPCUB_304000_NS6detail34convert_binary_result_type_wrapperINS9_3SumENS9_22TransformInputIteratorIb7NonZeroIdEPdlEElEEEE10hipError_tPvRmT1_T2_T3_mT4_P12ihipStream_tbEUlT_E1_NS1_11comp_targetILNS1_3genE4ELNS1_11target_archE910ELNS1_3gpuE8ELNS1_3repE0EEENS1_30default_config_static_selectorELNS0_4arch9wavefront6targetE1EEEvSM_
                                        ; -- End function
	.set _ZN7rocprim17ROCPRIM_400000_NS6detail17trampoline_kernelINS0_14default_configENS1_22reduce_config_selectorIlEEZNS1_11reduce_implILb1ES3_PlS7_lN6hipcub16HIPCUB_304000_NS6detail34convert_binary_result_type_wrapperINS9_3SumENS9_22TransformInputIteratorIb7NonZeroIdEPdlEElEEEE10hipError_tPvRmT1_T2_T3_mT4_P12ihipStream_tbEUlT_E1_NS1_11comp_targetILNS1_3genE4ELNS1_11target_archE910ELNS1_3gpuE8ELNS1_3repE0EEENS1_30default_config_static_selectorELNS0_4arch9wavefront6targetE1EEEvSM_.num_vgpr, 0
	.set _ZN7rocprim17ROCPRIM_400000_NS6detail17trampoline_kernelINS0_14default_configENS1_22reduce_config_selectorIlEEZNS1_11reduce_implILb1ES3_PlS7_lN6hipcub16HIPCUB_304000_NS6detail34convert_binary_result_type_wrapperINS9_3SumENS9_22TransformInputIteratorIb7NonZeroIdEPdlEElEEEE10hipError_tPvRmT1_T2_T3_mT4_P12ihipStream_tbEUlT_E1_NS1_11comp_targetILNS1_3genE4ELNS1_11target_archE910ELNS1_3gpuE8ELNS1_3repE0EEENS1_30default_config_static_selectorELNS0_4arch9wavefront6targetE1EEEvSM_.num_agpr, 0
	.set _ZN7rocprim17ROCPRIM_400000_NS6detail17trampoline_kernelINS0_14default_configENS1_22reduce_config_selectorIlEEZNS1_11reduce_implILb1ES3_PlS7_lN6hipcub16HIPCUB_304000_NS6detail34convert_binary_result_type_wrapperINS9_3SumENS9_22TransformInputIteratorIb7NonZeroIdEPdlEElEEEE10hipError_tPvRmT1_T2_T3_mT4_P12ihipStream_tbEUlT_E1_NS1_11comp_targetILNS1_3genE4ELNS1_11target_archE910ELNS1_3gpuE8ELNS1_3repE0EEENS1_30default_config_static_selectorELNS0_4arch9wavefront6targetE1EEEvSM_.numbered_sgpr, 0
	.set _ZN7rocprim17ROCPRIM_400000_NS6detail17trampoline_kernelINS0_14default_configENS1_22reduce_config_selectorIlEEZNS1_11reduce_implILb1ES3_PlS7_lN6hipcub16HIPCUB_304000_NS6detail34convert_binary_result_type_wrapperINS9_3SumENS9_22TransformInputIteratorIb7NonZeroIdEPdlEElEEEE10hipError_tPvRmT1_T2_T3_mT4_P12ihipStream_tbEUlT_E1_NS1_11comp_targetILNS1_3genE4ELNS1_11target_archE910ELNS1_3gpuE8ELNS1_3repE0EEENS1_30default_config_static_selectorELNS0_4arch9wavefront6targetE1EEEvSM_.num_named_barrier, 0
	.set _ZN7rocprim17ROCPRIM_400000_NS6detail17trampoline_kernelINS0_14default_configENS1_22reduce_config_selectorIlEEZNS1_11reduce_implILb1ES3_PlS7_lN6hipcub16HIPCUB_304000_NS6detail34convert_binary_result_type_wrapperINS9_3SumENS9_22TransformInputIteratorIb7NonZeroIdEPdlEElEEEE10hipError_tPvRmT1_T2_T3_mT4_P12ihipStream_tbEUlT_E1_NS1_11comp_targetILNS1_3genE4ELNS1_11target_archE910ELNS1_3gpuE8ELNS1_3repE0EEENS1_30default_config_static_selectorELNS0_4arch9wavefront6targetE1EEEvSM_.private_seg_size, 0
	.set _ZN7rocprim17ROCPRIM_400000_NS6detail17trampoline_kernelINS0_14default_configENS1_22reduce_config_selectorIlEEZNS1_11reduce_implILb1ES3_PlS7_lN6hipcub16HIPCUB_304000_NS6detail34convert_binary_result_type_wrapperINS9_3SumENS9_22TransformInputIteratorIb7NonZeroIdEPdlEElEEEE10hipError_tPvRmT1_T2_T3_mT4_P12ihipStream_tbEUlT_E1_NS1_11comp_targetILNS1_3genE4ELNS1_11target_archE910ELNS1_3gpuE8ELNS1_3repE0EEENS1_30default_config_static_selectorELNS0_4arch9wavefront6targetE1EEEvSM_.uses_vcc, 0
	.set _ZN7rocprim17ROCPRIM_400000_NS6detail17trampoline_kernelINS0_14default_configENS1_22reduce_config_selectorIlEEZNS1_11reduce_implILb1ES3_PlS7_lN6hipcub16HIPCUB_304000_NS6detail34convert_binary_result_type_wrapperINS9_3SumENS9_22TransformInputIteratorIb7NonZeroIdEPdlEElEEEE10hipError_tPvRmT1_T2_T3_mT4_P12ihipStream_tbEUlT_E1_NS1_11comp_targetILNS1_3genE4ELNS1_11target_archE910ELNS1_3gpuE8ELNS1_3repE0EEENS1_30default_config_static_selectorELNS0_4arch9wavefront6targetE1EEEvSM_.uses_flat_scratch, 0
	.set _ZN7rocprim17ROCPRIM_400000_NS6detail17trampoline_kernelINS0_14default_configENS1_22reduce_config_selectorIlEEZNS1_11reduce_implILb1ES3_PlS7_lN6hipcub16HIPCUB_304000_NS6detail34convert_binary_result_type_wrapperINS9_3SumENS9_22TransformInputIteratorIb7NonZeroIdEPdlEElEEEE10hipError_tPvRmT1_T2_T3_mT4_P12ihipStream_tbEUlT_E1_NS1_11comp_targetILNS1_3genE4ELNS1_11target_archE910ELNS1_3gpuE8ELNS1_3repE0EEENS1_30default_config_static_selectorELNS0_4arch9wavefront6targetE1EEEvSM_.has_dyn_sized_stack, 0
	.set _ZN7rocprim17ROCPRIM_400000_NS6detail17trampoline_kernelINS0_14default_configENS1_22reduce_config_selectorIlEEZNS1_11reduce_implILb1ES3_PlS7_lN6hipcub16HIPCUB_304000_NS6detail34convert_binary_result_type_wrapperINS9_3SumENS9_22TransformInputIteratorIb7NonZeroIdEPdlEElEEEE10hipError_tPvRmT1_T2_T3_mT4_P12ihipStream_tbEUlT_E1_NS1_11comp_targetILNS1_3genE4ELNS1_11target_archE910ELNS1_3gpuE8ELNS1_3repE0EEENS1_30default_config_static_selectorELNS0_4arch9wavefront6targetE1EEEvSM_.has_recursion, 0
	.set _ZN7rocprim17ROCPRIM_400000_NS6detail17trampoline_kernelINS0_14default_configENS1_22reduce_config_selectorIlEEZNS1_11reduce_implILb1ES3_PlS7_lN6hipcub16HIPCUB_304000_NS6detail34convert_binary_result_type_wrapperINS9_3SumENS9_22TransformInputIteratorIb7NonZeroIdEPdlEElEEEE10hipError_tPvRmT1_T2_T3_mT4_P12ihipStream_tbEUlT_E1_NS1_11comp_targetILNS1_3genE4ELNS1_11target_archE910ELNS1_3gpuE8ELNS1_3repE0EEENS1_30default_config_static_selectorELNS0_4arch9wavefront6targetE1EEEvSM_.has_indirect_call, 0
	.section	.AMDGPU.csdata,"",@progbits
; Kernel info:
; codeLenInByte = 0
; TotalNumSgprs: 4
; NumVgprs: 0
; ScratchSize: 0
; MemoryBound: 0
; FloatMode: 240
; IeeeMode: 1
; LDSByteSize: 0 bytes/workgroup (compile time only)
; SGPRBlocks: 0
; VGPRBlocks: 0
; NumSGPRsForWavesPerEU: 4
; NumVGPRsForWavesPerEU: 1
; Occupancy: 10
; WaveLimiterHint : 0
; COMPUTE_PGM_RSRC2:SCRATCH_EN: 0
; COMPUTE_PGM_RSRC2:USER_SGPR: 6
; COMPUTE_PGM_RSRC2:TRAP_HANDLER: 0
; COMPUTE_PGM_RSRC2:TGID_X_EN: 1
; COMPUTE_PGM_RSRC2:TGID_Y_EN: 0
; COMPUTE_PGM_RSRC2:TGID_Z_EN: 0
; COMPUTE_PGM_RSRC2:TIDIG_COMP_CNT: 0
	.section	.text._ZN7rocprim17ROCPRIM_400000_NS6detail17trampoline_kernelINS0_14default_configENS1_22reduce_config_selectorIlEEZNS1_11reduce_implILb1ES3_PlS7_lN6hipcub16HIPCUB_304000_NS6detail34convert_binary_result_type_wrapperINS9_3SumENS9_22TransformInputIteratorIb7NonZeroIdEPdlEElEEEE10hipError_tPvRmT1_T2_T3_mT4_P12ihipStream_tbEUlT_E1_NS1_11comp_targetILNS1_3genE3ELNS1_11target_archE908ELNS1_3gpuE7ELNS1_3repE0EEENS1_30default_config_static_selectorELNS0_4arch9wavefront6targetE1EEEvSM_,"axG",@progbits,_ZN7rocprim17ROCPRIM_400000_NS6detail17trampoline_kernelINS0_14default_configENS1_22reduce_config_selectorIlEEZNS1_11reduce_implILb1ES3_PlS7_lN6hipcub16HIPCUB_304000_NS6detail34convert_binary_result_type_wrapperINS9_3SumENS9_22TransformInputIteratorIb7NonZeroIdEPdlEElEEEE10hipError_tPvRmT1_T2_T3_mT4_P12ihipStream_tbEUlT_E1_NS1_11comp_targetILNS1_3genE3ELNS1_11target_archE908ELNS1_3gpuE7ELNS1_3repE0EEENS1_30default_config_static_selectorELNS0_4arch9wavefront6targetE1EEEvSM_,comdat
	.protected	_ZN7rocprim17ROCPRIM_400000_NS6detail17trampoline_kernelINS0_14default_configENS1_22reduce_config_selectorIlEEZNS1_11reduce_implILb1ES3_PlS7_lN6hipcub16HIPCUB_304000_NS6detail34convert_binary_result_type_wrapperINS9_3SumENS9_22TransformInputIteratorIb7NonZeroIdEPdlEElEEEE10hipError_tPvRmT1_T2_T3_mT4_P12ihipStream_tbEUlT_E1_NS1_11comp_targetILNS1_3genE3ELNS1_11target_archE908ELNS1_3gpuE7ELNS1_3repE0EEENS1_30default_config_static_selectorELNS0_4arch9wavefront6targetE1EEEvSM_ ; -- Begin function _ZN7rocprim17ROCPRIM_400000_NS6detail17trampoline_kernelINS0_14default_configENS1_22reduce_config_selectorIlEEZNS1_11reduce_implILb1ES3_PlS7_lN6hipcub16HIPCUB_304000_NS6detail34convert_binary_result_type_wrapperINS9_3SumENS9_22TransformInputIteratorIb7NonZeroIdEPdlEElEEEE10hipError_tPvRmT1_T2_T3_mT4_P12ihipStream_tbEUlT_E1_NS1_11comp_targetILNS1_3genE3ELNS1_11target_archE908ELNS1_3gpuE7ELNS1_3repE0EEENS1_30default_config_static_selectorELNS0_4arch9wavefront6targetE1EEEvSM_
	.globl	_ZN7rocprim17ROCPRIM_400000_NS6detail17trampoline_kernelINS0_14default_configENS1_22reduce_config_selectorIlEEZNS1_11reduce_implILb1ES3_PlS7_lN6hipcub16HIPCUB_304000_NS6detail34convert_binary_result_type_wrapperINS9_3SumENS9_22TransformInputIteratorIb7NonZeroIdEPdlEElEEEE10hipError_tPvRmT1_T2_T3_mT4_P12ihipStream_tbEUlT_E1_NS1_11comp_targetILNS1_3genE3ELNS1_11target_archE908ELNS1_3gpuE7ELNS1_3repE0EEENS1_30default_config_static_selectorELNS0_4arch9wavefront6targetE1EEEvSM_
	.p2align	8
	.type	_ZN7rocprim17ROCPRIM_400000_NS6detail17trampoline_kernelINS0_14default_configENS1_22reduce_config_selectorIlEEZNS1_11reduce_implILb1ES3_PlS7_lN6hipcub16HIPCUB_304000_NS6detail34convert_binary_result_type_wrapperINS9_3SumENS9_22TransformInputIteratorIb7NonZeroIdEPdlEElEEEE10hipError_tPvRmT1_T2_T3_mT4_P12ihipStream_tbEUlT_E1_NS1_11comp_targetILNS1_3genE3ELNS1_11target_archE908ELNS1_3gpuE7ELNS1_3repE0EEENS1_30default_config_static_selectorELNS0_4arch9wavefront6targetE1EEEvSM_,@function
_ZN7rocprim17ROCPRIM_400000_NS6detail17trampoline_kernelINS0_14default_configENS1_22reduce_config_selectorIlEEZNS1_11reduce_implILb1ES3_PlS7_lN6hipcub16HIPCUB_304000_NS6detail34convert_binary_result_type_wrapperINS9_3SumENS9_22TransformInputIteratorIb7NonZeroIdEPdlEElEEEE10hipError_tPvRmT1_T2_T3_mT4_P12ihipStream_tbEUlT_E1_NS1_11comp_targetILNS1_3genE3ELNS1_11target_archE908ELNS1_3gpuE7ELNS1_3repE0EEENS1_30default_config_static_selectorELNS0_4arch9wavefront6targetE1EEEvSM_: ; @_ZN7rocprim17ROCPRIM_400000_NS6detail17trampoline_kernelINS0_14default_configENS1_22reduce_config_selectorIlEEZNS1_11reduce_implILb1ES3_PlS7_lN6hipcub16HIPCUB_304000_NS6detail34convert_binary_result_type_wrapperINS9_3SumENS9_22TransformInputIteratorIb7NonZeroIdEPdlEElEEEE10hipError_tPvRmT1_T2_T3_mT4_P12ihipStream_tbEUlT_E1_NS1_11comp_targetILNS1_3genE3ELNS1_11target_archE908ELNS1_3gpuE7ELNS1_3repE0EEENS1_30default_config_static_selectorELNS0_4arch9wavefront6targetE1EEEvSM_
; %bb.0:
	.section	.rodata,"a",@progbits
	.p2align	6, 0x0
	.amdhsa_kernel _ZN7rocprim17ROCPRIM_400000_NS6detail17trampoline_kernelINS0_14default_configENS1_22reduce_config_selectorIlEEZNS1_11reduce_implILb1ES3_PlS7_lN6hipcub16HIPCUB_304000_NS6detail34convert_binary_result_type_wrapperINS9_3SumENS9_22TransformInputIteratorIb7NonZeroIdEPdlEElEEEE10hipError_tPvRmT1_T2_T3_mT4_P12ihipStream_tbEUlT_E1_NS1_11comp_targetILNS1_3genE3ELNS1_11target_archE908ELNS1_3gpuE7ELNS1_3repE0EEENS1_30default_config_static_selectorELNS0_4arch9wavefront6targetE1EEEvSM_
		.amdhsa_group_segment_fixed_size 0
		.amdhsa_private_segment_fixed_size 0
		.amdhsa_kernarg_size 48
		.amdhsa_user_sgpr_count 6
		.amdhsa_user_sgpr_private_segment_buffer 1
		.amdhsa_user_sgpr_dispatch_ptr 0
		.amdhsa_user_sgpr_queue_ptr 0
		.amdhsa_user_sgpr_kernarg_segment_ptr 1
		.amdhsa_user_sgpr_dispatch_id 0
		.amdhsa_user_sgpr_flat_scratch_init 0
		.amdhsa_user_sgpr_private_segment_size 0
		.amdhsa_uses_dynamic_stack 0
		.amdhsa_system_sgpr_private_segment_wavefront_offset 0
		.amdhsa_system_sgpr_workgroup_id_x 1
		.amdhsa_system_sgpr_workgroup_id_y 0
		.amdhsa_system_sgpr_workgroup_id_z 0
		.amdhsa_system_sgpr_workgroup_info 0
		.amdhsa_system_vgpr_workitem_id 0
		.amdhsa_next_free_vgpr 1
		.amdhsa_next_free_sgpr 0
		.amdhsa_reserve_vcc 0
		.amdhsa_reserve_flat_scratch 0
		.amdhsa_float_round_mode_32 0
		.amdhsa_float_round_mode_16_64 0
		.amdhsa_float_denorm_mode_32 3
		.amdhsa_float_denorm_mode_16_64 3
		.amdhsa_dx10_clamp 1
		.amdhsa_ieee_mode 1
		.amdhsa_fp16_overflow 0
		.amdhsa_exception_fp_ieee_invalid_op 0
		.amdhsa_exception_fp_denorm_src 0
		.amdhsa_exception_fp_ieee_div_zero 0
		.amdhsa_exception_fp_ieee_overflow 0
		.amdhsa_exception_fp_ieee_underflow 0
		.amdhsa_exception_fp_ieee_inexact 0
		.amdhsa_exception_int_div_zero 0
	.end_amdhsa_kernel
	.section	.text._ZN7rocprim17ROCPRIM_400000_NS6detail17trampoline_kernelINS0_14default_configENS1_22reduce_config_selectorIlEEZNS1_11reduce_implILb1ES3_PlS7_lN6hipcub16HIPCUB_304000_NS6detail34convert_binary_result_type_wrapperINS9_3SumENS9_22TransformInputIteratorIb7NonZeroIdEPdlEElEEEE10hipError_tPvRmT1_T2_T3_mT4_P12ihipStream_tbEUlT_E1_NS1_11comp_targetILNS1_3genE3ELNS1_11target_archE908ELNS1_3gpuE7ELNS1_3repE0EEENS1_30default_config_static_selectorELNS0_4arch9wavefront6targetE1EEEvSM_,"axG",@progbits,_ZN7rocprim17ROCPRIM_400000_NS6detail17trampoline_kernelINS0_14default_configENS1_22reduce_config_selectorIlEEZNS1_11reduce_implILb1ES3_PlS7_lN6hipcub16HIPCUB_304000_NS6detail34convert_binary_result_type_wrapperINS9_3SumENS9_22TransformInputIteratorIb7NonZeroIdEPdlEElEEEE10hipError_tPvRmT1_T2_T3_mT4_P12ihipStream_tbEUlT_E1_NS1_11comp_targetILNS1_3genE3ELNS1_11target_archE908ELNS1_3gpuE7ELNS1_3repE0EEENS1_30default_config_static_selectorELNS0_4arch9wavefront6targetE1EEEvSM_,comdat
.Lfunc_end297:
	.size	_ZN7rocprim17ROCPRIM_400000_NS6detail17trampoline_kernelINS0_14default_configENS1_22reduce_config_selectorIlEEZNS1_11reduce_implILb1ES3_PlS7_lN6hipcub16HIPCUB_304000_NS6detail34convert_binary_result_type_wrapperINS9_3SumENS9_22TransformInputIteratorIb7NonZeroIdEPdlEElEEEE10hipError_tPvRmT1_T2_T3_mT4_P12ihipStream_tbEUlT_E1_NS1_11comp_targetILNS1_3genE3ELNS1_11target_archE908ELNS1_3gpuE7ELNS1_3repE0EEENS1_30default_config_static_selectorELNS0_4arch9wavefront6targetE1EEEvSM_, .Lfunc_end297-_ZN7rocprim17ROCPRIM_400000_NS6detail17trampoline_kernelINS0_14default_configENS1_22reduce_config_selectorIlEEZNS1_11reduce_implILb1ES3_PlS7_lN6hipcub16HIPCUB_304000_NS6detail34convert_binary_result_type_wrapperINS9_3SumENS9_22TransformInputIteratorIb7NonZeroIdEPdlEElEEEE10hipError_tPvRmT1_T2_T3_mT4_P12ihipStream_tbEUlT_E1_NS1_11comp_targetILNS1_3genE3ELNS1_11target_archE908ELNS1_3gpuE7ELNS1_3repE0EEENS1_30default_config_static_selectorELNS0_4arch9wavefront6targetE1EEEvSM_
                                        ; -- End function
	.set _ZN7rocprim17ROCPRIM_400000_NS6detail17trampoline_kernelINS0_14default_configENS1_22reduce_config_selectorIlEEZNS1_11reduce_implILb1ES3_PlS7_lN6hipcub16HIPCUB_304000_NS6detail34convert_binary_result_type_wrapperINS9_3SumENS9_22TransformInputIteratorIb7NonZeroIdEPdlEElEEEE10hipError_tPvRmT1_T2_T3_mT4_P12ihipStream_tbEUlT_E1_NS1_11comp_targetILNS1_3genE3ELNS1_11target_archE908ELNS1_3gpuE7ELNS1_3repE0EEENS1_30default_config_static_selectorELNS0_4arch9wavefront6targetE1EEEvSM_.num_vgpr, 0
	.set _ZN7rocprim17ROCPRIM_400000_NS6detail17trampoline_kernelINS0_14default_configENS1_22reduce_config_selectorIlEEZNS1_11reduce_implILb1ES3_PlS7_lN6hipcub16HIPCUB_304000_NS6detail34convert_binary_result_type_wrapperINS9_3SumENS9_22TransformInputIteratorIb7NonZeroIdEPdlEElEEEE10hipError_tPvRmT1_T2_T3_mT4_P12ihipStream_tbEUlT_E1_NS1_11comp_targetILNS1_3genE3ELNS1_11target_archE908ELNS1_3gpuE7ELNS1_3repE0EEENS1_30default_config_static_selectorELNS0_4arch9wavefront6targetE1EEEvSM_.num_agpr, 0
	.set _ZN7rocprim17ROCPRIM_400000_NS6detail17trampoline_kernelINS0_14default_configENS1_22reduce_config_selectorIlEEZNS1_11reduce_implILb1ES3_PlS7_lN6hipcub16HIPCUB_304000_NS6detail34convert_binary_result_type_wrapperINS9_3SumENS9_22TransformInputIteratorIb7NonZeroIdEPdlEElEEEE10hipError_tPvRmT1_T2_T3_mT4_P12ihipStream_tbEUlT_E1_NS1_11comp_targetILNS1_3genE3ELNS1_11target_archE908ELNS1_3gpuE7ELNS1_3repE0EEENS1_30default_config_static_selectorELNS0_4arch9wavefront6targetE1EEEvSM_.numbered_sgpr, 0
	.set _ZN7rocprim17ROCPRIM_400000_NS6detail17trampoline_kernelINS0_14default_configENS1_22reduce_config_selectorIlEEZNS1_11reduce_implILb1ES3_PlS7_lN6hipcub16HIPCUB_304000_NS6detail34convert_binary_result_type_wrapperINS9_3SumENS9_22TransformInputIteratorIb7NonZeroIdEPdlEElEEEE10hipError_tPvRmT1_T2_T3_mT4_P12ihipStream_tbEUlT_E1_NS1_11comp_targetILNS1_3genE3ELNS1_11target_archE908ELNS1_3gpuE7ELNS1_3repE0EEENS1_30default_config_static_selectorELNS0_4arch9wavefront6targetE1EEEvSM_.num_named_barrier, 0
	.set _ZN7rocprim17ROCPRIM_400000_NS6detail17trampoline_kernelINS0_14default_configENS1_22reduce_config_selectorIlEEZNS1_11reduce_implILb1ES3_PlS7_lN6hipcub16HIPCUB_304000_NS6detail34convert_binary_result_type_wrapperINS9_3SumENS9_22TransformInputIteratorIb7NonZeroIdEPdlEElEEEE10hipError_tPvRmT1_T2_T3_mT4_P12ihipStream_tbEUlT_E1_NS1_11comp_targetILNS1_3genE3ELNS1_11target_archE908ELNS1_3gpuE7ELNS1_3repE0EEENS1_30default_config_static_selectorELNS0_4arch9wavefront6targetE1EEEvSM_.private_seg_size, 0
	.set _ZN7rocprim17ROCPRIM_400000_NS6detail17trampoline_kernelINS0_14default_configENS1_22reduce_config_selectorIlEEZNS1_11reduce_implILb1ES3_PlS7_lN6hipcub16HIPCUB_304000_NS6detail34convert_binary_result_type_wrapperINS9_3SumENS9_22TransformInputIteratorIb7NonZeroIdEPdlEElEEEE10hipError_tPvRmT1_T2_T3_mT4_P12ihipStream_tbEUlT_E1_NS1_11comp_targetILNS1_3genE3ELNS1_11target_archE908ELNS1_3gpuE7ELNS1_3repE0EEENS1_30default_config_static_selectorELNS0_4arch9wavefront6targetE1EEEvSM_.uses_vcc, 0
	.set _ZN7rocprim17ROCPRIM_400000_NS6detail17trampoline_kernelINS0_14default_configENS1_22reduce_config_selectorIlEEZNS1_11reduce_implILb1ES3_PlS7_lN6hipcub16HIPCUB_304000_NS6detail34convert_binary_result_type_wrapperINS9_3SumENS9_22TransformInputIteratorIb7NonZeroIdEPdlEElEEEE10hipError_tPvRmT1_T2_T3_mT4_P12ihipStream_tbEUlT_E1_NS1_11comp_targetILNS1_3genE3ELNS1_11target_archE908ELNS1_3gpuE7ELNS1_3repE0EEENS1_30default_config_static_selectorELNS0_4arch9wavefront6targetE1EEEvSM_.uses_flat_scratch, 0
	.set _ZN7rocprim17ROCPRIM_400000_NS6detail17trampoline_kernelINS0_14default_configENS1_22reduce_config_selectorIlEEZNS1_11reduce_implILb1ES3_PlS7_lN6hipcub16HIPCUB_304000_NS6detail34convert_binary_result_type_wrapperINS9_3SumENS9_22TransformInputIteratorIb7NonZeroIdEPdlEElEEEE10hipError_tPvRmT1_T2_T3_mT4_P12ihipStream_tbEUlT_E1_NS1_11comp_targetILNS1_3genE3ELNS1_11target_archE908ELNS1_3gpuE7ELNS1_3repE0EEENS1_30default_config_static_selectorELNS0_4arch9wavefront6targetE1EEEvSM_.has_dyn_sized_stack, 0
	.set _ZN7rocprim17ROCPRIM_400000_NS6detail17trampoline_kernelINS0_14default_configENS1_22reduce_config_selectorIlEEZNS1_11reduce_implILb1ES3_PlS7_lN6hipcub16HIPCUB_304000_NS6detail34convert_binary_result_type_wrapperINS9_3SumENS9_22TransformInputIteratorIb7NonZeroIdEPdlEElEEEE10hipError_tPvRmT1_T2_T3_mT4_P12ihipStream_tbEUlT_E1_NS1_11comp_targetILNS1_3genE3ELNS1_11target_archE908ELNS1_3gpuE7ELNS1_3repE0EEENS1_30default_config_static_selectorELNS0_4arch9wavefront6targetE1EEEvSM_.has_recursion, 0
	.set _ZN7rocprim17ROCPRIM_400000_NS6detail17trampoline_kernelINS0_14default_configENS1_22reduce_config_selectorIlEEZNS1_11reduce_implILb1ES3_PlS7_lN6hipcub16HIPCUB_304000_NS6detail34convert_binary_result_type_wrapperINS9_3SumENS9_22TransformInputIteratorIb7NonZeroIdEPdlEElEEEE10hipError_tPvRmT1_T2_T3_mT4_P12ihipStream_tbEUlT_E1_NS1_11comp_targetILNS1_3genE3ELNS1_11target_archE908ELNS1_3gpuE7ELNS1_3repE0EEENS1_30default_config_static_selectorELNS0_4arch9wavefront6targetE1EEEvSM_.has_indirect_call, 0
	.section	.AMDGPU.csdata,"",@progbits
; Kernel info:
; codeLenInByte = 0
; TotalNumSgprs: 4
; NumVgprs: 0
; ScratchSize: 0
; MemoryBound: 0
; FloatMode: 240
; IeeeMode: 1
; LDSByteSize: 0 bytes/workgroup (compile time only)
; SGPRBlocks: 0
; VGPRBlocks: 0
; NumSGPRsForWavesPerEU: 4
; NumVGPRsForWavesPerEU: 1
; Occupancy: 10
; WaveLimiterHint : 0
; COMPUTE_PGM_RSRC2:SCRATCH_EN: 0
; COMPUTE_PGM_RSRC2:USER_SGPR: 6
; COMPUTE_PGM_RSRC2:TRAP_HANDLER: 0
; COMPUTE_PGM_RSRC2:TGID_X_EN: 1
; COMPUTE_PGM_RSRC2:TGID_Y_EN: 0
; COMPUTE_PGM_RSRC2:TGID_Z_EN: 0
; COMPUTE_PGM_RSRC2:TIDIG_COMP_CNT: 0
	.section	.text._ZN7rocprim17ROCPRIM_400000_NS6detail17trampoline_kernelINS0_14default_configENS1_22reduce_config_selectorIlEEZNS1_11reduce_implILb1ES3_PlS7_lN6hipcub16HIPCUB_304000_NS6detail34convert_binary_result_type_wrapperINS9_3SumENS9_22TransformInputIteratorIb7NonZeroIdEPdlEElEEEE10hipError_tPvRmT1_T2_T3_mT4_P12ihipStream_tbEUlT_E1_NS1_11comp_targetILNS1_3genE2ELNS1_11target_archE906ELNS1_3gpuE6ELNS1_3repE0EEENS1_30default_config_static_selectorELNS0_4arch9wavefront6targetE1EEEvSM_,"axG",@progbits,_ZN7rocprim17ROCPRIM_400000_NS6detail17trampoline_kernelINS0_14default_configENS1_22reduce_config_selectorIlEEZNS1_11reduce_implILb1ES3_PlS7_lN6hipcub16HIPCUB_304000_NS6detail34convert_binary_result_type_wrapperINS9_3SumENS9_22TransformInputIteratorIb7NonZeroIdEPdlEElEEEE10hipError_tPvRmT1_T2_T3_mT4_P12ihipStream_tbEUlT_E1_NS1_11comp_targetILNS1_3genE2ELNS1_11target_archE906ELNS1_3gpuE6ELNS1_3repE0EEENS1_30default_config_static_selectorELNS0_4arch9wavefront6targetE1EEEvSM_,comdat
	.protected	_ZN7rocprim17ROCPRIM_400000_NS6detail17trampoline_kernelINS0_14default_configENS1_22reduce_config_selectorIlEEZNS1_11reduce_implILb1ES3_PlS7_lN6hipcub16HIPCUB_304000_NS6detail34convert_binary_result_type_wrapperINS9_3SumENS9_22TransformInputIteratorIb7NonZeroIdEPdlEElEEEE10hipError_tPvRmT1_T2_T3_mT4_P12ihipStream_tbEUlT_E1_NS1_11comp_targetILNS1_3genE2ELNS1_11target_archE906ELNS1_3gpuE6ELNS1_3repE0EEENS1_30default_config_static_selectorELNS0_4arch9wavefront6targetE1EEEvSM_ ; -- Begin function _ZN7rocprim17ROCPRIM_400000_NS6detail17trampoline_kernelINS0_14default_configENS1_22reduce_config_selectorIlEEZNS1_11reduce_implILb1ES3_PlS7_lN6hipcub16HIPCUB_304000_NS6detail34convert_binary_result_type_wrapperINS9_3SumENS9_22TransformInputIteratorIb7NonZeroIdEPdlEElEEEE10hipError_tPvRmT1_T2_T3_mT4_P12ihipStream_tbEUlT_E1_NS1_11comp_targetILNS1_3genE2ELNS1_11target_archE906ELNS1_3gpuE6ELNS1_3repE0EEENS1_30default_config_static_selectorELNS0_4arch9wavefront6targetE1EEEvSM_
	.globl	_ZN7rocprim17ROCPRIM_400000_NS6detail17trampoline_kernelINS0_14default_configENS1_22reduce_config_selectorIlEEZNS1_11reduce_implILb1ES3_PlS7_lN6hipcub16HIPCUB_304000_NS6detail34convert_binary_result_type_wrapperINS9_3SumENS9_22TransformInputIteratorIb7NonZeroIdEPdlEElEEEE10hipError_tPvRmT1_T2_T3_mT4_P12ihipStream_tbEUlT_E1_NS1_11comp_targetILNS1_3genE2ELNS1_11target_archE906ELNS1_3gpuE6ELNS1_3repE0EEENS1_30default_config_static_selectorELNS0_4arch9wavefront6targetE1EEEvSM_
	.p2align	8
	.type	_ZN7rocprim17ROCPRIM_400000_NS6detail17trampoline_kernelINS0_14default_configENS1_22reduce_config_selectorIlEEZNS1_11reduce_implILb1ES3_PlS7_lN6hipcub16HIPCUB_304000_NS6detail34convert_binary_result_type_wrapperINS9_3SumENS9_22TransformInputIteratorIb7NonZeroIdEPdlEElEEEE10hipError_tPvRmT1_T2_T3_mT4_P12ihipStream_tbEUlT_E1_NS1_11comp_targetILNS1_3genE2ELNS1_11target_archE906ELNS1_3gpuE6ELNS1_3repE0EEENS1_30default_config_static_selectorELNS0_4arch9wavefront6targetE1EEEvSM_,@function
_ZN7rocprim17ROCPRIM_400000_NS6detail17trampoline_kernelINS0_14default_configENS1_22reduce_config_selectorIlEEZNS1_11reduce_implILb1ES3_PlS7_lN6hipcub16HIPCUB_304000_NS6detail34convert_binary_result_type_wrapperINS9_3SumENS9_22TransformInputIteratorIb7NonZeroIdEPdlEElEEEE10hipError_tPvRmT1_T2_T3_mT4_P12ihipStream_tbEUlT_E1_NS1_11comp_targetILNS1_3genE2ELNS1_11target_archE906ELNS1_3gpuE6ELNS1_3repE0EEENS1_30default_config_static_selectorELNS0_4arch9wavefront6targetE1EEEvSM_: ; @_ZN7rocprim17ROCPRIM_400000_NS6detail17trampoline_kernelINS0_14default_configENS1_22reduce_config_selectorIlEEZNS1_11reduce_implILb1ES3_PlS7_lN6hipcub16HIPCUB_304000_NS6detail34convert_binary_result_type_wrapperINS9_3SumENS9_22TransformInputIteratorIb7NonZeroIdEPdlEElEEEE10hipError_tPvRmT1_T2_T3_mT4_P12ihipStream_tbEUlT_E1_NS1_11comp_targetILNS1_3genE2ELNS1_11target_archE906ELNS1_3gpuE6ELNS1_3repE0EEENS1_30default_config_static_selectorELNS0_4arch9wavefront6targetE1EEEvSM_
; %bb.0:
	s_load_dword s26, s[4:5], 0x4
	s_load_dwordx8 s[16:23], s[4:5], 0x8
	s_waitcnt lgkmcnt(0)
	s_cmp_lt_i32 s26, 4
	s_cbranch_scc1 .LBB298_10
; %bb.1:
	s_cmp_gt_i32 s26, 7
	s_cbranch_scc0 .LBB298_11
; %bb.2:
	s_cmp_gt_i32 s26, 15
	s_cbranch_scc0 .LBB298_12
; %bb.3:
	s_mov_b64 s[0:1], 0
	s_cmp_eq_u32 s26, 16
	s_mov_b64 s[2:3], 0
                                        ; implicit-def: $vgpr1_vgpr2
                                        ; implicit-def: $vgpr3_vgpr4
	s_cbranch_scc0 .LBB298_13
; %bb.4:
	s_mov_b32 s7, 0
	s_lshl_b32 s4, s6, 12
	s_mov_b32 s5, s7
	s_lshr_b64 s[8:9], s[18:19], 12
	s_lshl_b64 s[2:3], s[4:5], 3
	s_add_u32 s2, s16, s2
	s_addc_u32 s3, s17, s3
	s_cmp_lg_u64 s[8:9], s[6:7]
	s_cbranch_scc0 .LBB298_21
; %bb.5:
	v_lshlrev_b32_e32 v5, 3, v0
	global_load_dwordx2 v[1:2], v5, s[2:3]
	global_load_dwordx2 v[3:4], v5, s[2:3] offset:2048
	v_mov_b32_e32 v6, s3
	v_add_co_u32_e32 v29, vcc, s2, v5
	v_addc_co_u32_e32 v33, vcc, 0, v6, vcc
	v_add_co_u32_e32 v5, vcc, 0x1000, v29
	v_addc_co_u32_e32 v6, vcc, 0, v33, vcc
	;; [unrolled: 2-line block ×4, first 2 shown]
	global_load_dwordx2 v[7:8], v[5:6], off
	global_load_dwordx2 v[11:12], v[9:10], off
	;; [unrolled: 1-line block ×3, first 2 shown]
	v_add_co_u32_e32 v17, vcc, 0x4000, v29
	v_addc_co_u32_e32 v18, vcc, 0, v33, vcc
	global_load_dwordx2 v[19:20], v[17:18], off
	v_add_co_u32_e32 v21, vcc, 0x5000, v29
	global_load_dwordx2 v[5:6], v[5:6], off offset:2048
	v_addc_co_u32_e32 v22, vcc, 0, v33, vcc
	global_load_dwordx2 v[9:10], v[9:10], off offset:2048
	v_add_co_u32_e32 v23, vcc, 0x6000, v29
	global_load_dwordx2 v[13:14], v[13:14], off offset:2048
	v_addc_co_u32_e32 v24, vcc, 0, v33, vcc
	global_load_dwordx2 v[17:18], v[17:18], off offset:2048
	s_nop 0
	global_load_dwordx2 v[25:26], v[21:22], off
	global_load_dwordx2 v[27:28], v[21:22], off offset:2048
	v_add_co_u32_e32 v21, vcc, 0x7000, v29
	global_load_dwordx2 v[29:30], v[23:24], off
	global_load_dwordx2 v[31:32], v[23:24], off offset:2048
	v_addc_co_u32_e32 v22, vcc, 0, v33, vcc
	s_waitcnt vmcnt(12)
	v_add_co_u32_e32 v23, vcc, v3, v1
	v_addc_co_u32_e32 v24, vcc, v4, v2, vcc
	global_load_dwordx2 v[1:2], v[21:22], off
	global_load_dwordx2 v[3:4], v[21:22], off offset:2048
	s_waitcnt vmcnt(13)
	v_add_co_u32_e32 v7, vcc, v23, v7
	v_addc_co_u32_e32 v8, vcc, v24, v8, vcc
	s_waitcnt vmcnt(9)
	v_add_co_u32_e32 v5, vcc, v7, v5
	v_addc_co_u32_e32 v6, vcc, v8, v6, vcc
	v_add_co_u32_e32 v5, vcc, v5, v11
	v_addc_co_u32_e32 v6, vcc, v6, v12, vcc
	s_waitcnt vmcnt(8)
	v_add_co_u32_e32 v5, vcc, v5, v9
	v_addc_co_u32_e32 v6, vcc, v6, v10, vcc
	;; [unrolled: 5-line block ×4, first 2 shown]
	s_waitcnt vmcnt(5)
	v_add_co_u32_e32 v5, vcc, v5, v25
	v_addc_co_u32_e32 v6, vcc, v6, v26, vcc
	s_waitcnt vmcnt(4)
	v_add_co_u32_e32 v5, vcc, v5, v27
	v_addc_co_u32_e32 v6, vcc, v6, v28, vcc
	;; [unrolled: 3-line block ×6, first 2 shown]
	s_nop 0
	v_mov_b32_dpp v4, v1 quad_perm:[1,0,3,2] row_mask:0xf bank_mask:0xf bound_ctrl:1
	v_add_co_u32_e32 v1, vcc, v1, v4
	v_mov_b32_dpp v5, v2 quad_perm:[1,0,3,2] row_mask:0xf bank_mask:0xf bound_ctrl:1
	v_addc_co_u32_e32 v2, vcc, 0, v2, vcc
	v_add_co_u32_e32 v4, vcc, 0, v1
	v_addc_co_u32_e32 v2, vcc, v5, v2, vcc
	v_mov_b32_dpp v1, v1 quad_perm:[2,3,0,1] row_mask:0xf bank_mask:0xf bound_ctrl:1
	v_add_co_u32_e32 v1, vcc, v4, v1
	v_mov_b32_dpp v5, v2 quad_perm:[2,3,0,1] row_mask:0xf bank_mask:0xf bound_ctrl:1
	v_addc_co_u32_e32 v2, vcc, 0, v2, vcc
	v_add_co_u32_e32 v4, vcc, 0, v1
	v_addc_co_u32_e32 v2, vcc, v2, v5, vcc
	v_mov_b32_dpp v1, v1 row_ror:4 row_mask:0xf bank_mask:0xf bound_ctrl:1
	v_add_co_u32_e32 v1, vcc, v4, v1
	v_mov_b32_dpp v5, v2 row_ror:4 row_mask:0xf bank_mask:0xf bound_ctrl:1
	v_addc_co_u32_e32 v2, vcc, 0, v2, vcc
	v_add_co_u32_e32 v4, vcc, 0, v1
	v_addc_co_u32_e32 v2, vcc, v2, v5, vcc
	v_mov_b32_dpp v1, v1 row_ror:8 row_mask:0xf bank_mask:0xf bound_ctrl:1
	v_add_co_u32_e32 v1, vcc, v4, v1
	v_mov_b32_dpp v5, v2 row_ror:8 row_mask:0xf bank_mask:0xf bound_ctrl:1
	v_addc_co_u32_e32 v2, vcc, 0, v2, vcc
	v_add_co_u32_e32 v4, vcc, 0, v1
	v_addc_co_u32_e32 v2, vcc, v2, v5, vcc
	v_mov_b32_dpp v1, v1 row_bcast:15 row_mask:0xf bank_mask:0xf bound_ctrl:1
	v_add_co_u32_e32 v1, vcc, v4, v1
	v_mov_b32_dpp v5, v2 row_bcast:15 row_mask:0xf bank_mask:0xf bound_ctrl:1
	v_addc_co_u32_e32 v2, vcc, 0, v2, vcc
	v_add_co_u32_e32 v4, vcc, 0, v1
	v_addc_co_u32_e32 v2, vcc, v2, v5, vcc
	v_mov_b32_dpp v1, v1 row_bcast:31 row_mask:0xf bank_mask:0xf bound_ctrl:1
	v_mbcnt_lo_u32_b32 v3, -1, 0
	v_add_co_u32_e32 v1, vcc, v4, v1
	v_mbcnt_hi_u32_b32 v3, -1, v3
	v_addc_co_u32_e32 v4, vcc, 0, v2, vcc
	v_cmp_eq_u32_e32 vcc, 0, v3
	s_nop 0
	v_add_u32_dpp v2, v2, v4 row_bcast:31 row_mask:0xf bank_mask:0xf bound_ctrl:1
	v_lshlrev_b32_e32 v4, 2, v3
	v_or_b32_e32 v5, 0xfc, v4
	ds_bpermute_b32 v1, v5, v1
	ds_bpermute_b32 v2, v5, v2
	s_and_saveexec_b64 s[8:9], vcc
	s_cbranch_execz .LBB298_7
; %bb.6:
	v_lshrrev_b32_e32 v5, 3, v0
	v_and_b32_e32 v5, 24, v5
	s_waitcnt lgkmcnt(0)
	ds_write_b64 v5, v[1:2]
.LBB298_7:
	s_or_b64 exec, exec, s[8:9]
	v_cmp_gt_u32_e32 vcc, 64, v0
	s_waitcnt lgkmcnt(0)
	s_barrier
	s_and_saveexec_b64 s[8:9], vcc
	s_cbranch_execz .LBB298_9
; %bb.8:
	v_and_b32_e32 v5, 3, v3
	v_lshlrev_b32_e32 v1, 3, v5
	ds_read_b64 v[1:2], v1
	v_cmp_ne_u32_e32 vcc, 3, v5
	v_addc_co_u32_e32 v3, vcc, 0, v3, vcc
	v_lshlrev_b32_e32 v3, 2, v3
	s_waitcnt lgkmcnt(0)
	ds_bpermute_b32 v5, v3, v1
	ds_bpermute_b32 v3, v3, v2
	v_or_b32_e32 v4, 8, v4
	s_waitcnt lgkmcnt(1)
	v_add_co_u32_e32 v1, vcc, v1, v5
	v_addc_co_u32_e32 v2, vcc, 0, v2, vcc
	ds_bpermute_b32 v5, v4, v1
	v_add_co_u32_e32 v1, vcc, 0, v1
	s_waitcnt lgkmcnt(1)
	v_addc_co_u32_e32 v2, vcc, v3, v2, vcc
	ds_bpermute_b32 v3, v4, v2
	s_waitcnt lgkmcnt(1)
	v_add_co_u32_e32 v1, vcc, v1, v5
	v_addc_co_u32_e32 v2, vcc, 0, v2, vcc
	v_add_co_u32_e32 v1, vcc, 0, v1
	s_waitcnt lgkmcnt(0)
	v_addc_co_u32_e32 v2, vcc, v2, v3, vcc
.LBB298_9:
	s_or_b64 exec, exec, s[8:9]
	s_mov_b64 s[8:9], 0
	s_branch .LBB298_22
.LBB298_10:
	s_mov_b64 s[2:3], 0
                                        ; implicit-def: $vgpr1_vgpr2
                                        ; implicit-def: $vgpr3_vgpr4
	s_cbranch_execnz .LBB298_145
	s_branch .LBB298_206
.LBB298_11:
	s_mov_b64 s[2:3], 0
                                        ; implicit-def: $vgpr1_vgpr2
                                        ; implicit-def: $vgpr3_vgpr4
	s_cbranch_execnz .LBB298_110
	s_branch .LBB298_144
.LBB298_12:
	s_mov_b64 s[0:1], -1
	s_mov_b64 s[2:3], 0
                                        ; implicit-def: $vgpr1_vgpr2
                                        ; implicit-def: $vgpr3_vgpr4
.LBB298_13:
	s_and_b64 vcc, exec, s[0:1]
	s_cbranch_vccz .LBB298_109
.LBB298_14:
	s_cmp_eq_u32 s26, 8
                                        ; implicit-def: $vgpr1_vgpr2
                                        ; implicit-def: $vgpr3_vgpr4
	s_cbranch_scc0 .LBB298_109
; %bb.15:
	s_mov_b32 s7, 0
	s_lshl_b32 s0, s6, 11
	s_mov_b32 s1, s7
	s_lshr_b64 s[2:3], s[18:19], 11
	s_lshl_b64 s[4:5], s[0:1], 3
	s_add_u32 s14, s16, s4
	s_addc_u32 s15, s17, s5
	s_cmp_lg_u64 s[2:3], s[6:7]
	s_cbranch_scc0 .LBB298_73
; %bb.16:
	v_lshlrev_b32_e32 v3, 3, v0
	v_mov_b32_e32 v1, s15
	v_add_co_u32_e32 v16, vcc, s14, v3
	v_addc_co_u32_e32 v17, vcc, 0, v1, vcc
	global_load_dwordx2 v[1:2], v3, s[14:15]
	global_load_dwordx2 v[4:5], v3, s[14:15] offset:2048
	v_add_co_u32_e32 v6, vcc, 0x1000, v16
	v_addc_co_u32_e32 v7, vcc, 0, v17, vcc
	global_load_dwordx2 v[8:9], v[6:7], off
	global_load_dwordx2 v[10:11], v[6:7], off offset:2048
	v_add_co_u32_e32 v6, vcc, 0x2000, v16
	v_addc_co_u32_e32 v7, vcc, 0, v17, vcc
	global_load_dwordx2 v[12:13], v[6:7], off
	global_load_dwordx2 v[14:15], v[6:7], off offset:2048
	;; [unrolled: 4-line block ×3, first 2 shown]
	v_mbcnt_lo_u32_b32 v3, -1, 0
	v_mbcnt_hi_u32_b32 v3, -1, v3
	s_waitcnt vmcnt(6)
	v_add_co_u32_e32 v1, vcc, v4, v1
	v_addc_co_u32_e32 v2, vcc, v5, v2, vcc
	s_waitcnt vmcnt(5)
	v_add_co_u32_e32 v1, vcc, v1, v8
	v_addc_co_u32_e32 v2, vcc, v2, v9, vcc
	;; [unrolled: 3-line block ×7, first 2 shown]
	s_nop 0
	v_mov_b32_dpp v4, v1 quad_perm:[1,0,3,2] row_mask:0xf bank_mask:0xf bound_ctrl:1
	v_add_co_u32_e32 v1, vcc, v1, v4
	v_mov_b32_dpp v5, v2 quad_perm:[1,0,3,2] row_mask:0xf bank_mask:0xf bound_ctrl:1
	v_addc_co_u32_e32 v2, vcc, 0, v2, vcc
	v_add_co_u32_e32 v4, vcc, 0, v1
	v_addc_co_u32_e32 v2, vcc, v5, v2, vcc
	v_mov_b32_dpp v1, v1 quad_perm:[2,3,0,1] row_mask:0xf bank_mask:0xf bound_ctrl:1
	v_add_co_u32_e32 v1, vcc, v4, v1
	v_mov_b32_dpp v5, v2 quad_perm:[2,3,0,1] row_mask:0xf bank_mask:0xf bound_ctrl:1
	v_addc_co_u32_e32 v2, vcc, 0, v2, vcc
	v_add_co_u32_e32 v4, vcc, 0, v1
	v_addc_co_u32_e32 v2, vcc, v2, v5, vcc
	v_mov_b32_dpp v1, v1 row_ror:4 row_mask:0xf bank_mask:0xf bound_ctrl:1
	v_add_co_u32_e32 v1, vcc, v4, v1
	v_mov_b32_dpp v5, v2 row_ror:4 row_mask:0xf bank_mask:0xf bound_ctrl:1
	v_addc_co_u32_e32 v2, vcc, 0, v2, vcc
	v_add_co_u32_e32 v4, vcc, 0, v1
	v_addc_co_u32_e32 v2, vcc, v2, v5, vcc
	v_mov_b32_dpp v1, v1 row_ror:8 row_mask:0xf bank_mask:0xf bound_ctrl:1
	v_add_co_u32_e32 v1, vcc, v4, v1
	v_mov_b32_dpp v5, v2 row_ror:8 row_mask:0xf bank_mask:0xf bound_ctrl:1
	v_addc_co_u32_e32 v2, vcc, 0, v2, vcc
	v_add_co_u32_e32 v4, vcc, 0, v1
	v_addc_co_u32_e32 v2, vcc, v2, v5, vcc
	v_mov_b32_dpp v1, v1 row_bcast:15 row_mask:0xf bank_mask:0xf bound_ctrl:1
	v_add_co_u32_e32 v1, vcc, v4, v1
	v_mov_b32_dpp v5, v2 row_bcast:15 row_mask:0xf bank_mask:0xf bound_ctrl:1
	v_addc_co_u32_e32 v2, vcc, 0, v2, vcc
	v_add_co_u32_e32 v4, vcc, 0, v1
	v_addc_co_u32_e32 v2, vcc, v2, v5, vcc
	v_mov_b32_dpp v1, v1 row_bcast:31 row_mask:0xf bank_mask:0xf bound_ctrl:1
	v_add_co_u32_e32 v1, vcc, v4, v1
	v_addc_co_u32_e32 v4, vcc, 0, v2, vcc
	v_cmp_eq_u32_e32 vcc, 0, v3
	s_nop 0
	v_add_u32_dpp v2, v2, v4 row_bcast:31 row_mask:0xf bank_mask:0xf bound_ctrl:1
	v_lshlrev_b32_e32 v4, 2, v3
	v_or_b32_e32 v5, 0xfc, v4
	ds_bpermute_b32 v1, v5, v1
	ds_bpermute_b32 v2, v5, v2
	s_and_saveexec_b64 s[2:3], vcc
	s_cbranch_execz .LBB298_18
; %bb.17:
	v_lshrrev_b32_e32 v5, 3, v0
	v_and_b32_e32 v5, 24, v5
	s_waitcnt lgkmcnt(0)
	ds_write_b64 v5, v[1:2] offset:128
.LBB298_18:
	s_or_b64 exec, exec, s[2:3]
	v_cmp_gt_u32_e32 vcc, 64, v0
	s_waitcnt lgkmcnt(0)
	s_barrier
	s_and_saveexec_b64 s[2:3], vcc
	s_cbranch_execz .LBB298_20
; %bb.19:
	v_and_b32_e32 v5, 3, v3
	v_lshlrev_b32_e32 v1, 3, v5
	ds_read_b64 v[1:2], v1 offset:128
	v_cmp_ne_u32_e32 vcc, 3, v5
	v_addc_co_u32_e32 v3, vcc, 0, v3, vcc
	v_lshlrev_b32_e32 v3, 2, v3
	s_waitcnt lgkmcnt(0)
	ds_bpermute_b32 v5, v3, v1
	ds_bpermute_b32 v3, v3, v2
	v_or_b32_e32 v4, 8, v4
	s_waitcnt lgkmcnt(1)
	v_add_co_u32_e32 v1, vcc, v1, v5
	v_addc_co_u32_e32 v2, vcc, 0, v2, vcc
	ds_bpermute_b32 v5, v4, v1
	v_add_co_u32_e32 v1, vcc, 0, v1
	s_waitcnt lgkmcnt(1)
	v_addc_co_u32_e32 v2, vcc, v3, v2, vcc
	ds_bpermute_b32 v3, v4, v2
	s_waitcnt lgkmcnt(1)
	v_add_co_u32_e32 v1, vcc, v1, v5
	v_addc_co_u32_e32 v2, vcc, 0, v2, vcc
	v_add_co_u32_e32 v1, vcc, 0, v1
	s_waitcnt lgkmcnt(0)
	v_addc_co_u32_e32 v2, vcc, v2, v3, vcc
.LBB298_20:
	s_or_b64 exec, exec, s[2:3]
	s_mov_b64 s[2:3], 0
	s_branch .LBB298_74
.LBB298_21:
	s_mov_b64 s[8:9], -1
                                        ; implicit-def: $vgpr1_vgpr2
.LBB298_22:
	s_and_b64 vcc, exec, s[8:9]
	s_cbranch_vccz .LBB298_72
; %bb.23:
	s_sub_i32 s8, s18, s4
	v_cmp_gt_u32_e32 vcc, s8, v0
                                        ; implicit-def: $vgpr1_vgpr2
	s_and_saveexec_b64 s[4:5], vcc
	s_cbranch_execz .LBB298_25
; %bb.24:
	v_lshlrev_b32_e32 v1, 3, v0
	global_load_dwordx2 v[1:2], v1, s[2:3]
.LBB298_25:
	s_or_b64 exec, exec, s[4:5]
	v_or_b32_e32 v7, 0x100, v0
	v_mov_b32_e32 v3, 0
	v_mov_b32_e32 v5, 0
	;; [unrolled: 1-line block ×4, first 2 shown]
	v_cmp_gt_u32_e32 vcc, s8, v7
	s_and_saveexec_b64 s[4:5], vcc
	s_cbranch_execz .LBB298_27
; %bb.26:
	v_lshlrev_b32_e32 v5, 3, v0
	global_load_dwordx2 v[5:6], v5, s[2:3] offset:2048
.LBB298_27:
	s_or_b64 exec, exec, s[4:5]
	v_or_b32_e32 v7, 0x200, v0
	v_cmp_gt_u32_e32 vcc, s8, v7
	s_and_saveexec_b64 s[4:5], vcc
	s_cbranch_execz .LBB298_29
; %bb.28:
	v_lshlrev_b32_e32 v3, 3, v7
	global_load_dwordx2 v[3:4], v3, s[2:3]
.LBB298_29:
	s_or_b64 exec, exec, s[4:5]
	v_or_b32_e32 v11, 0x300, v0
	v_mov_b32_e32 v7, 0
	v_mov_b32_e32 v9, 0
	v_mov_b32_e32 v8, 0
	v_mov_b32_e32 v10, 0
	v_cmp_gt_u32_e32 vcc, s8, v11
	s_and_saveexec_b64 s[4:5], vcc
	s_cbranch_execz .LBB298_31
; %bb.30:
	v_lshlrev_b32_e32 v9, 3, v11
	global_load_dwordx2 v[9:10], v9, s[2:3]
.LBB298_31:
	s_or_b64 exec, exec, s[4:5]
	v_or_b32_e32 v11, 0x400, v0
	v_cmp_gt_u32_e32 vcc, s8, v11
	s_and_saveexec_b64 s[4:5], vcc
	s_cbranch_execz .LBB298_33
; %bb.32:
	v_lshlrev_b32_e32 v7, 3, v11
	global_load_dwordx2 v[7:8], v7, s[2:3]
.LBB298_33:
	s_or_b64 exec, exec, s[4:5]
	v_or_b32_e32 v15, 0x500, v0
	v_mov_b32_e32 v11, 0
	v_mov_b32_e32 v13, 0
	v_mov_b32_e32 v12, 0
	v_mov_b32_e32 v14, 0
	v_cmp_gt_u32_e32 vcc, s8, v15
	s_and_saveexec_b64 s[4:5], vcc
	s_cbranch_execz .LBB298_35
; %bb.34:
	v_lshlrev_b32_e32 v13, 3, v15
	global_load_dwordx2 v[13:14], v13, s[2:3]
.LBB298_35:
	;; [unrolled: 22-line block ×6, first 2 shown]
	s_or_b64 exec, exec, s[4:5]
	v_or_b32_e32 v31, 0xe00, v0
	v_cmp_gt_u32_e32 vcc, s8, v31
	s_and_saveexec_b64 s[4:5], vcc
	s_cbranch_execz .LBB298_53
; %bb.52:
	v_lshlrev_b32_e32 v27, 3, v31
	global_load_dwordx2 v[27:28], v27, s[2:3]
.LBB298_53:
	s_or_b64 exec, exec, s[4:5]
	v_or_b32_e32 v33, 0xf00, v0
	v_mov_b32_e32 v31, 0
	v_mov_b32_e32 v32, 0
	v_cmp_gt_u32_e32 vcc, s8, v33
	s_and_saveexec_b64 s[4:5], vcc
	s_cbranch_execz .LBB298_55
; %bb.54:
	v_lshlrev_b32_e32 v31, 3, v33
	global_load_dwordx2 v[31:32], v31, s[2:3]
.LBB298_55:
	s_or_b64 exec, exec, s[4:5]
	s_waitcnt vmcnt(0)
	v_add_co_u32_e32 v1, vcc, v5, v1
	v_addc_co_u32_e32 v2, vcc, v6, v2, vcc
	v_add_co_u32_e32 v1, vcc, v1, v3
	v_addc_co_u32_e32 v2, vcc, v2, v4, vcc
	;; [unrolled: 2-line block ×14, first 2 shown]
	v_mbcnt_lo_u32_b32 v3, -1, 0
	v_add_co_u32_e32 v1, vcc, v1, v31
	v_mbcnt_hi_u32_b32 v3, -1, v3
	v_addc_co_u32_e32 v2, vcc, v2, v32, vcc
	v_and_b32_e32 v4, 63, v3
	v_cmp_ne_u32_e32 vcc, 63, v4
	v_addc_co_u32_e32 v6, vcc, 0, v3, vcc
	v_lshlrev_b32_e32 v6, 2, v6
	ds_bpermute_b32 v8, v6, v1
	ds_bpermute_b32 v7, v6, v2
	s_min_u32 s4, s8, 0x100
	v_and_b32_e32 v5, 0xc0, v0
	v_sub_u32_e64 v5, s4, v5 clamp
	v_add_u32_e32 v6, 1, v4
	v_cmp_lt_u32_e32 vcc, v6, v5
	v_mov_b32_e32 v6, v1
	s_and_saveexec_b64 s[2:3], vcc
	s_cbranch_execz .LBB298_57
; %bb.56:
	s_waitcnt lgkmcnt(1)
	v_add_co_u32_e32 v6, vcc, v1, v8
	v_addc_co_u32_e32 v2, vcc, 0, v2, vcc
	v_add_co_u32_e32 v1, vcc, 0, v6
	s_waitcnt lgkmcnt(0)
	v_addc_co_u32_e32 v2, vcc, v7, v2, vcc
.LBB298_57:
	s_or_b64 exec, exec, s[2:3]
	v_cmp_gt_u32_e32 vcc, 62, v4
	s_waitcnt lgkmcnt(0)
	v_cndmask_b32_e64 v7, 0, 2, vcc
	v_add_lshl_u32 v7, v7, v3, 2
	ds_bpermute_b32 v8, v7, v6
	ds_bpermute_b32 v7, v7, v2
	v_add_u32_e32 v9, 2, v4
	v_cmp_lt_u32_e32 vcc, v9, v5
	s_and_saveexec_b64 s[2:3], vcc
	s_cbranch_execz .LBB298_59
; %bb.58:
	s_waitcnt lgkmcnt(1)
	v_add_co_u32_e32 v6, vcc, v1, v8
	v_addc_co_u32_e32 v2, vcc, 0, v2, vcc
	v_add_co_u32_e32 v1, vcc, 0, v6
	s_waitcnt lgkmcnt(0)
	v_addc_co_u32_e32 v2, vcc, v7, v2, vcc
.LBB298_59:
	s_or_b64 exec, exec, s[2:3]
	v_cmp_gt_u32_e32 vcc, 60, v4
	s_waitcnt lgkmcnt(0)
	v_cndmask_b32_e64 v7, 0, 4, vcc
	v_add_lshl_u32 v7, v7, v3, 2
	ds_bpermute_b32 v8, v7, v6
	ds_bpermute_b32 v7, v7, v2
	v_add_u32_e32 v9, 4, v4
	v_cmp_lt_u32_e32 vcc, v9, v5
	;; [unrolled: 19-line block ×4, first 2 shown]
	s_and_saveexec_b64 s[2:3], vcc
	s_cbranch_execz .LBB298_65
; %bb.64:
	s_waitcnt lgkmcnt(1)
	v_add_co_u32_e32 v6, vcc, v1, v8
	v_addc_co_u32_e32 v2, vcc, 0, v2, vcc
	v_add_co_u32_e32 v1, vcc, 0, v6
	s_waitcnt lgkmcnt(0)
	v_addc_co_u32_e32 v2, vcc, v7, v2, vcc
.LBB298_65:
	s_or_b64 exec, exec, s[2:3]
	s_waitcnt lgkmcnt(0)
	v_lshlrev_b32_e32 v7, 2, v3
	v_or_b32_e32 v8, 0x80, v7
	ds_bpermute_b32 v6, v8, v6
	ds_bpermute_b32 v8, v8, v2
	v_add_u32_e32 v4, 32, v4
	s_waitcnt lgkmcnt(1)
	v_add_co_u32_e32 v6, vcc, v1, v6
	v_addc_co_u32_e32 v9, vcc, 0, v2, vcc
	v_add_co_u32_e32 v6, vcc, 0, v6
	s_waitcnt lgkmcnt(0)
	v_addc_co_u32_e32 v8, vcc, v9, v8, vcc
	v_cmp_lt_u32_e32 vcc, v4, v5
	v_cndmask_b32_e32 v2, v2, v8, vcc
	v_cndmask_b32_e32 v1, v1, v6, vcc
	v_cmp_eq_u32_e32 vcc, 0, v3
	s_and_saveexec_b64 s[2:3], vcc
; %bb.66:
	v_lshrrev_b32_e32 v4, 3, v0
	v_and_b32_e32 v4, 24, v4
	ds_write_b64 v4, v[1:2] offset:160
; %bb.67:
	s_or_b64 exec, exec, s[2:3]
	v_cmp_gt_u32_e32 vcc, 4, v0
	s_waitcnt lgkmcnt(0)
	s_barrier
	s_and_saveexec_b64 s[2:3], vcc
	s_cbranch_execz .LBB298_71
; %bb.68:
	v_lshlrev_b32_e32 v1, 3, v3
	ds_read_b64 v[1:2], v1 offset:160
	v_and_b32_e32 v4, 3, v3
	v_cmp_ne_u32_e32 vcc, 3, v4
	v_addc_co_u32_e32 v3, vcc, 0, v3, vcc
	v_lshlrev_b32_e32 v3, 2, v3
	s_waitcnt lgkmcnt(0)
	ds_bpermute_b32 v6, v3, v1
	ds_bpermute_b32 v5, v3, v2
	s_add_i32 s4, s4, 63
	s_lshr_b32 s8, s4, 6
	v_add_u32_e32 v3, 1, v4
	v_cmp_gt_u32_e32 vcc, s8, v3
	v_mov_b32_e32 v3, v1
	s_and_saveexec_b64 s[4:5], vcc
	s_cbranch_execz .LBB298_70
; %bb.69:
	s_waitcnt lgkmcnt(1)
	v_add_co_u32_e32 v3, vcc, v1, v6
	v_addc_co_u32_e32 v2, vcc, 0, v2, vcc
	v_add_co_u32_e32 v1, vcc, 0, v3
	s_waitcnt lgkmcnt(0)
	v_addc_co_u32_e32 v2, vcc, v5, v2, vcc
.LBB298_70:
	s_or_b64 exec, exec, s[4:5]
	s_waitcnt lgkmcnt(0)
	v_or_b32_e32 v5, 8, v7
	ds_bpermute_b32 v3, v5, v3
	ds_bpermute_b32 v5, v5, v2
	v_add_u32_e32 v4, 2, v4
	s_waitcnt lgkmcnt(1)
	v_add_co_u32_e32 v3, vcc, v1, v3
	v_addc_co_u32_e32 v6, vcc, 0, v2, vcc
	v_add_co_u32_e32 v3, vcc, 0, v3
	s_waitcnt lgkmcnt(0)
	v_addc_co_u32_e32 v5, vcc, v6, v5, vcc
	v_cmp_gt_u32_e32 vcc, s8, v4
	v_cndmask_b32_e32 v2, v2, v5, vcc
	v_cndmask_b32_e32 v1, v1, v3, vcc
.LBB298_71:
	s_or_b64 exec, exec, s[2:3]
.LBB298_72:
	v_mov_b32_e32 v3, s6
	v_cmp_eq_u32_e64 s[2:3], 0, v0
	v_mov_b32_e32 v4, s7
	s_and_b64 vcc, exec, s[0:1]
	s_cbranch_vccnz .LBB298_14
	s_branch .LBB298_109
.LBB298_73:
	s_mov_b64 s[2:3], -1
                                        ; implicit-def: $vgpr1_vgpr2
.LBB298_74:
	s_and_b64 vcc, exec, s[2:3]
	s_cbranch_vccz .LBB298_108
; %bb.75:
	s_sub_i32 s27, s18, s0
	v_mov_b32_e32 v1, 0
	v_cmp_gt_u32_e32 vcc, s27, v0
	v_mov_b32_e32 v2, v1
	v_mov_b32_e32 v3, v1
	;; [unrolled: 1-line block ×15, first 2 shown]
	s_and_saveexec_b64 s[0:1], vcc
	s_cbranch_execz .LBB298_77
; %bb.76:
	v_mov_b32_e32 v3, v1
	v_mov_b32_e32 v4, v1
	;; [unrolled: 1-line block ×14, first 2 shown]
	v_lshlrev_b32_e32 v1, 3, v0
	global_load_dwordx2 v[1:2], v1, s[14:15]
.LBB298_77:
	s_or_b64 exec, exec, s[0:1]
	v_or_b32_e32 v17, 0x100, v0
	v_cmp_gt_u32_e32 vcc, s27, v17
	s_and_saveexec_b64 s[0:1], vcc
	s_cbranch_execz .LBB298_79
; %bb.78:
	v_lshlrev_b32_e32 v3, 3, v0
	global_load_dwordx2 v[3:4], v3, s[14:15] offset:2048
.LBB298_79:
	s_or_b64 exec, exec, s[0:1]
	v_or_b32_e32 v17, 0x200, v0
	v_cmp_gt_u32_e64 s[0:1], s27, v17
	s_and_saveexec_b64 s[2:3], s[0:1]
	s_cbranch_execz .LBB298_81
; %bb.80:
	v_lshlrev_b32_e32 v5, 3, v17
	global_load_dwordx2 v[5:6], v5, s[14:15]
.LBB298_81:
	s_or_b64 exec, exec, s[2:3]
	v_or_b32_e32 v17, 0x300, v0
	v_cmp_gt_u32_e64 s[2:3], s27, v17
	s_and_saveexec_b64 s[4:5], s[2:3]
	s_cbranch_execz .LBB298_83
; %bb.82:
	v_lshlrev_b32_e32 v7, 3, v17
	global_load_dwordx2 v[7:8], v7, s[14:15]
.LBB298_83:
	;; [unrolled: 9-line block ×6, first 2 shown]
	s_or_b64 exec, exec, s[24:25]
	s_waitcnt vmcnt(0)
	v_cndmask_b32_e32 v3, 0, v3, vcc
	v_cndmask_b32_e32 v4, 0, v4, vcc
	v_add_co_u32_e32 v1, vcc, v3, v1
	v_addc_co_u32_e32 v2, vcc, v4, v2, vcc
	v_cndmask_b32_e64 v4, 0, v5, s[0:1]
	v_cndmask_b32_e64 v3, 0, v6, s[0:1]
	v_add_co_u32_e32 v1, vcc, v1, v4
	v_addc_co_u32_e32 v2, vcc, v2, v3, vcc
	v_cndmask_b32_e64 v4, 0, v7, s[2:3]
	v_cndmask_b32_e64 v3, 0, v8, s[2:3]
	;; [unrolled: 4-line block ×6, first 2 shown]
	v_add_co_u32_e32 v1, vcc, v1, v4
	v_addc_co_u32_e32 v2, vcc, v2, v3, vcc
	v_mbcnt_lo_u32_b32 v3, -1, 0
	v_mbcnt_hi_u32_b32 v3, -1, v3
	v_and_b32_e32 v4, 63, v3
	v_cmp_ne_u32_e32 vcc, 63, v4
	v_addc_co_u32_e32 v6, vcc, 0, v3, vcc
	v_lshlrev_b32_e32 v6, 2, v6
	ds_bpermute_b32 v8, v6, v1
	ds_bpermute_b32 v7, v6, v2
	s_min_u32 s2, s27, 0x100
	v_and_b32_e32 v5, 0xc0, v0
	v_sub_u32_e64 v5, s2, v5 clamp
	v_add_u32_e32 v6, 1, v4
	v_cmp_lt_u32_e32 vcc, v6, v5
	v_mov_b32_e32 v6, v1
	s_and_saveexec_b64 s[0:1], vcc
	s_cbranch_execz .LBB298_93
; %bb.92:
	s_waitcnt lgkmcnt(1)
	v_add_co_u32_e32 v6, vcc, v1, v8
	v_addc_co_u32_e32 v2, vcc, 0, v2, vcc
	v_add_co_u32_e32 v1, vcc, 0, v6
	s_waitcnt lgkmcnt(0)
	v_addc_co_u32_e32 v2, vcc, v2, v7, vcc
.LBB298_93:
	s_or_b64 exec, exec, s[0:1]
	v_cmp_gt_u32_e32 vcc, 62, v4
	s_waitcnt lgkmcnt(0)
	v_cndmask_b32_e64 v7, 0, 2, vcc
	v_add_lshl_u32 v7, v7, v3, 2
	ds_bpermute_b32 v8, v7, v6
	ds_bpermute_b32 v7, v7, v2
	v_add_u32_e32 v9, 2, v4
	v_cmp_lt_u32_e32 vcc, v9, v5
	s_and_saveexec_b64 s[0:1], vcc
	s_cbranch_execz .LBB298_95
; %bb.94:
	s_waitcnt lgkmcnt(1)
	v_add_co_u32_e32 v6, vcc, v1, v8
	v_addc_co_u32_e32 v2, vcc, 0, v2, vcc
	v_add_co_u32_e32 v1, vcc, 0, v6
	s_waitcnt lgkmcnt(0)
	v_addc_co_u32_e32 v2, vcc, v7, v2, vcc
.LBB298_95:
	s_or_b64 exec, exec, s[0:1]
	v_cmp_gt_u32_e32 vcc, 60, v4
	s_waitcnt lgkmcnt(0)
	v_cndmask_b32_e64 v7, 0, 4, vcc
	v_add_lshl_u32 v7, v7, v3, 2
	ds_bpermute_b32 v8, v7, v6
	ds_bpermute_b32 v7, v7, v2
	v_add_u32_e32 v9, 4, v4
	v_cmp_lt_u32_e32 vcc, v9, v5
	;; [unrolled: 19-line block ×4, first 2 shown]
	s_and_saveexec_b64 s[0:1], vcc
	s_cbranch_execz .LBB298_101
; %bb.100:
	s_waitcnt lgkmcnt(1)
	v_add_co_u32_e32 v6, vcc, v1, v8
	v_addc_co_u32_e32 v2, vcc, 0, v2, vcc
	v_add_co_u32_e32 v1, vcc, 0, v6
	s_waitcnt lgkmcnt(0)
	v_addc_co_u32_e32 v2, vcc, v7, v2, vcc
.LBB298_101:
	s_or_b64 exec, exec, s[0:1]
	s_waitcnt lgkmcnt(0)
	v_lshlrev_b32_e32 v7, 2, v3
	v_or_b32_e32 v8, 0x80, v7
	ds_bpermute_b32 v6, v8, v6
	ds_bpermute_b32 v8, v8, v2
	v_add_u32_e32 v4, 32, v4
	s_waitcnt lgkmcnt(1)
	v_add_co_u32_e32 v6, vcc, v1, v6
	v_addc_co_u32_e32 v9, vcc, 0, v2, vcc
	v_add_co_u32_e32 v6, vcc, 0, v6
	s_waitcnt lgkmcnt(0)
	v_addc_co_u32_e32 v8, vcc, v9, v8, vcc
	v_cmp_lt_u32_e32 vcc, v4, v5
	v_cndmask_b32_e32 v2, v2, v8, vcc
	v_cndmask_b32_e32 v1, v1, v6, vcc
	v_cmp_eq_u32_e32 vcc, 0, v3
	s_and_saveexec_b64 s[0:1], vcc
; %bb.102:
	v_lshrrev_b32_e32 v4, 3, v0
	v_and_b32_e32 v4, 24, v4
	ds_write_b64 v4, v[1:2] offset:160
; %bb.103:
	s_or_b64 exec, exec, s[0:1]
	v_cmp_gt_u32_e32 vcc, 4, v0
	s_waitcnt lgkmcnt(0)
	s_barrier
	s_and_saveexec_b64 s[0:1], vcc
	s_cbranch_execz .LBB298_107
; %bb.104:
	v_lshlrev_b32_e32 v1, 3, v3
	ds_read_b64 v[1:2], v1 offset:160
	v_and_b32_e32 v4, 3, v3
	v_cmp_ne_u32_e32 vcc, 3, v4
	v_addc_co_u32_e32 v3, vcc, 0, v3, vcc
	v_lshlrev_b32_e32 v3, 2, v3
	s_waitcnt lgkmcnt(0)
	ds_bpermute_b32 v6, v3, v1
	ds_bpermute_b32 v5, v3, v2
	s_add_i32 s2, s2, 63
	s_lshr_b32 s4, s2, 6
	v_add_u32_e32 v3, 1, v4
	v_cmp_gt_u32_e32 vcc, s4, v3
	v_mov_b32_e32 v3, v1
	s_and_saveexec_b64 s[2:3], vcc
	s_cbranch_execz .LBB298_106
; %bb.105:
	s_waitcnt lgkmcnt(1)
	v_add_co_u32_e32 v3, vcc, v1, v6
	v_addc_co_u32_e32 v2, vcc, 0, v2, vcc
	v_add_co_u32_e32 v1, vcc, 0, v3
	s_waitcnt lgkmcnt(0)
	v_addc_co_u32_e32 v2, vcc, v5, v2, vcc
.LBB298_106:
	s_or_b64 exec, exec, s[2:3]
	s_waitcnt lgkmcnt(0)
	v_or_b32_e32 v5, 8, v7
	ds_bpermute_b32 v3, v5, v3
	ds_bpermute_b32 v5, v5, v2
	v_add_u32_e32 v4, 2, v4
	s_waitcnt lgkmcnt(1)
	v_add_co_u32_e32 v3, vcc, v1, v3
	v_addc_co_u32_e32 v6, vcc, 0, v2, vcc
	v_add_co_u32_e32 v3, vcc, 0, v3
	s_waitcnt lgkmcnt(0)
	v_addc_co_u32_e32 v5, vcc, v6, v5, vcc
	v_cmp_gt_u32_e32 vcc, s4, v4
	v_cndmask_b32_e32 v2, v2, v5, vcc
	v_cndmask_b32_e32 v1, v1, v3, vcc
.LBB298_107:
	s_or_b64 exec, exec, s[0:1]
.LBB298_108:
	v_mov_b32_e32 v3, s6
	v_cmp_eq_u32_e64 s[2:3], 0, v0
	v_mov_b32_e32 v4, s7
.LBB298_109:
	s_branch .LBB298_144
.LBB298_110:
	s_cmp_eq_u32 s26, 4
                                        ; implicit-def: $vgpr1_vgpr2
                                        ; implicit-def: $vgpr3_vgpr4
	s_cbranch_scc0 .LBB298_144
; %bb.111:
	s_mov_b32 s7, 0
	s_lshl_b32 s0, s6, 10
	s_mov_b32 s1, s7
	s_lshr_b64 s[2:3], s[18:19], 10
	s_lshl_b64 s[4:5], s[0:1], 3
	s_add_u32 s4, s16, s4
	s_addc_u32 s5, s17, s5
	s_cmp_lg_u64 s[2:3], s[6:7]
	s_cbranch_scc0 .LBB298_117
; %bb.112:
	v_lshlrev_b32_e32 v3, 3, v0
	v_mov_b32_e32 v1, s5
	v_add_co_u32_e32 v4, vcc, s4, v3
	v_addc_co_u32_e32 v7, vcc, 0, v1, vcc
	global_load_dwordx2 v[1:2], v3, s[4:5]
	global_load_dwordx2 v[5:6], v3, s[4:5] offset:2048
	v_add_co_u32_e32 v3, vcc, 0x1000, v4
	v_addc_co_u32_e32 v4, vcc, 0, v7, vcc
	global_load_dwordx2 v[7:8], v[3:4], off
	global_load_dwordx2 v[9:10], v[3:4], off offset:2048
	v_mbcnt_lo_u32_b32 v3, -1, 0
	v_mbcnt_hi_u32_b32 v3, -1, v3
	v_lshlrev_b32_e32 v4, 2, v3
	v_or_b32_e32 v11, 0xfc, v4
	s_waitcnt vmcnt(2)
	v_add_co_u32_e32 v1, vcc, v5, v1
	v_addc_co_u32_e32 v2, vcc, v6, v2, vcc
	s_waitcnt vmcnt(1)
	v_add_co_u32_e32 v1, vcc, v1, v7
	v_addc_co_u32_e32 v2, vcc, v2, v8, vcc
	;; [unrolled: 3-line block ×3, first 2 shown]
	s_nop 0
	v_mov_b32_dpp v5, v1 quad_perm:[1,0,3,2] row_mask:0xf bank_mask:0xf bound_ctrl:1
	v_add_co_u32_e32 v1, vcc, v1, v5
	v_mov_b32_dpp v6, v2 quad_perm:[1,0,3,2] row_mask:0xf bank_mask:0xf bound_ctrl:1
	v_addc_co_u32_e32 v2, vcc, 0, v2, vcc
	v_add_co_u32_e32 v5, vcc, 0, v1
	v_addc_co_u32_e32 v2, vcc, v6, v2, vcc
	v_mov_b32_dpp v1, v1 quad_perm:[2,3,0,1] row_mask:0xf bank_mask:0xf bound_ctrl:1
	v_add_co_u32_e32 v1, vcc, v5, v1
	v_mov_b32_dpp v6, v2 quad_perm:[2,3,0,1] row_mask:0xf bank_mask:0xf bound_ctrl:1
	v_addc_co_u32_e32 v2, vcc, 0, v2, vcc
	v_add_co_u32_e32 v5, vcc, 0, v1
	v_addc_co_u32_e32 v2, vcc, v2, v6, vcc
	v_mov_b32_dpp v1, v1 row_ror:4 row_mask:0xf bank_mask:0xf bound_ctrl:1
	v_add_co_u32_e32 v1, vcc, v5, v1
	v_mov_b32_dpp v6, v2 row_ror:4 row_mask:0xf bank_mask:0xf bound_ctrl:1
	v_addc_co_u32_e32 v2, vcc, 0, v2, vcc
	v_add_co_u32_e32 v5, vcc, 0, v1
	v_addc_co_u32_e32 v2, vcc, v2, v6, vcc
	v_mov_b32_dpp v1, v1 row_ror:8 row_mask:0xf bank_mask:0xf bound_ctrl:1
	v_add_co_u32_e32 v1, vcc, v5, v1
	v_mov_b32_dpp v6, v2 row_ror:8 row_mask:0xf bank_mask:0xf bound_ctrl:1
	v_addc_co_u32_e32 v2, vcc, 0, v2, vcc
	v_add_co_u32_e32 v5, vcc, 0, v1
	v_addc_co_u32_e32 v2, vcc, v2, v6, vcc
	v_mov_b32_dpp v1, v1 row_bcast:15 row_mask:0xf bank_mask:0xf bound_ctrl:1
	v_add_co_u32_e32 v1, vcc, v5, v1
	v_mov_b32_dpp v6, v2 row_bcast:15 row_mask:0xf bank_mask:0xf bound_ctrl:1
	v_addc_co_u32_e32 v2, vcc, 0, v2, vcc
	v_add_co_u32_e32 v5, vcc, 0, v1
	v_addc_co_u32_e32 v2, vcc, v2, v6, vcc
	v_mov_b32_dpp v1, v1 row_bcast:31 row_mask:0xf bank_mask:0xf bound_ctrl:1
	v_add_co_u32_e32 v1, vcc, v5, v1
	v_addc_co_u32_e32 v5, vcc, 0, v2, vcc
	ds_bpermute_b32 v1, v11, v1
	s_nop 0
	v_add_u32_dpp v2, v2, v5 row_bcast:31 row_mask:0xf bank_mask:0xf bound_ctrl:1
	ds_bpermute_b32 v2, v11, v2
	v_cmp_eq_u32_e32 vcc, 0, v3
	s_and_saveexec_b64 s[2:3], vcc
	s_cbranch_execz .LBB298_114
; %bb.113:
	v_lshrrev_b32_e32 v5, 3, v0
	v_and_b32_e32 v5, 24, v5
	s_waitcnt lgkmcnt(0)
	ds_write_b64 v5, v[1:2] offset:96
.LBB298_114:
	s_or_b64 exec, exec, s[2:3]
	v_cmp_gt_u32_e32 vcc, 64, v0
	s_waitcnt lgkmcnt(0)
	s_barrier
	s_and_saveexec_b64 s[2:3], vcc
	s_cbranch_execz .LBB298_116
; %bb.115:
	v_and_b32_e32 v5, 3, v3
	v_lshlrev_b32_e32 v1, 3, v5
	ds_read_b64 v[1:2], v1 offset:96
	v_cmp_ne_u32_e32 vcc, 3, v5
	v_addc_co_u32_e32 v3, vcc, 0, v3, vcc
	v_lshlrev_b32_e32 v3, 2, v3
	s_waitcnt lgkmcnt(0)
	ds_bpermute_b32 v5, v3, v1
	ds_bpermute_b32 v3, v3, v2
	v_or_b32_e32 v4, 8, v4
	s_waitcnt lgkmcnt(1)
	v_add_co_u32_e32 v1, vcc, v1, v5
	v_addc_co_u32_e32 v2, vcc, 0, v2, vcc
	ds_bpermute_b32 v5, v4, v1
	v_add_co_u32_e32 v1, vcc, 0, v1
	s_waitcnt lgkmcnt(1)
	v_addc_co_u32_e32 v2, vcc, v3, v2, vcc
	ds_bpermute_b32 v3, v4, v2
	s_waitcnt lgkmcnt(1)
	v_add_co_u32_e32 v1, vcc, v1, v5
	v_addc_co_u32_e32 v2, vcc, 0, v2, vcc
	v_add_co_u32_e32 v1, vcc, 0, v1
	s_waitcnt lgkmcnt(0)
	v_addc_co_u32_e32 v2, vcc, v2, v3, vcc
.LBB298_116:
	s_or_b64 exec, exec, s[2:3]
	s_branch .LBB298_143
.LBB298_117:
                                        ; implicit-def: $vgpr1_vgpr2
	s_cbranch_execz .LBB298_143
; %bb.118:
	s_sub_i32 s10, s18, s0
	v_mov_b32_e32 v1, 0
	v_cmp_gt_u32_e32 vcc, s10, v0
	v_mov_b32_e32 v2, v1
	v_mov_b32_e32 v3, v1
	;; [unrolled: 1-line block ×7, first 2 shown]
	s_and_saveexec_b64 s[0:1], vcc
	s_cbranch_execz .LBB298_120
; %bb.119:
	v_lshlrev_b32_e32 v2, 3, v0
	global_load_dwordx2 v[2:3], v2, s[4:5]
	v_mov_b32_e32 v4, v1
	v_mov_b32_e32 v5, v1
	v_mov_b32_e32 v6, v1
	v_mov_b32_e32 v7, v1
	v_mov_b32_e32 v8, v1
	v_mov_b32_e32 v9, v1
	s_waitcnt vmcnt(0)
	v_mov_b32_e32 v1, v2
	v_mov_b32_e32 v2, v3
	v_mov_b32_e32 v3, v4
	v_mov_b32_e32 v4, v5
	v_mov_b32_e32 v5, v6
	v_mov_b32_e32 v6, v7
	v_mov_b32_e32 v7, v8
	v_mov_b32_e32 v8, v9
.LBB298_120:
	s_or_b64 exec, exec, s[0:1]
	v_or_b32_e32 v9, 0x100, v0
	v_cmp_gt_u32_e32 vcc, s10, v9
	s_and_saveexec_b64 s[0:1], vcc
	s_cbranch_execz .LBB298_122
; %bb.121:
	v_lshlrev_b32_e32 v3, 3, v0
	global_load_dwordx2 v[3:4], v3, s[4:5] offset:2048
.LBB298_122:
	s_or_b64 exec, exec, s[0:1]
	v_or_b32_e32 v9, 0x200, v0
	v_cmp_gt_u32_e64 s[0:1], s10, v9
	s_and_saveexec_b64 s[2:3], s[0:1]
	s_cbranch_execz .LBB298_124
; %bb.123:
	v_lshlrev_b32_e32 v5, 3, v9
	global_load_dwordx2 v[5:6], v5, s[4:5]
.LBB298_124:
	s_or_b64 exec, exec, s[2:3]
	v_or_b32_e32 v9, 0x300, v0
	v_cmp_gt_u32_e64 s[2:3], s10, v9
	s_and_saveexec_b64 s[8:9], s[2:3]
	s_cbranch_execz .LBB298_126
; %bb.125:
	v_lshlrev_b32_e32 v7, 3, v9
	global_load_dwordx2 v[7:8], v7, s[4:5]
.LBB298_126:
	s_or_b64 exec, exec, s[8:9]
	s_waitcnt vmcnt(0)
	v_cndmask_b32_e32 v3, 0, v3, vcc
	v_cndmask_b32_e32 v4, 0, v4, vcc
	v_add_co_u32_e32 v1, vcc, v3, v1
	v_addc_co_u32_e32 v2, vcc, v4, v2, vcc
	v_cndmask_b32_e64 v4, 0, v5, s[0:1]
	v_cndmask_b32_e64 v3, 0, v6, s[0:1]
	v_add_co_u32_e32 v1, vcc, v1, v4
	v_addc_co_u32_e32 v2, vcc, v2, v3, vcc
	v_cndmask_b32_e64 v4, 0, v7, s[2:3]
	v_cndmask_b32_e64 v3, 0, v8, s[2:3]
	v_add_co_u32_e32 v1, vcc, v1, v4
	v_addc_co_u32_e32 v2, vcc, v2, v3, vcc
	v_mbcnt_lo_u32_b32 v3, -1, 0
	v_mbcnt_hi_u32_b32 v3, -1, v3
	v_and_b32_e32 v4, 63, v3
	v_cmp_ne_u32_e32 vcc, 63, v4
	v_addc_co_u32_e32 v6, vcc, 0, v3, vcc
	v_lshlrev_b32_e32 v6, 2, v6
	ds_bpermute_b32 v8, v6, v1
	ds_bpermute_b32 v7, v6, v2
	s_min_u32 s2, s10, 0x100
	v_and_b32_e32 v5, 0xc0, v0
	v_sub_u32_e64 v5, s2, v5 clamp
	v_add_u32_e32 v6, 1, v4
	v_cmp_lt_u32_e32 vcc, v6, v5
	v_mov_b32_e32 v6, v1
	s_and_saveexec_b64 s[0:1], vcc
	s_cbranch_execz .LBB298_128
; %bb.127:
	s_waitcnt lgkmcnt(1)
	v_add_co_u32_e32 v6, vcc, v1, v8
	v_addc_co_u32_e32 v2, vcc, 0, v2, vcc
	v_add_co_u32_e32 v1, vcc, 0, v6
	s_waitcnt lgkmcnt(0)
	v_addc_co_u32_e32 v2, vcc, v7, v2, vcc
.LBB298_128:
	s_or_b64 exec, exec, s[0:1]
	v_cmp_gt_u32_e32 vcc, 62, v4
	s_waitcnt lgkmcnt(0)
	v_cndmask_b32_e64 v7, 0, 2, vcc
	v_add_lshl_u32 v7, v7, v3, 2
	ds_bpermute_b32 v8, v7, v6
	ds_bpermute_b32 v7, v7, v2
	v_add_u32_e32 v9, 2, v4
	v_cmp_lt_u32_e32 vcc, v9, v5
	s_and_saveexec_b64 s[0:1], vcc
	s_cbranch_execz .LBB298_130
; %bb.129:
	s_waitcnt lgkmcnt(1)
	v_add_co_u32_e32 v6, vcc, v1, v8
	v_addc_co_u32_e32 v2, vcc, 0, v2, vcc
	v_add_co_u32_e32 v1, vcc, 0, v6
	s_waitcnt lgkmcnt(0)
	v_addc_co_u32_e32 v2, vcc, v7, v2, vcc
.LBB298_130:
	s_or_b64 exec, exec, s[0:1]
	v_cmp_gt_u32_e32 vcc, 60, v4
	s_waitcnt lgkmcnt(0)
	v_cndmask_b32_e64 v7, 0, 4, vcc
	v_add_lshl_u32 v7, v7, v3, 2
	ds_bpermute_b32 v8, v7, v6
	ds_bpermute_b32 v7, v7, v2
	v_add_u32_e32 v9, 4, v4
	v_cmp_lt_u32_e32 vcc, v9, v5
	;; [unrolled: 19-line block ×4, first 2 shown]
	s_and_saveexec_b64 s[0:1], vcc
	s_cbranch_execz .LBB298_136
; %bb.135:
	s_waitcnt lgkmcnt(1)
	v_add_co_u32_e32 v6, vcc, v1, v8
	v_addc_co_u32_e32 v2, vcc, 0, v2, vcc
	v_add_co_u32_e32 v1, vcc, 0, v6
	s_waitcnt lgkmcnt(0)
	v_addc_co_u32_e32 v2, vcc, v7, v2, vcc
.LBB298_136:
	s_or_b64 exec, exec, s[0:1]
	s_waitcnt lgkmcnt(0)
	v_lshlrev_b32_e32 v7, 2, v3
	v_or_b32_e32 v8, 0x80, v7
	ds_bpermute_b32 v6, v8, v6
	ds_bpermute_b32 v8, v8, v2
	v_add_u32_e32 v4, 32, v4
	s_waitcnt lgkmcnt(1)
	v_add_co_u32_e32 v6, vcc, v1, v6
	v_addc_co_u32_e32 v9, vcc, 0, v2, vcc
	v_add_co_u32_e32 v6, vcc, 0, v6
	s_waitcnt lgkmcnt(0)
	v_addc_co_u32_e32 v8, vcc, v9, v8, vcc
	v_cmp_lt_u32_e32 vcc, v4, v5
	v_cndmask_b32_e32 v2, v2, v8, vcc
	v_cndmask_b32_e32 v1, v1, v6, vcc
	v_cmp_eq_u32_e32 vcc, 0, v3
	s_and_saveexec_b64 s[0:1], vcc
; %bb.137:
	v_lshrrev_b32_e32 v4, 3, v0
	v_and_b32_e32 v4, 24, v4
	ds_write_b64 v4, v[1:2] offset:160
; %bb.138:
	s_or_b64 exec, exec, s[0:1]
	v_cmp_gt_u32_e32 vcc, 4, v0
	s_waitcnt lgkmcnt(0)
	s_barrier
	s_and_saveexec_b64 s[0:1], vcc
	s_cbranch_execz .LBB298_142
; %bb.139:
	v_lshlrev_b32_e32 v1, 3, v3
	ds_read_b64 v[1:2], v1 offset:160
	v_and_b32_e32 v4, 3, v3
	v_cmp_ne_u32_e32 vcc, 3, v4
	v_addc_co_u32_e32 v3, vcc, 0, v3, vcc
	v_lshlrev_b32_e32 v3, 2, v3
	s_waitcnt lgkmcnt(0)
	ds_bpermute_b32 v6, v3, v1
	ds_bpermute_b32 v5, v3, v2
	s_add_i32 s2, s2, 63
	s_lshr_b32 s4, s2, 6
	v_add_u32_e32 v3, 1, v4
	v_cmp_gt_u32_e32 vcc, s4, v3
	v_mov_b32_e32 v3, v1
	s_and_saveexec_b64 s[2:3], vcc
	s_cbranch_execz .LBB298_141
; %bb.140:
	s_waitcnt lgkmcnt(1)
	v_add_co_u32_e32 v3, vcc, v1, v6
	v_addc_co_u32_e32 v2, vcc, 0, v2, vcc
	v_add_co_u32_e32 v1, vcc, 0, v3
	s_waitcnt lgkmcnt(0)
	v_addc_co_u32_e32 v2, vcc, v5, v2, vcc
.LBB298_141:
	s_or_b64 exec, exec, s[2:3]
	s_waitcnt lgkmcnt(0)
	v_or_b32_e32 v5, 8, v7
	ds_bpermute_b32 v3, v5, v3
	ds_bpermute_b32 v5, v5, v2
	v_add_u32_e32 v4, 2, v4
	s_waitcnt lgkmcnt(1)
	v_add_co_u32_e32 v3, vcc, v1, v3
	v_addc_co_u32_e32 v6, vcc, 0, v2, vcc
	v_add_co_u32_e32 v3, vcc, 0, v3
	s_waitcnt lgkmcnt(0)
	v_addc_co_u32_e32 v5, vcc, v6, v5, vcc
	v_cmp_gt_u32_e32 vcc, s4, v4
	v_cndmask_b32_e32 v2, v2, v5, vcc
	v_cndmask_b32_e32 v1, v1, v3, vcc
.LBB298_142:
	s_or_b64 exec, exec, s[0:1]
.LBB298_143:
	v_mov_b32_e32 v3, s6
	v_cmp_eq_u32_e64 s[2:3], 0, v0
	v_mov_b32_e32 v4, s7
.LBB298_144:
	s_branch .LBB298_206
.LBB298_145:
	s_cmp_gt_i32 s26, 1
	s_cbranch_scc0 .LBB298_153
; %bb.146:
	s_cmp_eq_u32 s26, 2
                                        ; implicit-def: $vgpr1_vgpr2
                                        ; implicit-def: $vgpr3_vgpr4
	s_cbranch_scc0 .LBB298_154
; %bb.147:
	s_mov_b32 s7, 0
	s_lshl_b32 s2, s6, 9
	s_mov_b32 s3, s7
	s_lshr_b64 s[4:5], s[18:19], 9
	s_lshl_b64 s[0:1], s[2:3], 3
	s_add_u32 s0, s16, s0
	s_addc_u32 s1, s17, s1
	s_cmp_lg_u64 s[4:5], s[6:7]
	s_cbranch_scc0 .LBB298_155
; %bb.148:
	v_lshlrev_b32_e32 v3, 3, v0
	global_load_dwordx2 v[1:2], v3, s[0:1]
	global_load_dwordx2 v[5:6], v3, s[0:1] offset:2048
	v_mbcnt_lo_u32_b32 v3, -1, 0
	v_mbcnt_hi_u32_b32 v3, -1, v3
	v_lshlrev_b32_e32 v4, 2, v3
	v_or_b32_e32 v7, 0xfc, v4
	s_waitcnt vmcnt(0)
	v_add_co_u32_e32 v1, vcc, v5, v1
	v_addc_co_u32_e32 v2, vcc, v6, v2, vcc
	s_nop 0
	v_mov_b32_dpp v5, v1 quad_perm:[1,0,3,2] row_mask:0xf bank_mask:0xf bound_ctrl:1
	v_add_co_u32_e32 v1, vcc, v1, v5
	v_mov_b32_dpp v6, v2 quad_perm:[1,0,3,2] row_mask:0xf bank_mask:0xf bound_ctrl:1
	v_addc_co_u32_e32 v2, vcc, 0, v2, vcc
	v_add_co_u32_e32 v5, vcc, 0, v1
	v_addc_co_u32_e32 v2, vcc, v6, v2, vcc
	v_mov_b32_dpp v1, v1 quad_perm:[2,3,0,1] row_mask:0xf bank_mask:0xf bound_ctrl:1
	v_add_co_u32_e32 v1, vcc, v5, v1
	v_mov_b32_dpp v6, v2 quad_perm:[2,3,0,1] row_mask:0xf bank_mask:0xf bound_ctrl:1
	v_addc_co_u32_e32 v2, vcc, 0, v2, vcc
	v_add_co_u32_e32 v5, vcc, 0, v1
	v_addc_co_u32_e32 v2, vcc, v2, v6, vcc
	v_mov_b32_dpp v1, v1 row_ror:4 row_mask:0xf bank_mask:0xf bound_ctrl:1
	v_add_co_u32_e32 v1, vcc, v5, v1
	v_mov_b32_dpp v6, v2 row_ror:4 row_mask:0xf bank_mask:0xf bound_ctrl:1
	v_addc_co_u32_e32 v2, vcc, 0, v2, vcc
	v_add_co_u32_e32 v5, vcc, 0, v1
	v_addc_co_u32_e32 v2, vcc, v2, v6, vcc
	v_mov_b32_dpp v1, v1 row_ror:8 row_mask:0xf bank_mask:0xf bound_ctrl:1
	v_add_co_u32_e32 v1, vcc, v5, v1
	v_mov_b32_dpp v6, v2 row_ror:8 row_mask:0xf bank_mask:0xf bound_ctrl:1
	v_addc_co_u32_e32 v2, vcc, 0, v2, vcc
	v_add_co_u32_e32 v5, vcc, 0, v1
	v_addc_co_u32_e32 v2, vcc, v2, v6, vcc
	v_mov_b32_dpp v1, v1 row_bcast:15 row_mask:0xf bank_mask:0xf bound_ctrl:1
	v_add_co_u32_e32 v1, vcc, v5, v1
	v_mov_b32_dpp v6, v2 row_bcast:15 row_mask:0xf bank_mask:0xf bound_ctrl:1
	v_addc_co_u32_e32 v2, vcc, 0, v2, vcc
	v_add_co_u32_e32 v5, vcc, 0, v1
	v_addc_co_u32_e32 v2, vcc, v2, v6, vcc
	v_mov_b32_dpp v1, v1 row_bcast:31 row_mask:0xf bank_mask:0xf bound_ctrl:1
	v_add_co_u32_e32 v1, vcc, v5, v1
	v_addc_co_u32_e32 v5, vcc, 0, v2, vcc
	ds_bpermute_b32 v1, v7, v1
	s_nop 0
	v_add_u32_dpp v2, v2, v5 row_bcast:31 row_mask:0xf bank_mask:0xf bound_ctrl:1
	ds_bpermute_b32 v2, v7, v2
	v_cmp_eq_u32_e32 vcc, 0, v3
	s_and_saveexec_b64 s[4:5], vcc
	s_cbranch_execz .LBB298_150
; %bb.149:
	v_lshrrev_b32_e32 v5, 3, v0
	v_and_b32_e32 v5, 24, v5
	s_waitcnt lgkmcnt(0)
	ds_write_b64 v5, v[1:2] offset:64
.LBB298_150:
	s_or_b64 exec, exec, s[4:5]
	v_cmp_gt_u32_e32 vcc, 64, v0
	s_waitcnt lgkmcnt(0)
	s_barrier
	s_and_saveexec_b64 s[4:5], vcc
	s_cbranch_execz .LBB298_152
; %bb.151:
	v_and_b32_e32 v5, 3, v3
	v_lshlrev_b32_e32 v1, 3, v5
	ds_read_b64 v[1:2], v1 offset:64
	v_cmp_ne_u32_e32 vcc, 3, v5
	v_addc_co_u32_e32 v3, vcc, 0, v3, vcc
	v_lshlrev_b32_e32 v3, 2, v3
	s_waitcnt lgkmcnt(0)
	ds_bpermute_b32 v5, v3, v1
	ds_bpermute_b32 v3, v3, v2
	v_or_b32_e32 v4, 8, v4
	s_waitcnt lgkmcnt(1)
	v_add_co_u32_e32 v1, vcc, v1, v5
	v_addc_co_u32_e32 v2, vcc, 0, v2, vcc
	ds_bpermute_b32 v5, v4, v1
	v_add_co_u32_e32 v1, vcc, 0, v1
	s_waitcnt lgkmcnt(1)
	v_addc_co_u32_e32 v2, vcc, v3, v2, vcc
	ds_bpermute_b32 v3, v4, v2
	s_waitcnt lgkmcnt(1)
	v_add_co_u32_e32 v1, vcc, v1, v5
	v_addc_co_u32_e32 v2, vcc, 0, v2, vcc
	v_add_co_u32_e32 v1, vcc, 0, v1
	s_waitcnt lgkmcnt(0)
	v_addc_co_u32_e32 v2, vcc, v2, v3, vcc
.LBB298_152:
	s_or_b64 exec, exec, s[4:5]
	s_branch .LBB298_177
.LBB298_153:
                                        ; implicit-def: $vgpr1_vgpr2
                                        ; implicit-def: $vgpr3_vgpr4
	s_cbranch_execnz .LBB298_178
	s_branch .LBB298_206
.LBB298_154:
	s_branch .LBB298_206
.LBB298_155:
                                        ; implicit-def: $vgpr1_vgpr2
	s_cbranch_execz .LBB298_177
; %bb.156:
	s_sub_i32 s4, s18, s2
	v_mov_b32_e32 v1, 0
	v_cmp_gt_u32_e32 vcc, s4, v0
	v_mov_b32_e32 v2, v1
	v_mov_b32_e32 v3, v1
	;; [unrolled: 1-line block ×3, first 2 shown]
	s_and_saveexec_b64 s[2:3], vcc
	s_cbranch_execz .LBB298_158
; %bb.157:
	v_lshlrev_b32_e32 v2, 3, v0
	global_load_dwordx2 v[2:3], v2, s[0:1]
	v_mov_b32_e32 v4, v1
	v_mov_b32_e32 v5, v1
	s_waitcnt vmcnt(0)
	v_mov_b32_e32 v1, v2
	v_mov_b32_e32 v2, v3
	;; [unrolled: 1-line block ×4, first 2 shown]
.LBB298_158:
	s_or_b64 exec, exec, s[2:3]
	v_or_b32_e32 v5, 0x100, v0
	v_cmp_gt_u32_e32 vcc, s4, v5
	s_and_saveexec_b64 s[2:3], vcc
	s_cbranch_execz .LBB298_160
; %bb.159:
	v_lshlrev_b32_e32 v3, 3, v0
	global_load_dwordx2 v[3:4], v3, s[0:1] offset:2048
.LBB298_160:
	s_or_b64 exec, exec, s[2:3]
	s_waitcnt vmcnt(0)
	v_cndmask_b32_e32 v3, 0, v3, vcc
	v_cndmask_b32_e32 v4, 0, v4, vcc
	v_add_co_u32_e32 v1, vcc, v3, v1
	v_mbcnt_lo_u32_b32 v3, -1, 0
	v_mbcnt_hi_u32_b32 v3, -1, v3
	v_addc_co_u32_e32 v2, vcc, v4, v2, vcc
	v_and_b32_e32 v4, 63, v3
	v_cmp_ne_u32_e32 vcc, 63, v4
	v_addc_co_u32_e32 v6, vcc, 0, v3, vcc
	v_lshlrev_b32_e32 v6, 2, v6
	ds_bpermute_b32 v8, v6, v1
	ds_bpermute_b32 v7, v6, v2
	s_min_u32 s2, s4, 0x100
	v_and_b32_e32 v5, 0xc0, v0
	v_sub_u32_e64 v5, s2, v5 clamp
	v_add_u32_e32 v6, 1, v4
	v_cmp_lt_u32_e32 vcc, v6, v5
	v_mov_b32_e32 v6, v1
	s_and_saveexec_b64 s[0:1], vcc
	s_cbranch_execz .LBB298_162
; %bb.161:
	s_waitcnt lgkmcnt(1)
	v_add_co_u32_e32 v6, vcc, v1, v8
	v_addc_co_u32_e32 v2, vcc, 0, v2, vcc
	v_add_co_u32_e32 v1, vcc, 0, v6
	s_waitcnt lgkmcnt(0)
	v_addc_co_u32_e32 v2, vcc, v7, v2, vcc
.LBB298_162:
	s_or_b64 exec, exec, s[0:1]
	v_cmp_gt_u32_e32 vcc, 62, v4
	s_waitcnt lgkmcnt(0)
	v_cndmask_b32_e64 v7, 0, 2, vcc
	v_add_lshl_u32 v7, v7, v3, 2
	ds_bpermute_b32 v8, v7, v6
	ds_bpermute_b32 v7, v7, v2
	v_add_u32_e32 v9, 2, v4
	v_cmp_lt_u32_e32 vcc, v9, v5
	s_and_saveexec_b64 s[0:1], vcc
	s_cbranch_execz .LBB298_164
; %bb.163:
	s_waitcnt lgkmcnt(1)
	v_add_co_u32_e32 v6, vcc, v1, v8
	v_addc_co_u32_e32 v2, vcc, 0, v2, vcc
	v_add_co_u32_e32 v1, vcc, 0, v6
	s_waitcnt lgkmcnt(0)
	v_addc_co_u32_e32 v2, vcc, v7, v2, vcc
.LBB298_164:
	s_or_b64 exec, exec, s[0:1]
	v_cmp_gt_u32_e32 vcc, 60, v4
	s_waitcnt lgkmcnt(0)
	v_cndmask_b32_e64 v7, 0, 4, vcc
	v_add_lshl_u32 v7, v7, v3, 2
	ds_bpermute_b32 v8, v7, v6
	ds_bpermute_b32 v7, v7, v2
	v_add_u32_e32 v9, 4, v4
	v_cmp_lt_u32_e32 vcc, v9, v5
	;; [unrolled: 19-line block ×4, first 2 shown]
	s_and_saveexec_b64 s[0:1], vcc
	s_cbranch_execz .LBB298_170
; %bb.169:
	s_waitcnt lgkmcnt(1)
	v_add_co_u32_e32 v6, vcc, v1, v8
	v_addc_co_u32_e32 v2, vcc, 0, v2, vcc
	v_add_co_u32_e32 v1, vcc, 0, v6
	s_waitcnt lgkmcnt(0)
	v_addc_co_u32_e32 v2, vcc, v7, v2, vcc
.LBB298_170:
	s_or_b64 exec, exec, s[0:1]
	s_waitcnt lgkmcnt(0)
	v_lshlrev_b32_e32 v7, 2, v3
	v_or_b32_e32 v8, 0x80, v7
	ds_bpermute_b32 v6, v8, v6
	ds_bpermute_b32 v8, v8, v2
	v_add_u32_e32 v4, 32, v4
	s_waitcnt lgkmcnt(1)
	v_add_co_u32_e32 v6, vcc, v1, v6
	v_addc_co_u32_e32 v9, vcc, 0, v2, vcc
	v_add_co_u32_e32 v6, vcc, 0, v6
	s_waitcnt lgkmcnt(0)
	v_addc_co_u32_e32 v8, vcc, v9, v8, vcc
	v_cmp_lt_u32_e32 vcc, v4, v5
	v_cndmask_b32_e32 v2, v2, v8, vcc
	v_cndmask_b32_e32 v1, v1, v6, vcc
	v_cmp_eq_u32_e32 vcc, 0, v3
	s_and_saveexec_b64 s[0:1], vcc
; %bb.171:
	v_lshrrev_b32_e32 v4, 3, v0
	v_and_b32_e32 v4, 24, v4
	ds_write_b64 v4, v[1:2] offset:160
; %bb.172:
	s_or_b64 exec, exec, s[0:1]
	v_cmp_gt_u32_e32 vcc, 4, v0
	s_waitcnt lgkmcnt(0)
	s_barrier
	s_and_saveexec_b64 s[0:1], vcc
	s_cbranch_execz .LBB298_176
; %bb.173:
	v_lshlrev_b32_e32 v1, 3, v3
	ds_read_b64 v[1:2], v1 offset:160
	v_and_b32_e32 v4, 3, v3
	v_cmp_ne_u32_e32 vcc, 3, v4
	v_addc_co_u32_e32 v3, vcc, 0, v3, vcc
	v_lshlrev_b32_e32 v3, 2, v3
	s_waitcnt lgkmcnt(0)
	ds_bpermute_b32 v6, v3, v1
	ds_bpermute_b32 v5, v3, v2
	s_add_i32 s2, s2, 63
	s_lshr_b32 s4, s2, 6
	v_add_u32_e32 v3, 1, v4
	v_cmp_gt_u32_e32 vcc, s4, v3
	v_mov_b32_e32 v3, v1
	s_and_saveexec_b64 s[2:3], vcc
	s_cbranch_execz .LBB298_175
; %bb.174:
	s_waitcnt lgkmcnt(1)
	v_add_co_u32_e32 v3, vcc, v1, v6
	v_addc_co_u32_e32 v2, vcc, 0, v2, vcc
	v_add_co_u32_e32 v1, vcc, 0, v3
	s_waitcnt lgkmcnt(0)
	v_addc_co_u32_e32 v2, vcc, v5, v2, vcc
.LBB298_175:
	s_or_b64 exec, exec, s[2:3]
	s_waitcnt lgkmcnt(0)
	v_or_b32_e32 v5, 8, v7
	ds_bpermute_b32 v3, v5, v3
	ds_bpermute_b32 v5, v5, v2
	v_add_u32_e32 v4, 2, v4
	s_waitcnt lgkmcnt(1)
	v_add_co_u32_e32 v3, vcc, v1, v3
	v_addc_co_u32_e32 v6, vcc, 0, v2, vcc
	v_add_co_u32_e32 v3, vcc, 0, v3
	s_waitcnt lgkmcnt(0)
	v_addc_co_u32_e32 v5, vcc, v6, v5, vcc
	v_cmp_gt_u32_e32 vcc, s4, v4
	v_cndmask_b32_e32 v2, v2, v5, vcc
	v_cndmask_b32_e32 v1, v1, v3, vcc
.LBB298_176:
	s_or_b64 exec, exec, s[0:1]
.LBB298_177:
	v_mov_b32_e32 v3, s6
	v_cmp_eq_u32_e64 s[2:3], 0, v0
	v_mov_b32_e32 v4, s7
	s_branch .LBB298_206
.LBB298_178:
	s_cmp_eq_u32 s26, 1
                                        ; implicit-def: $vgpr1_vgpr2
                                        ; implicit-def: $vgpr3_vgpr4
	s_cbranch_scc0 .LBB298_206
; %bb.179:
	s_mov_b32 s1, 0
	s_lshl_b32 s0, s6, 8
	s_mov_b32 s7, s1
	s_lshr_b64 s[2:3], s[18:19], 8
	s_cmp_lg_u64 s[2:3], s[6:7]
	v_mbcnt_lo_u32_b32 v3, -1, 0
	s_cbranch_scc0 .LBB298_185
; %bb.180:
	s_lshl_b64 s[2:3], s[0:1], 3
	s_add_u32 s2, s16, s2
	s_addc_u32 s3, s17, s3
	v_lshlrev_b32_e32 v1, 3, v0
	global_load_dwordx2 v[1:2], v1, s[2:3]
	v_mbcnt_hi_u32_b32 v4, -1, v3
	v_lshlrev_b32_e32 v5, 2, v4
	v_or_b32_e32 v6, 0xfc, v5
	s_waitcnt vmcnt(0)
	v_mov_b32_dpp v7, v1 quad_perm:[1,0,3,2] row_mask:0xf bank_mask:0xf bound_ctrl:1
	v_add_co_u32_e32 v1, vcc, v1, v7
	v_mov_b32_dpp v8, v2 quad_perm:[1,0,3,2] row_mask:0xf bank_mask:0xf bound_ctrl:1
	v_addc_co_u32_e32 v2, vcc, 0, v2, vcc
	v_add_co_u32_e32 v7, vcc, 0, v1
	v_addc_co_u32_e32 v2, vcc, v8, v2, vcc
	v_mov_b32_dpp v1, v1 quad_perm:[2,3,0,1] row_mask:0xf bank_mask:0xf bound_ctrl:1
	v_add_co_u32_e32 v1, vcc, v7, v1
	v_mov_b32_dpp v8, v2 quad_perm:[2,3,0,1] row_mask:0xf bank_mask:0xf bound_ctrl:1
	v_addc_co_u32_e32 v2, vcc, 0, v2, vcc
	v_add_co_u32_e32 v7, vcc, 0, v1
	v_addc_co_u32_e32 v2, vcc, v2, v8, vcc
	v_mov_b32_dpp v1, v1 row_ror:4 row_mask:0xf bank_mask:0xf bound_ctrl:1
	v_add_co_u32_e32 v1, vcc, v7, v1
	v_mov_b32_dpp v8, v2 row_ror:4 row_mask:0xf bank_mask:0xf bound_ctrl:1
	v_addc_co_u32_e32 v2, vcc, 0, v2, vcc
	v_add_co_u32_e32 v7, vcc, 0, v1
	v_addc_co_u32_e32 v2, vcc, v2, v8, vcc
	v_mov_b32_dpp v1, v1 row_ror:8 row_mask:0xf bank_mask:0xf bound_ctrl:1
	v_add_co_u32_e32 v1, vcc, v7, v1
	v_mov_b32_dpp v8, v2 row_ror:8 row_mask:0xf bank_mask:0xf bound_ctrl:1
	v_addc_co_u32_e32 v2, vcc, 0, v2, vcc
	v_add_co_u32_e32 v7, vcc, 0, v1
	v_addc_co_u32_e32 v2, vcc, v2, v8, vcc
	v_mov_b32_dpp v1, v1 row_bcast:15 row_mask:0xf bank_mask:0xf bound_ctrl:1
	v_add_co_u32_e32 v1, vcc, v7, v1
	v_mov_b32_dpp v8, v2 row_bcast:15 row_mask:0xf bank_mask:0xf bound_ctrl:1
	v_addc_co_u32_e32 v2, vcc, 0, v2, vcc
	v_add_co_u32_e32 v7, vcc, 0, v1
	v_addc_co_u32_e32 v2, vcc, v2, v8, vcc
	v_mov_b32_dpp v1, v1 row_bcast:31 row_mask:0xf bank_mask:0xf bound_ctrl:1
	v_add_co_u32_e32 v1, vcc, v7, v1
	v_addc_co_u32_e32 v7, vcc, 0, v2, vcc
	ds_bpermute_b32 v1, v6, v1
	s_nop 0
	v_add_u32_dpp v2, v2, v7 row_bcast:31 row_mask:0xf bank_mask:0xf bound_ctrl:1
	ds_bpermute_b32 v2, v6, v2
	v_cmp_eq_u32_e32 vcc, 0, v4
	s_and_saveexec_b64 s[2:3], vcc
	s_cbranch_execz .LBB298_182
; %bb.181:
	v_lshrrev_b32_e32 v6, 3, v0
	v_and_b32_e32 v6, 24, v6
	s_waitcnt lgkmcnt(0)
	ds_write_b64 v6, v[1:2] offset:32
.LBB298_182:
	s_or_b64 exec, exec, s[2:3]
	v_cmp_gt_u32_e32 vcc, 64, v0
	s_waitcnt lgkmcnt(0)
	s_barrier
	s_and_saveexec_b64 s[2:3], vcc
	s_cbranch_execz .LBB298_184
; %bb.183:
	v_and_b32_e32 v6, 3, v4
	v_lshlrev_b32_e32 v1, 3, v6
	ds_read_b64 v[1:2], v1 offset:32
	v_cmp_ne_u32_e32 vcc, 3, v6
	v_addc_co_u32_e32 v4, vcc, 0, v4, vcc
	v_lshlrev_b32_e32 v4, 2, v4
	s_waitcnt lgkmcnt(0)
	ds_bpermute_b32 v6, v4, v1
	ds_bpermute_b32 v4, v4, v2
	v_or_b32_e32 v5, 8, v5
	s_waitcnt lgkmcnt(1)
	v_add_co_u32_e32 v1, vcc, v1, v6
	v_addc_co_u32_e32 v2, vcc, 0, v2, vcc
	ds_bpermute_b32 v6, v5, v1
	v_add_co_u32_e32 v1, vcc, 0, v1
	s_waitcnt lgkmcnt(1)
	v_addc_co_u32_e32 v2, vcc, v4, v2, vcc
	ds_bpermute_b32 v4, v5, v2
	s_waitcnt lgkmcnt(1)
	v_add_co_u32_e32 v1, vcc, v1, v6
	v_addc_co_u32_e32 v2, vcc, 0, v2, vcc
	v_add_co_u32_e32 v1, vcc, 0, v1
	s_waitcnt lgkmcnt(0)
	v_addc_co_u32_e32 v2, vcc, v2, v4, vcc
.LBB298_184:
	s_or_b64 exec, exec, s[2:3]
	s_branch .LBB298_205
.LBB298_185:
                                        ; implicit-def: $vgpr1_vgpr2
	s_cbranch_execz .LBB298_205
; %bb.186:
	s_sub_i32 s4, s18, s0
	v_cmp_gt_u32_e32 vcc, s4, v0
                                        ; implicit-def: $vgpr1_vgpr2
	s_and_saveexec_b64 s[2:3], vcc
	s_cbranch_execz .LBB298_188
; %bb.187:
	s_lshl_b64 s[0:1], s[0:1], 3
	s_add_u32 s0, s16, s0
	s_addc_u32 s1, s17, s1
	v_lshlrev_b32_e32 v1, 3, v0
	global_load_dwordx2 v[1:2], v1, s[0:1]
.LBB298_188:
	s_or_b64 exec, exec, s[2:3]
	v_mbcnt_hi_u32_b32 v3, -1, v3
	v_and_b32_e32 v4, 63, v3
	v_cmp_ne_u32_e32 vcc, 63, v4
	v_addc_co_u32_e32 v6, vcc, 0, v3, vcc
	v_lshlrev_b32_e32 v6, 2, v6
	s_waitcnt vmcnt(0)
	ds_bpermute_b32 v8, v6, v1
	ds_bpermute_b32 v7, v6, v2
	s_min_u32 s2, s4, 0x100
	v_and_b32_e32 v5, 0xc0, v0
	v_sub_u32_e64 v5, s2, v5 clamp
	v_add_u32_e32 v6, 1, v4
	v_cmp_lt_u32_e32 vcc, v6, v5
	v_mov_b32_e32 v6, v1
	s_and_saveexec_b64 s[0:1], vcc
	s_cbranch_execz .LBB298_190
; %bb.189:
	s_waitcnt lgkmcnt(1)
	v_add_co_u32_e32 v6, vcc, v1, v8
	v_addc_co_u32_e32 v2, vcc, 0, v2, vcc
	v_add_co_u32_e32 v1, vcc, 0, v6
	s_waitcnt lgkmcnt(0)
	v_addc_co_u32_e32 v2, vcc, v7, v2, vcc
.LBB298_190:
	s_or_b64 exec, exec, s[0:1]
	v_cmp_gt_u32_e32 vcc, 62, v4
	s_waitcnt lgkmcnt(0)
	v_cndmask_b32_e64 v7, 0, 2, vcc
	v_add_lshl_u32 v7, v7, v3, 2
	ds_bpermute_b32 v8, v7, v6
	ds_bpermute_b32 v7, v7, v2
	v_add_u32_e32 v9, 2, v4
	v_cmp_lt_u32_e32 vcc, v9, v5
	s_and_saveexec_b64 s[0:1], vcc
	s_cbranch_execz .LBB298_192
; %bb.191:
	s_waitcnt lgkmcnt(1)
	v_add_co_u32_e32 v6, vcc, v1, v8
	v_addc_co_u32_e32 v2, vcc, 0, v2, vcc
	v_add_co_u32_e32 v1, vcc, 0, v6
	s_waitcnt lgkmcnt(0)
	v_addc_co_u32_e32 v2, vcc, v7, v2, vcc
.LBB298_192:
	s_or_b64 exec, exec, s[0:1]
	v_cmp_gt_u32_e32 vcc, 60, v4
	s_waitcnt lgkmcnt(0)
	v_cndmask_b32_e64 v7, 0, 4, vcc
	v_add_lshl_u32 v7, v7, v3, 2
	ds_bpermute_b32 v8, v7, v6
	ds_bpermute_b32 v7, v7, v2
	v_add_u32_e32 v9, 4, v4
	v_cmp_lt_u32_e32 vcc, v9, v5
	;; [unrolled: 19-line block ×4, first 2 shown]
	s_and_saveexec_b64 s[0:1], vcc
	s_cbranch_execz .LBB298_198
; %bb.197:
	s_waitcnt lgkmcnt(1)
	v_add_co_u32_e32 v6, vcc, v1, v8
	v_addc_co_u32_e32 v2, vcc, 0, v2, vcc
	v_add_co_u32_e32 v1, vcc, 0, v6
	s_waitcnt lgkmcnt(0)
	v_addc_co_u32_e32 v2, vcc, v7, v2, vcc
.LBB298_198:
	s_or_b64 exec, exec, s[0:1]
	s_waitcnt lgkmcnt(0)
	v_lshlrev_b32_e32 v7, 2, v3
	v_or_b32_e32 v8, 0x80, v7
	ds_bpermute_b32 v6, v8, v6
	ds_bpermute_b32 v8, v8, v2
	v_add_u32_e32 v4, 32, v4
	s_waitcnt lgkmcnt(1)
	v_add_co_u32_e32 v6, vcc, v1, v6
	v_addc_co_u32_e32 v9, vcc, 0, v2, vcc
	v_add_co_u32_e32 v6, vcc, 0, v6
	s_waitcnt lgkmcnt(0)
	v_addc_co_u32_e32 v8, vcc, v9, v8, vcc
	v_cmp_lt_u32_e32 vcc, v4, v5
	v_cndmask_b32_e32 v2, v2, v8, vcc
	v_cndmask_b32_e32 v1, v1, v6, vcc
	v_cmp_eq_u32_e32 vcc, 0, v3
	s_and_saveexec_b64 s[0:1], vcc
; %bb.199:
	v_lshrrev_b32_e32 v4, 3, v0
	v_and_b32_e32 v4, 24, v4
	ds_write_b64 v4, v[1:2] offset:160
; %bb.200:
	s_or_b64 exec, exec, s[0:1]
	v_cmp_gt_u32_e32 vcc, 4, v0
	s_waitcnt lgkmcnt(0)
	s_barrier
	s_and_saveexec_b64 s[0:1], vcc
	s_cbranch_execz .LBB298_204
; %bb.201:
	v_lshlrev_b32_e32 v1, 3, v3
	ds_read_b64 v[1:2], v1 offset:160
	v_and_b32_e32 v4, 3, v3
	v_cmp_ne_u32_e32 vcc, 3, v4
	v_addc_co_u32_e32 v3, vcc, 0, v3, vcc
	v_lshlrev_b32_e32 v3, 2, v3
	s_waitcnt lgkmcnt(0)
	ds_bpermute_b32 v6, v3, v1
	ds_bpermute_b32 v5, v3, v2
	s_add_i32 s2, s2, 63
	s_lshr_b32 s4, s2, 6
	v_add_u32_e32 v3, 1, v4
	v_cmp_gt_u32_e32 vcc, s4, v3
	v_mov_b32_e32 v3, v1
	s_and_saveexec_b64 s[2:3], vcc
	s_cbranch_execz .LBB298_203
; %bb.202:
	s_waitcnt lgkmcnt(1)
	v_add_co_u32_e32 v3, vcc, v1, v6
	v_addc_co_u32_e32 v2, vcc, 0, v2, vcc
	v_add_co_u32_e32 v1, vcc, 0, v3
	s_waitcnt lgkmcnt(0)
	v_addc_co_u32_e32 v2, vcc, v5, v2, vcc
.LBB298_203:
	s_or_b64 exec, exec, s[2:3]
	s_waitcnt lgkmcnt(0)
	v_or_b32_e32 v5, 8, v7
	ds_bpermute_b32 v3, v5, v3
	ds_bpermute_b32 v5, v5, v2
	v_add_u32_e32 v4, 2, v4
	s_waitcnt lgkmcnt(1)
	v_add_co_u32_e32 v3, vcc, v1, v3
	v_addc_co_u32_e32 v6, vcc, 0, v2, vcc
	v_add_co_u32_e32 v3, vcc, 0, v3
	s_waitcnt lgkmcnt(0)
	v_addc_co_u32_e32 v5, vcc, v6, v5, vcc
	v_cmp_gt_u32_e32 vcc, s4, v4
	v_cndmask_b32_e32 v2, v2, v5, vcc
	v_cndmask_b32_e32 v1, v1, v3, vcc
.LBB298_204:
	s_or_b64 exec, exec, s[0:1]
.LBB298_205:
	v_mov_b32_e32 v3, s6
	v_cmp_eq_u32_e64 s[2:3], 0, v0
	v_mov_b32_e32 v4, s7
.LBB298_206:
	s_and_saveexec_b64 s[0:1], s[2:3]
	s_cbranch_execz .LBB298_208
; %bb.207:
	v_lshlrev_b64 v[3:4], 3, v[3:4]
	v_mov_b32_e32 v0, s21
	v_add_co_u32_e32 v3, vcc, s20, v3
	v_addc_co_u32_e32 v4, vcc, v0, v4, vcc
	s_cmp_lg_u64 s[18:19], 0
	s_cselect_b64 vcc, -1, 0
	v_cndmask_b32_e32 v0, 0, v1, vcc
	v_cndmask_b32_e32 v2, 0, v2, vcc
	v_mov_b32_e32 v1, s23
	v_add_co_u32_e32 v0, vcc, s22, v0
	v_addc_co_u32_e32 v1, vcc, v2, v1, vcc
	global_store_dwordx2 v[3:4], v[0:1], off
.LBB298_208:
	s_endpgm
	.section	.rodata,"a",@progbits
	.p2align	6, 0x0
	.amdhsa_kernel _ZN7rocprim17ROCPRIM_400000_NS6detail17trampoline_kernelINS0_14default_configENS1_22reduce_config_selectorIlEEZNS1_11reduce_implILb1ES3_PlS7_lN6hipcub16HIPCUB_304000_NS6detail34convert_binary_result_type_wrapperINS9_3SumENS9_22TransformInputIteratorIb7NonZeroIdEPdlEElEEEE10hipError_tPvRmT1_T2_T3_mT4_P12ihipStream_tbEUlT_E1_NS1_11comp_targetILNS1_3genE2ELNS1_11target_archE906ELNS1_3gpuE6ELNS1_3repE0EEENS1_30default_config_static_selectorELNS0_4arch9wavefront6targetE1EEEvSM_
		.amdhsa_group_segment_fixed_size 192
		.amdhsa_private_segment_fixed_size 0
		.amdhsa_kernarg_size 48
		.amdhsa_user_sgpr_count 6
		.amdhsa_user_sgpr_private_segment_buffer 1
		.amdhsa_user_sgpr_dispatch_ptr 0
		.amdhsa_user_sgpr_queue_ptr 0
		.amdhsa_user_sgpr_kernarg_segment_ptr 1
		.amdhsa_user_sgpr_dispatch_id 0
		.amdhsa_user_sgpr_flat_scratch_init 0
		.amdhsa_user_sgpr_private_segment_size 0
		.amdhsa_uses_dynamic_stack 0
		.amdhsa_system_sgpr_private_segment_wavefront_offset 0
		.amdhsa_system_sgpr_workgroup_id_x 1
		.amdhsa_system_sgpr_workgroup_id_y 0
		.amdhsa_system_sgpr_workgroup_id_z 0
		.amdhsa_system_sgpr_workgroup_info 0
		.amdhsa_system_vgpr_workitem_id 0
		.amdhsa_next_free_vgpr 34
		.amdhsa_next_free_sgpr 28
		.amdhsa_reserve_vcc 1
		.amdhsa_reserve_flat_scratch 0
		.amdhsa_float_round_mode_32 0
		.amdhsa_float_round_mode_16_64 0
		.amdhsa_float_denorm_mode_32 3
		.amdhsa_float_denorm_mode_16_64 3
		.amdhsa_dx10_clamp 1
		.amdhsa_ieee_mode 1
		.amdhsa_fp16_overflow 0
		.amdhsa_exception_fp_ieee_invalid_op 0
		.amdhsa_exception_fp_denorm_src 0
		.amdhsa_exception_fp_ieee_div_zero 0
		.amdhsa_exception_fp_ieee_overflow 0
		.amdhsa_exception_fp_ieee_underflow 0
		.amdhsa_exception_fp_ieee_inexact 0
		.amdhsa_exception_int_div_zero 0
	.end_amdhsa_kernel
	.section	.text._ZN7rocprim17ROCPRIM_400000_NS6detail17trampoline_kernelINS0_14default_configENS1_22reduce_config_selectorIlEEZNS1_11reduce_implILb1ES3_PlS7_lN6hipcub16HIPCUB_304000_NS6detail34convert_binary_result_type_wrapperINS9_3SumENS9_22TransformInputIteratorIb7NonZeroIdEPdlEElEEEE10hipError_tPvRmT1_T2_T3_mT4_P12ihipStream_tbEUlT_E1_NS1_11comp_targetILNS1_3genE2ELNS1_11target_archE906ELNS1_3gpuE6ELNS1_3repE0EEENS1_30default_config_static_selectorELNS0_4arch9wavefront6targetE1EEEvSM_,"axG",@progbits,_ZN7rocprim17ROCPRIM_400000_NS6detail17trampoline_kernelINS0_14default_configENS1_22reduce_config_selectorIlEEZNS1_11reduce_implILb1ES3_PlS7_lN6hipcub16HIPCUB_304000_NS6detail34convert_binary_result_type_wrapperINS9_3SumENS9_22TransformInputIteratorIb7NonZeroIdEPdlEElEEEE10hipError_tPvRmT1_T2_T3_mT4_P12ihipStream_tbEUlT_E1_NS1_11comp_targetILNS1_3genE2ELNS1_11target_archE906ELNS1_3gpuE6ELNS1_3repE0EEENS1_30default_config_static_selectorELNS0_4arch9wavefront6targetE1EEEvSM_,comdat
.Lfunc_end298:
	.size	_ZN7rocprim17ROCPRIM_400000_NS6detail17trampoline_kernelINS0_14default_configENS1_22reduce_config_selectorIlEEZNS1_11reduce_implILb1ES3_PlS7_lN6hipcub16HIPCUB_304000_NS6detail34convert_binary_result_type_wrapperINS9_3SumENS9_22TransformInputIteratorIb7NonZeroIdEPdlEElEEEE10hipError_tPvRmT1_T2_T3_mT4_P12ihipStream_tbEUlT_E1_NS1_11comp_targetILNS1_3genE2ELNS1_11target_archE906ELNS1_3gpuE6ELNS1_3repE0EEENS1_30default_config_static_selectorELNS0_4arch9wavefront6targetE1EEEvSM_, .Lfunc_end298-_ZN7rocprim17ROCPRIM_400000_NS6detail17trampoline_kernelINS0_14default_configENS1_22reduce_config_selectorIlEEZNS1_11reduce_implILb1ES3_PlS7_lN6hipcub16HIPCUB_304000_NS6detail34convert_binary_result_type_wrapperINS9_3SumENS9_22TransformInputIteratorIb7NonZeroIdEPdlEElEEEE10hipError_tPvRmT1_T2_T3_mT4_P12ihipStream_tbEUlT_E1_NS1_11comp_targetILNS1_3genE2ELNS1_11target_archE906ELNS1_3gpuE6ELNS1_3repE0EEENS1_30default_config_static_selectorELNS0_4arch9wavefront6targetE1EEEvSM_
                                        ; -- End function
	.set _ZN7rocprim17ROCPRIM_400000_NS6detail17trampoline_kernelINS0_14default_configENS1_22reduce_config_selectorIlEEZNS1_11reduce_implILb1ES3_PlS7_lN6hipcub16HIPCUB_304000_NS6detail34convert_binary_result_type_wrapperINS9_3SumENS9_22TransformInputIteratorIb7NonZeroIdEPdlEElEEEE10hipError_tPvRmT1_T2_T3_mT4_P12ihipStream_tbEUlT_E1_NS1_11comp_targetILNS1_3genE2ELNS1_11target_archE906ELNS1_3gpuE6ELNS1_3repE0EEENS1_30default_config_static_selectorELNS0_4arch9wavefront6targetE1EEEvSM_.num_vgpr, 34
	.set _ZN7rocprim17ROCPRIM_400000_NS6detail17trampoline_kernelINS0_14default_configENS1_22reduce_config_selectorIlEEZNS1_11reduce_implILb1ES3_PlS7_lN6hipcub16HIPCUB_304000_NS6detail34convert_binary_result_type_wrapperINS9_3SumENS9_22TransformInputIteratorIb7NonZeroIdEPdlEElEEEE10hipError_tPvRmT1_T2_T3_mT4_P12ihipStream_tbEUlT_E1_NS1_11comp_targetILNS1_3genE2ELNS1_11target_archE906ELNS1_3gpuE6ELNS1_3repE0EEENS1_30default_config_static_selectorELNS0_4arch9wavefront6targetE1EEEvSM_.num_agpr, 0
	.set _ZN7rocprim17ROCPRIM_400000_NS6detail17trampoline_kernelINS0_14default_configENS1_22reduce_config_selectorIlEEZNS1_11reduce_implILb1ES3_PlS7_lN6hipcub16HIPCUB_304000_NS6detail34convert_binary_result_type_wrapperINS9_3SumENS9_22TransformInputIteratorIb7NonZeroIdEPdlEElEEEE10hipError_tPvRmT1_T2_T3_mT4_P12ihipStream_tbEUlT_E1_NS1_11comp_targetILNS1_3genE2ELNS1_11target_archE906ELNS1_3gpuE6ELNS1_3repE0EEENS1_30default_config_static_selectorELNS0_4arch9wavefront6targetE1EEEvSM_.numbered_sgpr, 28
	.set _ZN7rocprim17ROCPRIM_400000_NS6detail17trampoline_kernelINS0_14default_configENS1_22reduce_config_selectorIlEEZNS1_11reduce_implILb1ES3_PlS7_lN6hipcub16HIPCUB_304000_NS6detail34convert_binary_result_type_wrapperINS9_3SumENS9_22TransformInputIteratorIb7NonZeroIdEPdlEElEEEE10hipError_tPvRmT1_T2_T3_mT4_P12ihipStream_tbEUlT_E1_NS1_11comp_targetILNS1_3genE2ELNS1_11target_archE906ELNS1_3gpuE6ELNS1_3repE0EEENS1_30default_config_static_selectorELNS0_4arch9wavefront6targetE1EEEvSM_.num_named_barrier, 0
	.set _ZN7rocprim17ROCPRIM_400000_NS6detail17trampoline_kernelINS0_14default_configENS1_22reduce_config_selectorIlEEZNS1_11reduce_implILb1ES3_PlS7_lN6hipcub16HIPCUB_304000_NS6detail34convert_binary_result_type_wrapperINS9_3SumENS9_22TransformInputIteratorIb7NonZeroIdEPdlEElEEEE10hipError_tPvRmT1_T2_T3_mT4_P12ihipStream_tbEUlT_E1_NS1_11comp_targetILNS1_3genE2ELNS1_11target_archE906ELNS1_3gpuE6ELNS1_3repE0EEENS1_30default_config_static_selectorELNS0_4arch9wavefront6targetE1EEEvSM_.private_seg_size, 0
	.set _ZN7rocprim17ROCPRIM_400000_NS6detail17trampoline_kernelINS0_14default_configENS1_22reduce_config_selectorIlEEZNS1_11reduce_implILb1ES3_PlS7_lN6hipcub16HIPCUB_304000_NS6detail34convert_binary_result_type_wrapperINS9_3SumENS9_22TransformInputIteratorIb7NonZeroIdEPdlEElEEEE10hipError_tPvRmT1_T2_T3_mT4_P12ihipStream_tbEUlT_E1_NS1_11comp_targetILNS1_3genE2ELNS1_11target_archE906ELNS1_3gpuE6ELNS1_3repE0EEENS1_30default_config_static_selectorELNS0_4arch9wavefront6targetE1EEEvSM_.uses_vcc, 1
	.set _ZN7rocprim17ROCPRIM_400000_NS6detail17trampoline_kernelINS0_14default_configENS1_22reduce_config_selectorIlEEZNS1_11reduce_implILb1ES3_PlS7_lN6hipcub16HIPCUB_304000_NS6detail34convert_binary_result_type_wrapperINS9_3SumENS9_22TransformInputIteratorIb7NonZeroIdEPdlEElEEEE10hipError_tPvRmT1_T2_T3_mT4_P12ihipStream_tbEUlT_E1_NS1_11comp_targetILNS1_3genE2ELNS1_11target_archE906ELNS1_3gpuE6ELNS1_3repE0EEENS1_30default_config_static_selectorELNS0_4arch9wavefront6targetE1EEEvSM_.uses_flat_scratch, 0
	.set _ZN7rocprim17ROCPRIM_400000_NS6detail17trampoline_kernelINS0_14default_configENS1_22reduce_config_selectorIlEEZNS1_11reduce_implILb1ES3_PlS7_lN6hipcub16HIPCUB_304000_NS6detail34convert_binary_result_type_wrapperINS9_3SumENS9_22TransformInputIteratorIb7NonZeroIdEPdlEElEEEE10hipError_tPvRmT1_T2_T3_mT4_P12ihipStream_tbEUlT_E1_NS1_11comp_targetILNS1_3genE2ELNS1_11target_archE906ELNS1_3gpuE6ELNS1_3repE0EEENS1_30default_config_static_selectorELNS0_4arch9wavefront6targetE1EEEvSM_.has_dyn_sized_stack, 0
	.set _ZN7rocprim17ROCPRIM_400000_NS6detail17trampoline_kernelINS0_14default_configENS1_22reduce_config_selectorIlEEZNS1_11reduce_implILb1ES3_PlS7_lN6hipcub16HIPCUB_304000_NS6detail34convert_binary_result_type_wrapperINS9_3SumENS9_22TransformInputIteratorIb7NonZeroIdEPdlEElEEEE10hipError_tPvRmT1_T2_T3_mT4_P12ihipStream_tbEUlT_E1_NS1_11comp_targetILNS1_3genE2ELNS1_11target_archE906ELNS1_3gpuE6ELNS1_3repE0EEENS1_30default_config_static_selectorELNS0_4arch9wavefront6targetE1EEEvSM_.has_recursion, 0
	.set _ZN7rocprim17ROCPRIM_400000_NS6detail17trampoline_kernelINS0_14default_configENS1_22reduce_config_selectorIlEEZNS1_11reduce_implILb1ES3_PlS7_lN6hipcub16HIPCUB_304000_NS6detail34convert_binary_result_type_wrapperINS9_3SumENS9_22TransformInputIteratorIb7NonZeroIdEPdlEElEEEE10hipError_tPvRmT1_T2_T3_mT4_P12ihipStream_tbEUlT_E1_NS1_11comp_targetILNS1_3genE2ELNS1_11target_archE906ELNS1_3gpuE6ELNS1_3repE0EEENS1_30default_config_static_selectorELNS0_4arch9wavefront6targetE1EEEvSM_.has_indirect_call, 0
	.section	.AMDGPU.csdata,"",@progbits
; Kernel info:
; codeLenInByte = 8996
; TotalNumSgprs: 32
; NumVgprs: 34
; ScratchSize: 0
; MemoryBound: 0
; FloatMode: 240
; IeeeMode: 1
; LDSByteSize: 192 bytes/workgroup (compile time only)
; SGPRBlocks: 3
; VGPRBlocks: 8
; NumSGPRsForWavesPerEU: 32
; NumVGPRsForWavesPerEU: 34
; Occupancy: 7
; WaveLimiterHint : 1
; COMPUTE_PGM_RSRC2:SCRATCH_EN: 0
; COMPUTE_PGM_RSRC2:USER_SGPR: 6
; COMPUTE_PGM_RSRC2:TRAP_HANDLER: 0
; COMPUTE_PGM_RSRC2:TGID_X_EN: 1
; COMPUTE_PGM_RSRC2:TGID_Y_EN: 0
; COMPUTE_PGM_RSRC2:TGID_Z_EN: 0
; COMPUTE_PGM_RSRC2:TIDIG_COMP_CNT: 0
	.section	.text._ZN7rocprim17ROCPRIM_400000_NS6detail17trampoline_kernelINS0_14default_configENS1_22reduce_config_selectorIlEEZNS1_11reduce_implILb1ES3_PlS7_lN6hipcub16HIPCUB_304000_NS6detail34convert_binary_result_type_wrapperINS9_3SumENS9_22TransformInputIteratorIb7NonZeroIdEPdlEElEEEE10hipError_tPvRmT1_T2_T3_mT4_P12ihipStream_tbEUlT_E1_NS1_11comp_targetILNS1_3genE10ELNS1_11target_archE1201ELNS1_3gpuE5ELNS1_3repE0EEENS1_30default_config_static_selectorELNS0_4arch9wavefront6targetE1EEEvSM_,"axG",@progbits,_ZN7rocprim17ROCPRIM_400000_NS6detail17trampoline_kernelINS0_14default_configENS1_22reduce_config_selectorIlEEZNS1_11reduce_implILb1ES3_PlS7_lN6hipcub16HIPCUB_304000_NS6detail34convert_binary_result_type_wrapperINS9_3SumENS9_22TransformInputIteratorIb7NonZeroIdEPdlEElEEEE10hipError_tPvRmT1_T2_T3_mT4_P12ihipStream_tbEUlT_E1_NS1_11comp_targetILNS1_3genE10ELNS1_11target_archE1201ELNS1_3gpuE5ELNS1_3repE0EEENS1_30default_config_static_selectorELNS0_4arch9wavefront6targetE1EEEvSM_,comdat
	.protected	_ZN7rocprim17ROCPRIM_400000_NS6detail17trampoline_kernelINS0_14default_configENS1_22reduce_config_selectorIlEEZNS1_11reduce_implILb1ES3_PlS7_lN6hipcub16HIPCUB_304000_NS6detail34convert_binary_result_type_wrapperINS9_3SumENS9_22TransformInputIteratorIb7NonZeroIdEPdlEElEEEE10hipError_tPvRmT1_T2_T3_mT4_P12ihipStream_tbEUlT_E1_NS1_11comp_targetILNS1_3genE10ELNS1_11target_archE1201ELNS1_3gpuE5ELNS1_3repE0EEENS1_30default_config_static_selectorELNS0_4arch9wavefront6targetE1EEEvSM_ ; -- Begin function _ZN7rocprim17ROCPRIM_400000_NS6detail17trampoline_kernelINS0_14default_configENS1_22reduce_config_selectorIlEEZNS1_11reduce_implILb1ES3_PlS7_lN6hipcub16HIPCUB_304000_NS6detail34convert_binary_result_type_wrapperINS9_3SumENS9_22TransformInputIteratorIb7NonZeroIdEPdlEElEEEE10hipError_tPvRmT1_T2_T3_mT4_P12ihipStream_tbEUlT_E1_NS1_11comp_targetILNS1_3genE10ELNS1_11target_archE1201ELNS1_3gpuE5ELNS1_3repE0EEENS1_30default_config_static_selectorELNS0_4arch9wavefront6targetE1EEEvSM_
	.globl	_ZN7rocprim17ROCPRIM_400000_NS6detail17trampoline_kernelINS0_14default_configENS1_22reduce_config_selectorIlEEZNS1_11reduce_implILb1ES3_PlS7_lN6hipcub16HIPCUB_304000_NS6detail34convert_binary_result_type_wrapperINS9_3SumENS9_22TransformInputIteratorIb7NonZeroIdEPdlEElEEEE10hipError_tPvRmT1_T2_T3_mT4_P12ihipStream_tbEUlT_E1_NS1_11comp_targetILNS1_3genE10ELNS1_11target_archE1201ELNS1_3gpuE5ELNS1_3repE0EEENS1_30default_config_static_selectorELNS0_4arch9wavefront6targetE1EEEvSM_
	.p2align	8
	.type	_ZN7rocprim17ROCPRIM_400000_NS6detail17trampoline_kernelINS0_14default_configENS1_22reduce_config_selectorIlEEZNS1_11reduce_implILb1ES3_PlS7_lN6hipcub16HIPCUB_304000_NS6detail34convert_binary_result_type_wrapperINS9_3SumENS9_22TransformInputIteratorIb7NonZeroIdEPdlEElEEEE10hipError_tPvRmT1_T2_T3_mT4_P12ihipStream_tbEUlT_E1_NS1_11comp_targetILNS1_3genE10ELNS1_11target_archE1201ELNS1_3gpuE5ELNS1_3repE0EEENS1_30default_config_static_selectorELNS0_4arch9wavefront6targetE1EEEvSM_,@function
_ZN7rocprim17ROCPRIM_400000_NS6detail17trampoline_kernelINS0_14default_configENS1_22reduce_config_selectorIlEEZNS1_11reduce_implILb1ES3_PlS7_lN6hipcub16HIPCUB_304000_NS6detail34convert_binary_result_type_wrapperINS9_3SumENS9_22TransformInputIteratorIb7NonZeroIdEPdlEElEEEE10hipError_tPvRmT1_T2_T3_mT4_P12ihipStream_tbEUlT_E1_NS1_11comp_targetILNS1_3genE10ELNS1_11target_archE1201ELNS1_3gpuE5ELNS1_3repE0EEENS1_30default_config_static_selectorELNS0_4arch9wavefront6targetE1EEEvSM_: ; @_ZN7rocprim17ROCPRIM_400000_NS6detail17trampoline_kernelINS0_14default_configENS1_22reduce_config_selectorIlEEZNS1_11reduce_implILb1ES3_PlS7_lN6hipcub16HIPCUB_304000_NS6detail34convert_binary_result_type_wrapperINS9_3SumENS9_22TransformInputIteratorIb7NonZeroIdEPdlEElEEEE10hipError_tPvRmT1_T2_T3_mT4_P12ihipStream_tbEUlT_E1_NS1_11comp_targetILNS1_3genE10ELNS1_11target_archE1201ELNS1_3gpuE5ELNS1_3repE0EEENS1_30default_config_static_selectorELNS0_4arch9wavefront6targetE1EEEvSM_
; %bb.0:
	.section	.rodata,"a",@progbits
	.p2align	6, 0x0
	.amdhsa_kernel _ZN7rocprim17ROCPRIM_400000_NS6detail17trampoline_kernelINS0_14default_configENS1_22reduce_config_selectorIlEEZNS1_11reduce_implILb1ES3_PlS7_lN6hipcub16HIPCUB_304000_NS6detail34convert_binary_result_type_wrapperINS9_3SumENS9_22TransformInputIteratorIb7NonZeroIdEPdlEElEEEE10hipError_tPvRmT1_T2_T3_mT4_P12ihipStream_tbEUlT_E1_NS1_11comp_targetILNS1_3genE10ELNS1_11target_archE1201ELNS1_3gpuE5ELNS1_3repE0EEENS1_30default_config_static_selectorELNS0_4arch9wavefront6targetE1EEEvSM_
		.amdhsa_group_segment_fixed_size 0
		.amdhsa_private_segment_fixed_size 0
		.amdhsa_kernarg_size 48
		.amdhsa_user_sgpr_count 6
		.amdhsa_user_sgpr_private_segment_buffer 1
		.amdhsa_user_sgpr_dispatch_ptr 0
		.amdhsa_user_sgpr_queue_ptr 0
		.amdhsa_user_sgpr_kernarg_segment_ptr 1
		.amdhsa_user_sgpr_dispatch_id 0
		.amdhsa_user_sgpr_flat_scratch_init 0
		.amdhsa_user_sgpr_private_segment_size 0
		.amdhsa_uses_dynamic_stack 0
		.amdhsa_system_sgpr_private_segment_wavefront_offset 0
		.amdhsa_system_sgpr_workgroup_id_x 1
		.amdhsa_system_sgpr_workgroup_id_y 0
		.amdhsa_system_sgpr_workgroup_id_z 0
		.amdhsa_system_sgpr_workgroup_info 0
		.amdhsa_system_vgpr_workitem_id 0
		.amdhsa_next_free_vgpr 1
		.amdhsa_next_free_sgpr 0
		.amdhsa_reserve_vcc 0
		.amdhsa_reserve_flat_scratch 0
		.amdhsa_float_round_mode_32 0
		.amdhsa_float_round_mode_16_64 0
		.amdhsa_float_denorm_mode_32 3
		.amdhsa_float_denorm_mode_16_64 3
		.amdhsa_dx10_clamp 1
		.amdhsa_ieee_mode 1
		.amdhsa_fp16_overflow 0
		.amdhsa_exception_fp_ieee_invalid_op 0
		.amdhsa_exception_fp_denorm_src 0
		.amdhsa_exception_fp_ieee_div_zero 0
		.amdhsa_exception_fp_ieee_overflow 0
		.amdhsa_exception_fp_ieee_underflow 0
		.amdhsa_exception_fp_ieee_inexact 0
		.amdhsa_exception_int_div_zero 0
	.end_amdhsa_kernel
	.section	.text._ZN7rocprim17ROCPRIM_400000_NS6detail17trampoline_kernelINS0_14default_configENS1_22reduce_config_selectorIlEEZNS1_11reduce_implILb1ES3_PlS7_lN6hipcub16HIPCUB_304000_NS6detail34convert_binary_result_type_wrapperINS9_3SumENS9_22TransformInputIteratorIb7NonZeroIdEPdlEElEEEE10hipError_tPvRmT1_T2_T3_mT4_P12ihipStream_tbEUlT_E1_NS1_11comp_targetILNS1_3genE10ELNS1_11target_archE1201ELNS1_3gpuE5ELNS1_3repE0EEENS1_30default_config_static_selectorELNS0_4arch9wavefront6targetE1EEEvSM_,"axG",@progbits,_ZN7rocprim17ROCPRIM_400000_NS6detail17trampoline_kernelINS0_14default_configENS1_22reduce_config_selectorIlEEZNS1_11reduce_implILb1ES3_PlS7_lN6hipcub16HIPCUB_304000_NS6detail34convert_binary_result_type_wrapperINS9_3SumENS9_22TransformInputIteratorIb7NonZeroIdEPdlEElEEEE10hipError_tPvRmT1_T2_T3_mT4_P12ihipStream_tbEUlT_E1_NS1_11comp_targetILNS1_3genE10ELNS1_11target_archE1201ELNS1_3gpuE5ELNS1_3repE0EEENS1_30default_config_static_selectorELNS0_4arch9wavefront6targetE1EEEvSM_,comdat
.Lfunc_end299:
	.size	_ZN7rocprim17ROCPRIM_400000_NS6detail17trampoline_kernelINS0_14default_configENS1_22reduce_config_selectorIlEEZNS1_11reduce_implILb1ES3_PlS7_lN6hipcub16HIPCUB_304000_NS6detail34convert_binary_result_type_wrapperINS9_3SumENS9_22TransformInputIteratorIb7NonZeroIdEPdlEElEEEE10hipError_tPvRmT1_T2_T3_mT4_P12ihipStream_tbEUlT_E1_NS1_11comp_targetILNS1_3genE10ELNS1_11target_archE1201ELNS1_3gpuE5ELNS1_3repE0EEENS1_30default_config_static_selectorELNS0_4arch9wavefront6targetE1EEEvSM_, .Lfunc_end299-_ZN7rocprim17ROCPRIM_400000_NS6detail17trampoline_kernelINS0_14default_configENS1_22reduce_config_selectorIlEEZNS1_11reduce_implILb1ES3_PlS7_lN6hipcub16HIPCUB_304000_NS6detail34convert_binary_result_type_wrapperINS9_3SumENS9_22TransformInputIteratorIb7NonZeroIdEPdlEElEEEE10hipError_tPvRmT1_T2_T3_mT4_P12ihipStream_tbEUlT_E1_NS1_11comp_targetILNS1_3genE10ELNS1_11target_archE1201ELNS1_3gpuE5ELNS1_3repE0EEENS1_30default_config_static_selectorELNS0_4arch9wavefront6targetE1EEEvSM_
                                        ; -- End function
	.set _ZN7rocprim17ROCPRIM_400000_NS6detail17trampoline_kernelINS0_14default_configENS1_22reduce_config_selectorIlEEZNS1_11reduce_implILb1ES3_PlS7_lN6hipcub16HIPCUB_304000_NS6detail34convert_binary_result_type_wrapperINS9_3SumENS9_22TransformInputIteratorIb7NonZeroIdEPdlEElEEEE10hipError_tPvRmT1_T2_T3_mT4_P12ihipStream_tbEUlT_E1_NS1_11comp_targetILNS1_3genE10ELNS1_11target_archE1201ELNS1_3gpuE5ELNS1_3repE0EEENS1_30default_config_static_selectorELNS0_4arch9wavefront6targetE1EEEvSM_.num_vgpr, 0
	.set _ZN7rocprim17ROCPRIM_400000_NS6detail17trampoline_kernelINS0_14default_configENS1_22reduce_config_selectorIlEEZNS1_11reduce_implILb1ES3_PlS7_lN6hipcub16HIPCUB_304000_NS6detail34convert_binary_result_type_wrapperINS9_3SumENS9_22TransformInputIteratorIb7NonZeroIdEPdlEElEEEE10hipError_tPvRmT1_T2_T3_mT4_P12ihipStream_tbEUlT_E1_NS1_11comp_targetILNS1_3genE10ELNS1_11target_archE1201ELNS1_3gpuE5ELNS1_3repE0EEENS1_30default_config_static_selectorELNS0_4arch9wavefront6targetE1EEEvSM_.num_agpr, 0
	.set _ZN7rocprim17ROCPRIM_400000_NS6detail17trampoline_kernelINS0_14default_configENS1_22reduce_config_selectorIlEEZNS1_11reduce_implILb1ES3_PlS7_lN6hipcub16HIPCUB_304000_NS6detail34convert_binary_result_type_wrapperINS9_3SumENS9_22TransformInputIteratorIb7NonZeroIdEPdlEElEEEE10hipError_tPvRmT1_T2_T3_mT4_P12ihipStream_tbEUlT_E1_NS1_11comp_targetILNS1_3genE10ELNS1_11target_archE1201ELNS1_3gpuE5ELNS1_3repE0EEENS1_30default_config_static_selectorELNS0_4arch9wavefront6targetE1EEEvSM_.numbered_sgpr, 0
	.set _ZN7rocprim17ROCPRIM_400000_NS6detail17trampoline_kernelINS0_14default_configENS1_22reduce_config_selectorIlEEZNS1_11reduce_implILb1ES3_PlS7_lN6hipcub16HIPCUB_304000_NS6detail34convert_binary_result_type_wrapperINS9_3SumENS9_22TransformInputIteratorIb7NonZeroIdEPdlEElEEEE10hipError_tPvRmT1_T2_T3_mT4_P12ihipStream_tbEUlT_E1_NS1_11comp_targetILNS1_3genE10ELNS1_11target_archE1201ELNS1_3gpuE5ELNS1_3repE0EEENS1_30default_config_static_selectorELNS0_4arch9wavefront6targetE1EEEvSM_.num_named_barrier, 0
	.set _ZN7rocprim17ROCPRIM_400000_NS6detail17trampoline_kernelINS0_14default_configENS1_22reduce_config_selectorIlEEZNS1_11reduce_implILb1ES3_PlS7_lN6hipcub16HIPCUB_304000_NS6detail34convert_binary_result_type_wrapperINS9_3SumENS9_22TransformInputIteratorIb7NonZeroIdEPdlEElEEEE10hipError_tPvRmT1_T2_T3_mT4_P12ihipStream_tbEUlT_E1_NS1_11comp_targetILNS1_3genE10ELNS1_11target_archE1201ELNS1_3gpuE5ELNS1_3repE0EEENS1_30default_config_static_selectorELNS0_4arch9wavefront6targetE1EEEvSM_.private_seg_size, 0
	.set _ZN7rocprim17ROCPRIM_400000_NS6detail17trampoline_kernelINS0_14default_configENS1_22reduce_config_selectorIlEEZNS1_11reduce_implILb1ES3_PlS7_lN6hipcub16HIPCUB_304000_NS6detail34convert_binary_result_type_wrapperINS9_3SumENS9_22TransformInputIteratorIb7NonZeroIdEPdlEElEEEE10hipError_tPvRmT1_T2_T3_mT4_P12ihipStream_tbEUlT_E1_NS1_11comp_targetILNS1_3genE10ELNS1_11target_archE1201ELNS1_3gpuE5ELNS1_3repE0EEENS1_30default_config_static_selectorELNS0_4arch9wavefront6targetE1EEEvSM_.uses_vcc, 0
	.set _ZN7rocprim17ROCPRIM_400000_NS6detail17trampoline_kernelINS0_14default_configENS1_22reduce_config_selectorIlEEZNS1_11reduce_implILb1ES3_PlS7_lN6hipcub16HIPCUB_304000_NS6detail34convert_binary_result_type_wrapperINS9_3SumENS9_22TransformInputIteratorIb7NonZeroIdEPdlEElEEEE10hipError_tPvRmT1_T2_T3_mT4_P12ihipStream_tbEUlT_E1_NS1_11comp_targetILNS1_3genE10ELNS1_11target_archE1201ELNS1_3gpuE5ELNS1_3repE0EEENS1_30default_config_static_selectorELNS0_4arch9wavefront6targetE1EEEvSM_.uses_flat_scratch, 0
	.set _ZN7rocprim17ROCPRIM_400000_NS6detail17trampoline_kernelINS0_14default_configENS1_22reduce_config_selectorIlEEZNS1_11reduce_implILb1ES3_PlS7_lN6hipcub16HIPCUB_304000_NS6detail34convert_binary_result_type_wrapperINS9_3SumENS9_22TransformInputIteratorIb7NonZeroIdEPdlEElEEEE10hipError_tPvRmT1_T2_T3_mT4_P12ihipStream_tbEUlT_E1_NS1_11comp_targetILNS1_3genE10ELNS1_11target_archE1201ELNS1_3gpuE5ELNS1_3repE0EEENS1_30default_config_static_selectorELNS0_4arch9wavefront6targetE1EEEvSM_.has_dyn_sized_stack, 0
	.set _ZN7rocprim17ROCPRIM_400000_NS6detail17trampoline_kernelINS0_14default_configENS1_22reduce_config_selectorIlEEZNS1_11reduce_implILb1ES3_PlS7_lN6hipcub16HIPCUB_304000_NS6detail34convert_binary_result_type_wrapperINS9_3SumENS9_22TransformInputIteratorIb7NonZeroIdEPdlEElEEEE10hipError_tPvRmT1_T2_T3_mT4_P12ihipStream_tbEUlT_E1_NS1_11comp_targetILNS1_3genE10ELNS1_11target_archE1201ELNS1_3gpuE5ELNS1_3repE0EEENS1_30default_config_static_selectorELNS0_4arch9wavefront6targetE1EEEvSM_.has_recursion, 0
	.set _ZN7rocprim17ROCPRIM_400000_NS6detail17trampoline_kernelINS0_14default_configENS1_22reduce_config_selectorIlEEZNS1_11reduce_implILb1ES3_PlS7_lN6hipcub16HIPCUB_304000_NS6detail34convert_binary_result_type_wrapperINS9_3SumENS9_22TransformInputIteratorIb7NonZeroIdEPdlEElEEEE10hipError_tPvRmT1_T2_T3_mT4_P12ihipStream_tbEUlT_E1_NS1_11comp_targetILNS1_3genE10ELNS1_11target_archE1201ELNS1_3gpuE5ELNS1_3repE0EEENS1_30default_config_static_selectorELNS0_4arch9wavefront6targetE1EEEvSM_.has_indirect_call, 0
	.section	.AMDGPU.csdata,"",@progbits
; Kernel info:
; codeLenInByte = 0
; TotalNumSgprs: 4
; NumVgprs: 0
; ScratchSize: 0
; MemoryBound: 0
; FloatMode: 240
; IeeeMode: 1
; LDSByteSize: 0 bytes/workgroup (compile time only)
; SGPRBlocks: 0
; VGPRBlocks: 0
; NumSGPRsForWavesPerEU: 4
; NumVGPRsForWavesPerEU: 1
; Occupancy: 10
; WaveLimiterHint : 0
; COMPUTE_PGM_RSRC2:SCRATCH_EN: 0
; COMPUTE_PGM_RSRC2:USER_SGPR: 6
; COMPUTE_PGM_RSRC2:TRAP_HANDLER: 0
; COMPUTE_PGM_RSRC2:TGID_X_EN: 1
; COMPUTE_PGM_RSRC2:TGID_Y_EN: 0
; COMPUTE_PGM_RSRC2:TGID_Z_EN: 0
; COMPUTE_PGM_RSRC2:TIDIG_COMP_CNT: 0
	.section	.text._ZN7rocprim17ROCPRIM_400000_NS6detail17trampoline_kernelINS0_14default_configENS1_22reduce_config_selectorIlEEZNS1_11reduce_implILb1ES3_PlS7_lN6hipcub16HIPCUB_304000_NS6detail34convert_binary_result_type_wrapperINS9_3SumENS9_22TransformInputIteratorIb7NonZeroIdEPdlEElEEEE10hipError_tPvRmT1_T2_T3_mT4_P12ihipStream_tbEUlT_E1_NS1_11comp_targetILNS1_3genE10ELNS1_11target_archE1200ELNS1_3gpuE4ELNS1_3repE0EEENS1_30default_config_static_selectorELNS0_4arch9wavefront6targetE1EEEvSM_,"axG",@progbits,_ZN7rocprim17ROCPRIM_400000_NS6detail17trampoline_kernelINS0_14default_configENS1_22reduce_config_selectorIlEEZNS1_11reduce_implILb1ES3_PlS7_lN6hipcub16HIPCUB_304000_NS6detail34convert_binary_result_type_wrapperINS9_3SumENS9_22TransformInputIteratorIb7NonZeroIdEPdlEElEEEE10hipError_tPvRmT1_T2_T3_mT4_P12ihipStream_tbEUlT_E1_NS1_11comp_targetILNS1_3genE10ELNS1_11target_archE1200ELNS1_3gpuE4ELNS1_3repE0EEENS1_30default_config_static_selectorELNS0_4arch9wavefront6targetE1EEEvSM_,comdat
	.protected	_ZN7rocprim17ROCPRIM_400000_NS6detail17trampoline_kernelINS0_14default_configENS1_22reduce_config_selectorIlEEZNS1_11reduce_implILb1ES3_PlS7_lN6hipcub16HIPCUB_304000_NS6detail34convert_binary_result_type_wrapperINS9_3SumENS9_22TransformInputIteratorIb7NonZeroIdEPdlEElEEEE10hipError_tPvRmT1_T2_T3_mT4_P12ihipStream_tbEUlT_E1_NS1_11comp_targetILNS1_3genE10ELNS1_11target_archE1200ELNS1_3gpuE4ELNS1_3repE0EEENS1_30default_config_static_selectorELNS0_4arch9wavefront6targetE1EEEvSM_ ; -- Begin function _ZN7rocprim17ROCPRIM_400000_NS6detail17trampoline_kernelINS0_14default_configENS1_22reduce_config_selectorIlEEZNS1_11reduce_implILb1ES3_PlS7_lN6hipcub16HIPCUB_304000_NS6detail34convert_binary_result_type_wrapperINS9_3SumENS9_22TransformInputIteratorIb7NonZeroIdEPdlEElEEEE10hipError_tPvRmT1_T2_T3_mT4_P12ihipStream_tbEUlT_E1_NS1_11comp_targetILNS1_3genE10ELNS1_11target_archE1200ELNS1_3gpuE4ELNS1_3repE0EEENS1_30default_config_static_selectorELNS0_4arch9wavefront6targetE1EEEvSM_
	.globl	_ZN7rocprim17ROCPRIM_400000_NS6detail17trampoline_kernelINS0_14default_configENS1_22reduce_config_selectorIlEEZNS1_11reduce_implILb1ES3_PlS7_lN6hipcub16HIPCUB_304000_NS6detail34convert_binary_result_type_wrapperINS9_3SumENS9_22TransformInputIteratorIb7NonZeroIdEPdlEElEEEE10hipError_tPvRmT1_T2_T3_mT4_P12ihipStream_tbEUlT_E1_NS1_11comp_targetILNS1_3genE10ELNS1_11target_archE1200ELNS1_3gpuE4ELNS1_3repE0EEENS1_30default_config_static_selectorELNS0_4arch9wavefront6targetE1EEEvSM_
	.p2align	8
	.type	_ZN7rocprim17ROCPRIM_400000_NS6detail17trampoline_kernelINS0_14default_configENS1_22reduce_config_selectorIlEEZNS1_11reduce_implILb1ES3_PlS7_lN6hipcub16HIPCUB_304000_NS6detail34convert_binary_result_type_wrapperINS9_3SumENS9_22TransformInputIteratorIb7NonZeroIdEPdlEElEEEE10hipError_tPvRmT1_T2_T3_mT4_P12ihipStream_tbEUlT_E1_NS1_11comp_targetILNS1_3genE10ELNS1_11target_archE1200ELNS1_3gpuE4ELNS1_3repE0EEENS1_30default_config_static_selectorELNS0_4arch9wavefront6targetE1EEEvSM_,@function
_ZN7rocprim17ROCPRIM_400000_NS6detail17trampoline_kernelINS0_14default_configENS1_22reduce_config_selectorIlEEZNS1_11reduce_implILb1ES3_PlS7_lN6hipcub16HIPCUB_304000_NS6detail34convert_binary_result_type_wrapperINS9_3SumENS9_22TransformInputIteratorIb7NonZeroIdEPdlEElEEEE10hipError_tPvRmT1_T2_T3_mT4_P12ihipStream_tbEUlT_E1_NS1_11comp_targetILNS1_3genE10ELNS1_11target_archE1200ELNS1_3gpuE4ELNS1_3repE0EEENS1_30default_config_static_selectorELNS0_4arch9wavefront6targetE1EEEvSM_: ; @_ZN7rocprim17ROCPRIM_400000_NS6detail17trampoline_kernelINS0_14default_configENS1_22reduce_config_selectorIlEEZNS1_11reduce_implILb1ES3_PlS7_lN6hipcub16HIPCUB_304000_NS6detail34convert_binary_result_type_wrapperINS9_3SumENS9_22TransformInputIteratorIb7NonZeroIdEPdlEElEEEE10hipError_tPvRmT1_T2_T3_mT4_P12ihipStream_tbEUlT_E1_NS1_11comp_targetILNS1_3genE10ELNS1_11target_archE1200ELNS1_3gpuE4ELNS1_3repE0EEENS1_30default_config_static_selectorELNS0_4arch9wavefront6targetE1EEEvSM_
; %bb.0:
	.section	.rodata,"a",@progbits
	.p2align	6, 0x0
	.amdhsa_kernel _ZN7rocprim17ROCPRIM_400000_NS6detail17trampoline_kernelINS0_14default_configENS1_22reduce_config_selectorIlEEZNS1_11reduce_implILb1ES3_PlS7_lN6hipcub16HIPCUB_304000_NS6detail34convert_binary_result_type_wrapperINS9_3SumENS9_22TransformInputIteratorIb7NonZeroIdEPdlEElEEEE10hipError_tPvRmT1_T2_T3_mT4_P12ihipStream_tbEUlT_E1_NS1_11comp_targetILNS1_3genE10ELNS1_11target_archE1200ELNS1_3gpuE4ELNS1_3repE0EEENS1_30default_config_static_selectorELNS0_4arch9wavefront6targetE1EEEvSM_
		.amdhsa_group_segment_fixed_size 0
		.amdhsa_private_segment_fixed_size 0
		.amdhsa_kernarg_size 48
		.amdhsa_user_sgpr_count 6
		.amdhsa_user_sgpr_private_segment_buffer 1
		.amdhsa_user_sgpr_dispatch_ptr 0
		.amdhsa_user_sgpr_queue_ptr 0
		.amdhsa_user_sgpr_kernarg_segment_ptr 1
		.amdhsa_user_sgpr_dispatch_id 0
		.amdhsa_user_sgpr_flat_scratch_init 0
		.amdhsa_user_sgpr_private_segment_size 0
		.amdhsa_uses_dynamic_stack 0
		.amdhsa_system_sgpr_private_segment_wavefront_offset 0
		.amdhsa_system_sgpr_workgroup_id_x 1
		.amdhsa_system_sgpr_workgroup_id_y 0
		.amdhsa_system_sgpr_workgroup_id_z 0
		.amdhsa_system_sgpr_workgroup_info 0
		.amdhsa_system_vgpr_workitem_id 0
		.amdhsa_next_free_vgpr 1
		.amdhsa_next_free_sgpr 0
		.amdhsa_reserve_vcc 0
		.amdhsa_reserve_flat_scratch 0
		.amdhsa_float_round_mode_32 0
		.amdhsa_float_round_mode_16_64 0
		.amdhsa_float_denorm_mode_32 3
		.amdhsa_float_denorm_mode_16_64 3
		.amdhsa_dx10_clamp 1
		.amdhsa_ieee_mode 1
		.amdhsa_fp16_overflow 0
		.amdhsa_exception_fp_ieee_invalid_op 0
		.amdhsa_exception_fp_denorm_src 0
		.amdhsa_exception_fp_ieee_div_zero 0
		.amdhsa_exception_fp_ieee_overflow 0
		.amdhsa_exception_fp_ieee_underflow 0
		.amdhsa_exception_fp_ieee_inexact 0
		.amdhsa_exception_int_div_zero 0
	.end_amdhsa_kernel
	.section	.text._ZN7rocprim17ROCPRIM_400000_NS6detail17trampoline_kernelINS0_14default_configENS1_22reduce_config_selectorIlEEZNS1_11reduce_implILb1ES3_PlS7_lN6hipcub16HIPCUB_304000_NS6detail34convert_binary_result_type_wrapperINS9_3SumENS9_22TransformInputIteratorIb7NonZeroIdEPdlEElEEEE10hipError_tPvRmT1_T2_T3_mT4_P12ihipStream_tbEUlT_E1_NS1_11comp_targetILNS1_3genE10ELNS1_11target_archE1200ELNS1_3gpuE4ELNS1_3repE0EEENS1_30default_config_static_selectorELNS0_4arch9wavefront6targetE1EEEvSM_,"axG",@progbits,_ZN7rocprim17ROCPRIM_400000_NS6detail17trampoline_kernelINS0_14default_configENS1_22reduce_config_selectorIlEEZNS1_11reduce_implILb1ES3_PlS7_lN6hipcub16HIPCUB_304000_NS6detail34convert_binary_result_type_wrapperINS9_3SumENS9_22TransformInputIteratorIb7NonZeroIdEPdlEElEEEE10hipError_tPvRmT1_T2_T3_mT4_P12ihipStream_tbEUlT_E1_NS1_11comp_targetILNS1_3genE10ELNS1_11target_archE1200ELNS1_3gpuE4ELNS1_3repE0EEENS1_30default_config_static_selectorELNS0_4arch9wavefront6targetE1EEEvSM_,comdat
.Lfunc_end300:
	.size	_ZN7rocprim17ROCPRIM_400000_NS6detail17trampoline_kernelINS0_14default_configENS1_22reduce_config_selectorIlEEZNS1_11reduce_implILb1ES3_PlS7_lN6hipcub16HIPCUB_304000_NS6detail34convert_binary_result_type_wrapperINS9_3SumENS9_22TransformInputIteratorIb7NonZeroIdEPdlEElEEEE10hipError_tPvRmT1_T2_T3_mT4_P12ihipStream_tbEUlT_E1_NS1_11comp_targetILNS1_3genE10ELNS1_11target_archE1200ELNS1_3gpuE4ELNS1_3repE0EEENS1_30default_config_static_selectorELNS0_4arch9wavefront6targetE1EEEvSM_, .Lfunc_end300-_ZN7rocprim17ROCPRIM_400000_NS6detail17trampoline_kernelINS0_14default_configENS1_22reduce_config_selectorIlEEZNS1_11reduce_implILb1ES3_PlS7_lN6hipcub16HIPCUB_304000_NS6detail34convert_binary_result_type_wrapperINS9_3SumENS9_22TransformInputIteratorIb7NonZeroIdEPdlEElEEEE10hipError_tPvRmT1_T2_T3_mT4_P12ihipStream_tbEUlT_E1_NS1_11comp_targetILNS1_3genE10ELNS1_11target_archE1200ELNS1_3gpuE4ELNS1_3repE0EEENS1_30default_config_static_selectorELNS0_4arch9wavefront6targetE1EEEvSM_
                                        ; -- End function
	.set _ZN7rocprim17ROCPRIM_400000_NS6detail17trampoline_kernelINS0_14default_configENS1_22reduce_config_selectorIlEEZNS1_11reduce_implILb1ES3_PlS7_lN6hipcub16HIPCUB_304000_NS6detail34convert_binary_result_type_wrapperINS9_3SumENS9_22TransformInputIteratorIb7NonZeroIdEPdlEElEEEE10hipError_tPvRmT1_T2_T3_mT4_P12ihipStream_tbEUlT_E1_NS1_11comp_targetILNS1_3genE10ELNS1_11target_archE1200ELNS1_3gpuE4ELNS1_3repE0EEENS1_30default_config_static_selectorELNS0_4arch9wavefront6targetE1EEEvSM_.num_vgpr, 0
	.set _ZN7rocprim17ROCPRIM_400000_NS6detail17trampoline_kernelINS0_14default_configENS1_22reduce_config_selectorIlEEZNS1_11reduce_implILb1ES3_PlS7_lN6hipcub16HIPCUB_304000_NS6detail34convert_binary_result_type_wrapperINS9_3SumENS9_22TransformInputIteratorIb7NonZeroIdEPdlEElEEEE10hipError_tPvRmT1_T2_T3_mT4_P12ihipStream_tbEUlT_E1_NS1_11comp_targetILNS1_3genE10ELNS1_11target_archE1200ELNS1_3gpuE4ELNS1_3repE0EEENS1_30default_config_static_selectorELNS0_4arch9wavefront6targetE1EEEvSM_.num_agpr, 0
	.set _ZN7rocprim17ROCPRIM_400000_NS6detail17trampoline_kernelINS0_14default_configENS1_22reduce_config_selectorIlEEZNS1_11reduce_implILb1ES3_PlS7_lN6hipcub16HIPCUB_304000_NS6detail34convert_binary_result_type_wrapperINS9_3SumENS9_22TransformInputIteratorIb7NonZeroIdEPdlEElEEEE10hipError_tPvRmT1_T2_T3_mT4_P12ihipStream_tbEUlT_E1_NS1_11comp_targetILNS1_3genE10ELNS1_11target_archE1200ELNS1_3gpuE4ELNS1_3repE0EEENS1_30default_config_static_selectorELNS0_4arch9wavefront6targetE1EEEvSM_.numbered_sgpr, 0
	.set _ZN7rocprim17ROCPRIM_400000_NS6detail17trampoline_kernelINS0_14default_configENS1_22reduce_config_selectorIlEEZNS1_11reduce_implILb1ES3_PlS7_lN6hipcub16HIPCUB_304000_NS6detail34convert_binary_result_type_wrapperINS9_3SumENS9_22TransformInputIteratorIb7NonZeroIdEPdlEElEEEE10hipError_tPvRmT1_T2_T3_mT4_P12ihipStream_tbEUlT_E1_NS1_11comp_targetILNS1_3genE10ELNS1_11target_archE1200ELNS1_3gpuE4ELNS1_3repE0EEENS1_30default_config_static_selectorELNS0_4arch9wavefront6targetE1EEEvSM_.num_named_barrier, 0
	.set _ZN7rocprim17ROCPRIM_400000_NS6detail17trampoline_kernelINS0_14default_configENS1_22reduce_config_selectorIlEEZNS1_11reduce_implILb1ES3_PlS7_lN6hipcub16HIPCUB_304000_NS6detail34convert_binary_result_type_wrapperINS9_3SumENS9_22TransformInputIteratorIb7NonZeroIdEPdlEElEEEE10hipError_tPvRmT1_T2_T3_mT4_P12ihipStream_tbEUlT_E1_NS1_11comp_targetILNS1_3genE10ELNS1_11target_archE1200ELNS1_3gpuE4ELNS1_3repE0EEENS1_30default_config_static_selectorELNS0_4arch9wavefront6targetE1EEEvSM_.private_seg_size, 0
	.set _ZN7rocprim17ROCPRIM_400000_NS6detail17trampoline_kernelINS0_14default_configENS1_22reduce_config_selectorIlEEZNS1_11reduce_implILb1ES3_PlS7_lN6hipcub16HIPCUB_304000_NS6detail34convert_binary_result_type_wrapperINS9_3SumENS9_22TransformInputIteratorIb7NonZeroIdEPdlEElEEEE10hipError_tPvRmT1_T2_T3_mT4_P12ihipStream_tbEUlT_E1_NS1_11comp_targetILNS1_3genE10ELNS1_11target_archE1200ELNS1_3gpuE4ELNS1_3repE0EEENS1_30default_config_static_selectorELNS0_4arch9wavefront6targetE1EEEvSM_.uses_vcc, 0
	.set _ZN7rocprim17ROCPRIM_400000_NS6detail17trampoline_kernelINS0_14default_configENS1_22reduce_config_selectorIlEEZNS1_11reduce_implILb1ES3_PlS7_lN6hipcub16HIPCUB_304000_NS6detail34convert_binary_result_type_wrapperINS9_3SumENS9_22TransformInputIteratorIb7NonZeroIdEPdlEElEEEE10hipError_tPvRmT1_T2_T3_mT4_P12ihipStream_tbEUlT_E1_NS1_11comp_targetILNS1_3genE10ELNS1_11target_archE1200ELNS1_3gpuE4ELNS1_3repE0EEENS1_30default_config_static_selectorELNS0_4arch9wavefront6targetE1EEEvSM_.uses_flat_scratch, 0
	.set _ZN7rocprim17ROCPRIM_400000_NS6detail17trampoline_kernelINS0_14default_configENS1_22reduce_config_selectorIlEEZNS1_11reduce_implILb1ES3_PlS7_lN6hipcub16HIPCUB_304000_NS6detail34convert_binary_result_type_wrapperINS9_3SumENS9_22TransformInputIteratorIb7NonZeroIdEPdlEElEEEE10hipError_tPvRmT1_T2_T3_mT4_P12ihipStream_tbEUlT_E1_NS1_11comp_targetILNS1_3genE10ELNS1_11target_archE1200ELNS1_3gpuE4ELNS1_3repE0EEENS1_30default_config_static_selectorELNS0_4arch9wavefront6targetE1EEEvSM_.has_dyn_sized_stack, 0
	.set _ZN7rocprim17ROCPRIM_400000_NS6detail17trampoline_kernelINS0_14default_configENS1_22reduce_config_selectorIlEEZNS1_11reduce_implILb1ES3_PlS7_lN6hipcub16HIPCUB_304000_NS6detail34convert_binary_result_type_wrapperINS9_3SumENS9_22TransformInputIteratorIb7NonZeroIdEPdlEElEEEE10hipError_tPvRmT1_T2_T3_mT4_P12ihipStream_tbEUlT_E1_NS1_11comp_targetILNS1_3genE10ELNS1_11target_archE1200ELNS1_3gpuE4ELNS1_3repE0EEENS1_30default_config_static_selectorELNS0_4arch9wavefront6targetE1EEEvSM_.has_recursion, 0
	.set _ZN7rocprim17ROCPRIM_400000_NS6detail17trampoline_kernelINS0_14default_configENS1_22reduce_config_selectorIlEEZNS1_11reduce_implILb1ES3_PlS7_lN6hipcub16HIPCUB_304000_NS6detail34convert_binary_result_type_wrapperINS9_3SumENS9_22TransformInputIteratorIb7NonZeroIdEPdlEElEEEE10hipError_tPvRmT1_T2_T3_mT4_P12ihipStream_tbEUlT_E1_NS1_11comp_targetILNS1_3genE10ELNS1_11target_archE1200ELNS1_3gpuE4ELNS1_3repE0EEENS1_30default_config_static_selectorELNS0_4arch9wavefront6targetE1EEEvSM_.has_indirect_call, 0
	.section	.AMDGPU.csdata,"",@progbits
; Kernel info:
; codeLenInByte = 0
; TotalNumSgprs: 4
; NumVgprs: 0
; ScratchSize: 0
; MemoryBound: 0
; FloatMode: 240
; IeeeMode: 1
; LDSByteSize: 0 bytes/workgroup (compile time only)
; SGPRBlocks: 0
; VGPRBlocks: 0
; NumSGPRsForWavesPerEU: 4
; NumVGPRsForWavesPerEU: 1
; Occupancy: 10
; WaveLimiterHint : 0
; COMPUTE_PGM_RSRC2:SCRATCH_EN: 0
; COMPUTE_PGM_RSRC2:USER_SGPR: 6
; COMPUTE_PGM_RSRC2:TRAP_HANDLER: 0
; COMPUTE_PGM_RSRC2:TGID_X_EN: 1
; COMPUTE_PGM_RSRC2:TGID_Y_EN: 0
; COMPUTE_PGM_RSRC2:TGID_Z_EN: 0
; COMPUTE_PGM_RSRC2:TIDIG_COMP_CNT: 0
	.section	.text._ZN7rocprim17ROCPRIM_400000_NS6detail17trampoline_kernelINS0_14default_configENS1_22reduce_config_selectorIlEEZNS1_11reduce_implILb1ES3_PlS7_lN6hipcub16HIPCUB_304000_NS6detail34convert_binary_result_type_wrapperINS9_3SumENS9_22TransformInputIteratorIb7NonZeroIdEPdlEElEEEE10hipError_tPvRmT1_T2_T3_mT4_P12ihipStream_tbEUlT_E1_NS1_11comp_targetILNS1_3genE9ELNS1_11target_archE1100ELNS1_3gpuE3ELNS1_3repE0EEENS1_30default_config_static_selectorELNS0_4arch9wavefront6targetE1EEEvSM_,"axG",@progbits,_ZN7rocprim17ROCPRIM_400000_NS6detail17trampoline_kernelINS0_14default_configENS1_22reduce_config_selectorIlEEZNS1_11reduce_implILb1ES3_PlS7_lN6hipcub16HIPCUB_304000_NS6detail34convert_binary_result_type_wrapperINS9_3SumENS9_22TransformInputIteratorIb7NonZeroIdEPdlEElEEEE10hipError_tPvRmT1_T2_T3_mT4_P12ihipStream_tbEUlT_E1_NS1_11comp_targetILNS1_3genE9ELNS1_11target_archE1100ELNS1_3gpuE3ELNS1_3repE0EEENS1_30default_config_static_selectorELNS0_4arch9wavefront6targetE1EEEvSM_,comdat
	.protected	_ZN7rocprim17ROCPRIM_400000_NS6detail17trampoline_kernelINS0_14default_configENS1_22reduce_config_selectorIlEEZNS1_11reduce_implILb1ES3_PlS7_lN6hipcub16HIPCUB_304000_NS6detail34convert_binary_result_type_wrapperINS9_3SumENS9_22TransformInputIteratorIb7NonZeroIdEPdlEElEEEE10hipError_tPvRmT1_T2_T3_mT4_P12ihipStream_tbEUlT_E1_NS1_11comp_targetILNS1_3genE9ELNS1_11target_archE1100ELNS1_3gpuE3ELNS1_3repE0EEENS1_30default_config_static_selectorELNS0_4arch9wavefront6targetE1EEEvSM_ ; -- Begin function _ZN7rocprim17ROCPRIM_400000_NS6detail17trampoline_kernelINS0_14default_configENS1_22reduce_config_selectorIlEEZNS1_11reduce_implILb1ES3_PlS7_lN6hipcub16HIPCUB_304000_NS6detail34convert_binary_result_type_wrapperINS9_3SumENS9_22TransformInputIteratorIb7NonZeroIdEPdlEElEEEE10hipError_tPvRmT1_T2_T3_mT4_P12ihipStream_tbEUlT_E1_NS1_11comp_targetILNS1_3genE9ELNS1_11target_archE1100ELNS1_3gpuE3ELNS1_3repE0EEENS1_30default_config_static_selectorELNS0_4arch9wavefront6targetE1EEEvSM_
	.globl	_ZN7rocprim17ROCPRIM_400000_NS6detail17trampoline_kernelINS0_14default_configENS1_22reduce_config_selectorIlEEZNS1_11reduce_implILb1ES3_PlS7_lN6hipcub16HIPCUB_304000_NS6detail34convert_binary_result_type_wrapperINS9_3SumENS9_22TransformInputIteratorIb7NonZeroIdEPdlEElEEEE10hipError_tPvRmT1_T2_T3_mT4_P12ihipStream_tbEUlT_E1_NS1_11comp_targetILNS1_3genE9ELNS1_11target_archE1100ELNS1_3gpuE3ELNS1_3repE0EEENS1_30default_config_static_selectorELNS0_4arch9wavefront6targetE1EEEvSM_
	.p2align	8
	.type	_ZN7rocprim17ROCPRIM_400000_NS6detail17trampoline_kernelINS0_14default_configENS1_22reduce_config_selectorIlEEZNS1_11reduce_implILb1ES3_PlS7_lN6hipcub16HIPCUB_304000_NS6detail34convert_binary_result_type_wrapperINS9_3SumENS9_22TransformInputIteratorIb7NonZeroIdEPdlEElEEEE10hipError_tPvRmT1_T2_T3_mT4_P12ihipStream_tbEUlT_E1_NS1_11comp_targetILNS1_3genE9ELNS1_11target_archE1100ELNS1_3gpuE3ELNS1_3repE0EEENS1_30default_config_static_selectorELNS0_4arch9wavefront6targetE1EEEvSM_,@function
_ZN7rocprim17ROCPRIM_400000_NS6detail17trampoline_kernelINS0_14default_configENS1_22reduce_config_selectorIlEEZNS1_11reduce_implILb1ES3_PlS7_lN6hipcub16HIPCUB_304000_NS6detail34convert_binary_result_type_wrapperINS9_3SumENS9_22TransformInputIteratorIb7NonZeroIdEPdlEElEEEE10hipError_tPvRmT1_T2_T3_mT4_P12ihipStream_tbEUlT_E1_NS1_11comp_targetILNS1_3genE9ELNS1_11target_archE1100ELNS1_3gpuE3ELNS1_3repE0EEENS1_30default_config_static_selectorELNS0_4arch9wavefront6targetE1EEEvSM_: ; @_ZN7rocprim17ROCPRIM_400000_NS6detail17trampoline_kernelINS0_14default_configENS1_22reduce_config_selectorIlEEZNS1_11reduce_implILb1ES3_PlS7_lN6hipcub16HIPCUB_304000_NS6detail34convert_binary_result_type_wrapperINS9_3SumENS9_22TransformInputIteratorIb7NonZeroIdEPdlEElEEEE10hipError_tPvRmT1_T2_T3_mT4_P12ihipStream_tbEUlT_E1_NS1_11comp_targetILNS1_3genE9ELNS1_11target_archE1100ELNS1_3gpuE3ELNS1_3repE0EEENS1_30default_config_static_selectorELNS0_4arch9wavefront6targetE1EEEvSM_
; %bb.0:
	.section	.rodata,"a",@progbits
	.p2align	6, 0x0
	.amdhsa_kernel _ZN7rocprim17ROCPRIM_400000_NS6detail17trampoline_kernelINS0_14default_configENS1_22reduce_config_selectorIlEEZNS1_11reduce_implILb1ES3_PlS7_lN6hipcub16HIPCUB_304000_NS6detail34convert_binary_result_type_wrapperINS9_3SumENS9_22TransformInputIteratorIb7NonZeroIdEPdlEElEEEE10hipError_tPvRmT1_T2_T3_mT4_P12ihipStream_tbEUlT_E1_NS1_11comp_targetILNS1_3genE9ELNS1_11target_archE1100ELNS1_3gpuE3ELNS1_3repE0EEENS1_30default_config_static_selectorELNS0_4arch9wavefront6targetE1EEEvSM_
		.amdhsa_group_segment_fixed_size 0
		.amdhsa_private_segment_fixed_size 0
		.amdhsa_kernarg_size 48
		.amdhsa_user_sgpr_count 6
		.amdhsa_user_sgpr_private_segment_buffer 1
		.amdhsa_user_sgpr_dispatch_ptr 0
		.amdhsa_user_sgpr_queue_ptr 0
		.amdhsa_user_sgpr_kernarg_segment_ptr 1
		.amdhsa_user_sgpr_dispatch_id 0
		.amdhsa_user_sgpr_flat_scratch_init 0
		.amdhsa_user_sgpr_private_segment_size 0
		.amdhsa_uses_dynamic_stack 0
		.amdhsa_system_sgpr_private_segment_wavefront_offset 0
		.amdhsa_system_sgpr_workgroup_id_x 1
		.amdhsa_system_sgpr_workgroup_id_y 0
		.amdhsa_system_sgpr_workgroup_id_z 0
		.amdhsa_system_sgpr_workgroup_info 0
		.amdhsa_system_vgpr_workitem_id 0
		.amdhsa_next_free_vgpr 1
		.amdhsa_next_free_sgpr 0
		.amdhsa_reserve_vcc 0
		.amdhsa_reserve_flat_scratch 0
		.amdhsa_float_round_mode_32 0
		.amdhsa_float_round_mode_16_64 0
		.amdhsa_float_denorm_mode_32 3
		.amdhsa_float_denorm_mode_16_64 3
		.amdhsa_dx10_clamp 1
		.amdhsa_ieee_mode 1
		.amdhsa_fp16_overflow 0
		.amdhsa_exception_fp_ieee_invalid_op 0
		.amdhsa_exception_fp_denorm_src 0
		.amdhsa_exception_fp_ieee_div_zero 0
		.amdhsa_exception_fp_ieee_overflow 0
		.amdhsa_exception_fp_ieee_underflow 0
		.amdhsa_exception_fp_ieee_inexact 0
		.amdhsa_exception_int_div_zero 0
	.end_amdhsa_kernel
	.section	.text._ZN7rocprim17ROCPRIM_400000_NS6detail17trampoline_kernelINS0_14default_configENS1_22reduce_config_selectorIlEEZNS1_11reduce_implILb1ES3_PlS7_lN6hipcub16HIPCUB_304000_NS6detail34convert_binary_result_type_wrapperINS9_3SumENS9_22TransformInputIteratorIb7NonZeroIdEPdlEElEEEE10hipError_tPvRmT1_T2_T3_mT4_P12ihipStream_tbEUlT_E1_NS1_11comp_targetILNS1_3genE9ELNS1_11target_archE1100ELNS1_3gpuE3ELNS1_3repE0EEENS1_30default_config_static_selectorELNS0_4arch9wavefront6targetE1EEEvSM_,"axG",@progbits,_ZN7rocprim17ROCPRIM_400000_NS6detail17trampoline_kernelINS0_14default_configENS1_22reduce_config_selectorIlEEZNS1_11reduce_implILb1ES3_PlS7_lN6hipcub16HIPCUB_304000_NS6detail34convert_binary_result_type_wrapperINS9_3SumENS9_22TransformInputIteratorIb7NonZeroIdEPdlEElEEEE10hipError_tPvRmT1_T2_T3_mT4_P12ihipStream_tbEUlT_E1_NS1_11comp_targetILNS1_3genE9ELNS1_11target_archE1100ELNS1_3gpuE3ELNS1_3repE0EEENS1_30default_config_static_selectorELNS0_4arch9wavefront6targetE1EEEvSM_,comdat
.Lfunc_end301:
	.size	_ZN7rocprim17ROCPRIM_400000_NS6detail17trampoline_kernelINS0_14default_configENS1_22reduce_config_selectorIlEEZNS1_11reduce_implILb1ES3_PlS7_lN6hipcub16HIPCUB_304000_NS6detail34convert_binary_result_type_wrapperINS9_3SumENS9_22TransformInputIteratorIb7NonZeroIdEPdlEElEEEE10hipError_tPvRmT1_T2_T3_mT4_P12ihipStream_tbEUlT_E1_NS1_11comp_targetILNS1_3genE9ELNS1_11target_archE1100ELNS1_3gpuE3ELNS1_3repE0EEENS1_30default_config_static_selectorELNS0_4arch9wavefront6targetE1EEEvSM_, .Lfunc_end301-_ZN7rocprim17ROCPRIM_400000_NS6detail17trampoline_kernelINS0_14default_configENS1_22reduce_config_selectorIlEEZNS1_11reduce_implILb1ES3_PlS7_lN6hipcub16HIPCUB_304000_NS6detail34convert_binary_result_type_wrapperINS9_3SumENS9_22TransformInputIteratorIb7NonZeroIdEPdlEElEEEE10hipError_tPvRmT1_T2_T3_mT4_P12ihipStream_tbEUlT_E1_NS1_11comp_targetILNS1_3genE9ELNS1_11target_archE1100ELNS1_3gpuE3ELNS1_3repE0EEENS1_30default_config_static_selectorELNS0_4arch9wavefront6targetE1EEEvSM_
                                        ; -- End function
	.set _ZN7rocprim17ROCPRIM_400000_NS6detail17trampoline_kernelINS0_14default_configENS1_22reduce_config_selectorIlEEZNS1_11reduce_implILb1ES3_PlS7_lN6hipcub16HIPCUB_304000_NS6detail34convert_binary_result_type_wrapperINS9_3SumENS9_22TransformInputIteratorIb7NonZeroIdEPdlEElEEEE10hipError_tPvRmT1_T2_T3_mT4_P12ihipStream_tbEUlT_E1_NS1_11comp_targetILNS1_3genE9ELNS1_11target_archE1100ELNS1_3gpuE3ELNS1_3repE0EEENS1_30default_config_static_selectorELNS0_4arch9wavefront6targetE1EEEvSM_.num_vgpr, 0
	.set _ZN7rocprim17ROCPRIM_400000_NS6detail17trampoline_kernelINS0_14default_configENS1_22reduce_config_selectorIlEEZNS1_11reduce_implILb1ES3_PlS7_lN6hipcub16HIPCUB_304000_NS6detail34convert_binary_result_type_wrapperINS9_3SumENS9_22TransformInputIteratorIb7NonZeroIdEPdlEElEEEE10hipError_tPvRmT1_T2_T3_mT4_P12ihipStream_tbEUlT_E1_NS1_11comp_targetILNS1_3genE9ELNS1_11target_archE1100ELNS1_3gpuE3ELNS1_3repE0EEENS1_30default_config_static_selectorELNS0_4arch9wavefront6targetE1EEEvSM_.num_agpr, 0
	.set _ZN7rocprim17ROCPRIM_400000_NS6detail17trampoline_kernelINS0_14default_configENS1_22reduce_config_selectorIlEEZNS1_11reduce_implILb1ES3_PlS7_lN6hipcub16HIPCUB_304000_NS6detail34convert_binary_result_type_wrapperINS9_3SumENS9_22TransformInputIteratorIb7NonZeroIdEPdlEElEEEE10hipError_tPvRmT1_T2_T3_mT4_P12ihipStream_tbEUlT_E1_NS1_11comp_targetILNS1_3genE9ELNS1_11target_archE1100ELNS1_3gpuE3ELNS1_3repE0EEENS1_30default_config_static_selectorELNS0_4arch9wavefront6targetE1EEEvSM_.numbered_sgpr, 0
	.set _ZN7rocprim17ROCPRIM_400000_NS6detail17trampoline_kernelINS0_14default_configENS1_22reduce_config_selectorIlEEZNS1_11reduce_implILb1ES3_PlS7_lN6hipcub16HIPCUB_304000_NS6detail34convert_binary_result_type_wrapperINS9_3SumENS9_22TransformInputIteratorIb7NonZeroIdEPdlEElEEEE10hipError_tPvRmT1_T2_T3_mT4_P12ihipStream_tbEUlT_E1_NS1_11comp_targetILNS1_3genE9ELNS1_11target_archE1100ELNS1_3gpuE3ELNS1_3repE0EEENS1_30default_config_static_selectorELNS0_4arch9wavefront6targetE1EEEvSM_.num_named_barrier, 0
	.set _ZN7rocprim17ROCPRIM_400000_NS6detail17trampoline_kernelINS0_14default_configENS1_22reduce_config_selectorIlEEZNS1_11reduce_implILb1ES3_PlS7_lN6hipcub16HIPCUB_304000_NS6detail34convert_binary_result_type_wrapperINS9_3SumENS9_22TransformInputIteratorIb7NonZeroIdEPdlEElEEEE10hipError_tPvRmT1_T2_T3_mT4_P12ihipStream_tbEUlT_E1_NS1_11comp_targetILNS1_3genE9ELNS1_11target_archE1100ELNS1_3gpuE3ELNS1_3repE0EEENS1_30default_config_static_selectorELNS0_4arch9wavefront6targetE1EEEvSM_.private_seg_size, 0
	.set _ZN7rocprim17ROCPRIM_400000_NS6detail17trampoline_kernelINS0_14default_configENS1_22reduce_config_selectorIlEEZNS1_11reduce_implILb1ES3_PlS7_lN6hipcub16HIPCUB_304000_NS6detail34convert_binary_result_type_wrapperINS9_3SumENS9_22TransformInputIteratorIb7NonZeroIdEPdlEElEEEE10hipError_tPvRmT1_T2_T3_mT4_P12ihipStream_tbEUlT_E1_NS1_11comp_targetILNS1_3genE9ELNS1_11target_archE1100ELNS1_3gpuE3ELNS1_3repE0EEENS1_30default_config_static_selectorELNS0_4arch9wavefront6targetE1EEEvSM_.uses_vcc, 0
	.set _ZN7rocprim17ROCPRIM_400000_NS6detail17trampoline_kernelINS0_14default_configENS1_22reduce_config_selectorIlEEZNS1_11reduce_implILb1ES3_PlS7_lN6hipcub16HIPCUB_304000_NS6detail34convert_binary_result_type_wrapperINS9_3SumENS9_22TransformInputIteratorIb7NonZeroIdEPdlEElEEEE10hipError_tPvRmT1_T2_T3_mT4_P12ihipStream_tbEUlT_E1_NS1_11comp_targetILNS1_3genE9ELNS1_11target_archE1100ELNS1_3gpuE3ELNS1_3repE0EEENS1_30default_config_static_selectorELNS0_4arch9wavefront6targetE1EEEvSM_.uses_flat_scratch, 0
	.set _ZN7rocprim17ROCPRIM_400000_NS6detail17trampoline_kernelINS0_14default_configENS1_22reduce_config_selectorIlEEZNS1_11reduce_implILb1ES3_PlS7_lN6hipcub16HIPCUB_304000_NS6detail34convert_binary_result_type_wrapperINS9_3SumENS9_22TransformInputIteratorIb7NonZeroIdEPdlEElEEEE10hipError_tPvRmT1_T2_T3_mT4_P12ihipStream_tbEUlT_E1_NS1_11comp_targetILNS1_3genE9ELNS1_11target_archE1100ELNS1_3gpuE3ELNS1_3repE0EEENS1_30default_config_static_selectorELNS0_4arch9wavefront6targetE1EEEvSM_.has_dyn_sized_stack, 0
	.set _ZN7rocprim17ROCPRIM_400000_NS6detail17trampoline_kernelINS0_14default_configENS1_22reduce_config_selectorIlEEZNS1_11reduce_implILb1ES3_PlS7_lN6hipcub16HIPCUB_304000_NS6detail34convert_binary_result_type_wrapperINS9_3SumENS9_22TransformInputIteratorIb7NonZeroIdEPdlEElEEEE10hipError_tPvRmT1_T2_T3_mT4_P12ihipStream_tbEUlT_E1_NS1_11comp_targetILNS1_3genE9ELNS1_11target_archE1100ELNS1_3gpuE3ELNS1_3repE0EEENS1_30default_config_static_selectorELNS0_4arch9wavefront6targetE1EEEvSM_.has_recursion, 0
	.set _ZN7rocprim17ROCPRIM_400000_NS6detail17trampoline_kernelINS0_14default_configENS1_22reduce_config_selectorIlEEZNS1_11reduce_implILb1ES3_PlS7_lN6hipcub16HIPCUB_304000_NS6detail34convert_binary_result_type_wrapperINS9_3SumENS9_22TransformInputIteratorIb7NonZeroIdEPdlEElEEEE10hipError_tPvRmT1_T2_T3_mT4_P12ihipStream_tbEUlT_E1_NS1_11comp_targetILNS1_3genE9ELNS1_11target_archE1100ELNS1_3gpuE3ELNS1_3repE0EEENS1_30default_config_static_selectorELNS0_4arch9wavefront6targetE1EEEvSM_.has_indirect_call, 0
	.section	.AMDGPU.csdata,"",@progbits
; Kernel info:
; codeLenInByte = 0
; TotalNumSgprs: 4
; NumVgprs: 0
; ScratchSize: 0
; MemoryBound: 0
; FloatMode: 240
; IeeeMode: 1
; LDSByteSize: 0 bytes/workgroup (compile time only)
; SGPRBlocks: 0
; VGPRBlocks: 0
; NumSGPRsForWavesPerEU: 4
; NumVGPRsForWavesPerEU: 1
; Occupancy: 10
; WaveLimiterHint : 0
; COMPUTE_PGM_RSRC2:SCRATCH_EN: 0
; COMPUTE_PGM_RSRC2:USER_SGPR: 6
; COMPUTE_PGM_RSRC2:TRAP_HANDLER: 0
; COMPUTE_PGM_RSRC2:TGID_X_EN: 1
; COMPUTE_PGM_RSRC2:TGID_Y_EN: 0
; COMPUTE_PGM_RSRC2:TGID_Z_EN: 0
; COMPUTE_PGM_RSRC2:TIDIG_COMP_CNT: 0
	.section	.text._ZN7rocprim17ROCPRIM_400000_NS6detail17trampoline_kernelINS0_14default_configENS1_22reduce_config_selectorIlEEZNS1_11reduce_implILb1ES3_PlS7_lN6hipcub16HIPCUB_304000_NS6detail34convert_binary_result_type_wrapperINS9_3SumENS9_22TransformInputIteratorIb7NonZeroIdEPdlEElEEEE10hipError_tPvRmT1_T2_T3_mT4_P12ihipStream_tbEUlT_E1_NS1_11comp_targetILNS1_3genE8ELNS1_11target_archE1030ELNS1_3gpuE2ELNS1_3repE0EEENS1_30default_config_static_selectorELNS0_4arch9wavefront6targetE1EEEvSM_,"axG",@progbits,_ZN7rocprim17ROCPRIM_400000_NS6detail17trampoline_kernelINS0_14default_configENS1_22reduce_config_selectorIlEEZNS1_11reduce_implILb1ES3_PlS7_lN6hipcub16HIPCUB_304000_NS6detail34convert_binary_result_type_wrapperINS9_3SumENS9_22TransformInputIteratorIb7NonZeroIdEPdlEElEEEE10hipError_tPvRmT1_T2_T3_mT4_P12ihipStream_tbEUlT_E1_NS1_11comp_targetILNS1_3genE8ELNS1_11target_archE1030ELNS1_3gpuE2ELNS1_3repE0EEENS1_30default_config_static_selectorELNS0_4arch9wavefront6targetE1EEEvSM_,comdat
	.protected	_ZN7rocprim17ROCPRIM_400000_NS6detail17trampoline_kernelINS0_14default_configENS1_22reduce_config_selectorIlEEZNS1_11reduce_implILb1ES3_PlS7_lN6hipcub16HIPCUB_304000_NS6detail34convert_binary_result_type_wrapperINS9_3SumENS9_22TransformInputIteratorIb7NonZeroIdEPdlEElEEEE10hipError_tPvRmT1_T2_T3_mT4_P12ihipStream_tbEUlT_E1_NS1_11comp_targetILNS1_3genE8ELNS1_11target_archE1030ELNS1_3gpuE2ELNS1_3repE0EEENS1_30default_config_static_selectorELNS0_4arch9wavefront6targetE1EEEvSM_ ; -- Begin function _ZN7rocprim17ROCPRIM_400000_NS6detail17trampoline_kernelINS0_14default_configENS1_22reduce_config_selectorIlEEZNS1_11reduce_implILb1ES3_PlS7_lN6hipcub16HIPCUB_304000_NS6detail34convert_binary_result_type_wrapperINS9_3SumENS9_22TransformInputIteratorIb7NonZeroIdEPdlEElEEEE10hipError_tPvRmT1_T2_T3_mT4_P12ihipStream_tbEUlT_E1_NS1_11comp_targetILNS1_3genE8ELNS1_11target_archE1030ELNS1_3gpuE2ELNS1_3repE0EEENS1_30default_config_static_selectorELNS0_4arch9wavefront6targetE1EEEvSM_
	.globl	_ZN7rocprim17ROCPRIM_400000_NS6detail17trampoline_kernelINS0_14default_configENS1_22reduce_config_selectorIlEEZNS1_11reduce_implILb1ES3_PlS7_lN6hipcub16HIPCUB_304000_NS6detail34convert_binary_result_type_wrapperINS9_3SumENS9_22TransformInputIteratorIb7NonZeroIdEPdlEElEEEE10hipError_tPvRmT1_T2_T3_mT4_P12ihipStream_tbEUlT_E1_NS1_11comp_targetILNS1_3genE8ELNS1_11target_archE1030ELNS1_3gpuE2ELNS1_3repE0EEENS1_30default_config_static_selectorELNS0_4arch9wavefront6targetE1EEEvSM_
	.p2align	8
	.type	_ZN7rocprim17ROCPRIM_400000_NS6detail17trampoline_kernelINS0_14default_configENS1_22reduce_config_selectorIlEEZNS1_11reduce_implILb1ES3_PlS7_lN6hipcub16HIPCUB_304000_NS6detail34convert_binary_result_type_wrapperINS9_3SumENS9_22TransformInputIteratorIb7NonZeroIdEPdlEElEEEE10hipError_tPvRmT1_T2_T3_mT4_P12ihipStream_tbEUlT_E1_NS1_11comp_targetILNS1_3genE8ELNS1_11target_archE1030ELNS1_3gpuE2ELNS1_3repE0EEENS1_30default_config_static_selectorELNS0_4arch9wavefront6targetE1EEEvSM_,@function
_ZN7rocprim17ROCPRIM_400000_NS6detail17trampoline_kernelINS0_14default_configENS1_22reduce_config_selectorIlEEZNS1_11reduce_implILb1ES3_PlS7_lN6hipcub16HIPCUB_304000_NS6detail34convert_binary_result_type_wrapperINS9_3SumENS9_22TransformInputIteratorIb7NonZeroIdEPdlEElEEEE10hipError_tPvRmT1_T2_T3_mT4_P12ihipStream_tbEUlT_E1_NS1_11comp_targetILNS1_3genE8ELNS1_11target_archE1030ELNS1_3gpuE2ELNS1_3repE0EEENS1_30default_config_static_selectorELNS0_4arch9wavefront6targetE1EEEvSM_: ; @_ZN7rocprim17ROCPRIM_400000_NS6detail17trampoline_kernelINS0_14default_configENS1_22reduce_config_selectorIlEEZNS1_11reduce_implILb1ES3_PlS7_lN6hipcub16HIPCUB_304000_NS6detail34convert_binary_result_type_wrapperINS9_3SumENS9_22TransformInputIteratorIb7NonZeroIdEPdlEElEEEE10hipError_tPvRmT1_T2_T3_mT4_P12ihipStream_tbEUlT_E1_NS1_11comp_targetILNS1_3genE8ELNS1_11target_archE1030ELNS1_3gpuE2ELNS1_3repE0EEENS1_30default_config_static_selectorELNS0_4arch9wavefront6targetE1EEEvSM_
; %bb.0:
	.section	.rodata,"a",@progbits
	.p2align	6, 0x0
	.amdhsa_kernel _ZN7rocprim17ROCPRIM_400000_NS6detail17trampoline_kernelINS0_14default_configENS1_22reduce_config_selectorIlEEZNS1_11reduce_implILb1ES3_PlS7_lN6hipcub16HIPCUB_304000_NS6detail34convert_binary_result_type_wrapperINS9_3SumENS9_22TransformInputIteratorIb7NonZeroIdEPdlEElEEEE10hipError_tPvRmT1_T2_T3_mT4_P12ihipStream_tbEUlT_E1_NS1_11comp_targetILNS1_3genE8ELNS1_11target_archE1030ELNS1_3gpuE2ELNS1_3repE0EEENS1_30default_config_static_selectorELNS0_4arch9wavefront6targetE1EEEvSM_
		.amdhsa_group_segment_fixed_size 0
		.amdhsa_private_segment_fixed_size 0
		.amdhsa_kernarg_size 48
		.amdhsa_user_sgpr_count 6
		.amdhsa_user_sgpr_private_segment_buffer 1
		.amdhsa_user_sgpr_dispatch_ptr 0
		.amdhsa_user_sgpr_queue_ptr 0
		.amdhsa_user_sgpr_kernarg_segment_ptr 1
		.amdhsa_user_sgpr_dispatch_id 0
		.amdhsa_user_sgpr_flat_scratch_init 0
		.amdhsa_user_sgpr_private_segment_size 0
		.amdhsa_uses_dynamic_stack 0
		.amdhsa_system_sgpr_private_segment_wavefront_offset 0
		.amdhsa_system_sgpr_workgroup_id_x 1
		.amdhsa_system_sgpr_workgroup_id_y 0
		.amdhsa_system_sgpr_workgroup_id_z 0
		.amdhsa_system_sgpr_workgroup_info 0
		.amdhsa_system_vgpr_workitem_id 0
		.amdhsa_next_free_vgpr 1
		.amdhsa_next_free_sgpr 0
		.amdhsa_reserve_vcc 0
		.amdhsa_reserve_flat_scratch 0
		.amdhsa_float_round_mode_32 0
		.amdhsa_float_round_mode_16_64 0
		.amdhsa_float_denorm_mode_32 3
		.amdhsa_float_denorm_mode_16_64 3
		.amdhsa_dx10_clamp 1
		.amdhsa_ieee_mode 1
		.amdhsa_fp16_overflow 0
		.amdhsa_exception_fp_ieee_invalid_op 0
		.amdhsa_exception_fp_denorm_src 0
		.amdhsa_exception_fp_ieee_div_zero 0
		.amdhsa_exception_fp_ieee_overflow 0
		.amdhsa_exception_fp_ieee_underflow 0
		.amdhsa_exception_fp_ieee_inexact 0
		.amdhsa_exception_int_div_zero 0
	.end_amdhsa_kernel
	.section	.text._ZN7rocprim17ROCPRIM_400000_NS6detail17trampoline_kernelINS0_14default_configENS1_22reduce_config_selectorIlEEZNS1_11reduce_implILb1ES3_PlS7_lN6hipcub16HIPCUB_304000_NS6detail34convert_binary_result_type_wrapperINS9_3SumENS9_22TransformInputIteratorIb7NonZeroIdEPdlEElEEEE10hipError_tPvRmT1_T2_T3_mT4_P12ihipStream_tbEUlT_E1_NS1_11comp_targetILNS1_3genE8ELNS1_11target_archE1030ELNS1_3gpuE2ELNS1_3repE0EEENS1_30default_config_static_selectorELNS0_4arch9wavefront6targetE1EEEvSM_,"axG",@progbits,_ZN7rocprim17ROCPRIM_400000_NS6detail17trampoline_kernelINS0_14default_configENS1_22reduce_config_selectorIlEEZNS1_11reduce_implILb1ES3_PlS7_lN6hipcub16HIPCUB_304000_NS6detail34convert_binary_result_type_wrapperINS9_3SumENS9_22TransformInputIteratorIb7NonZeroIdEPdlEElEEEE10hipError_tPvRmT1_T2_T3_mT4_P12ihipStream_tbEUlT_E1_NS1_11comp_targetILNS1_3genE8ELNS1_11target_archE1030ELNS1_3gpuE2ELNS1_3repE0EEENS1_30default_config_static_selectorELNS0_4arch9wavefront6targetE1EEEvSM_,comdat
.Lfunc_end302:
	.size	_ZN7rocprim17ROCPRIM_400000_NS6detail17trampoline_kernelINS0_14default_configENS1_22reduce_config_selectorIlEEZNS1_11reduce_implILb1ES3_PlS7_lN6hipcub16HIPCUB_304000_NS6detail34convert_binary_result_type_wrapperINS9_3SumENS9_22TransformInputIteratorIb7NonZeroIdEPdlEElEEEE10hipError_tPvRmT1_T2_T3_mT4_P12ihipStream_tbEUlT_E1_NS1_11comp_targetILNS1_3genE8ELNS1_11target_archE1030ELNS1_3gpuE2ELNS1_3repE0EEENS1_30default_config_static_selectorELNS0_4arch9wavefront6targetE1EEEvSM_, .Lfunc_end302-_ZN7rocprim17ROCPRIM_400000_NS6detail17trampoline_kernelINS0_14default_configENS1_22reduce_config_selectorIlEEZNS1_11reduce_implILb1ES3_PlS7_lN6hipcub16HIPCUB_304000_NS6detail34convert_binary_result_type_wrapperINS9_3SumENS9_22TransformInputIteratorIb7NonZeroIdEPdlEElEEEE10hipError_tPvRmT1_T2_T3_mT4_P12ihipStream_tbEUlT_E1_NS1_11comp_targetILNS1_3genE8ELNS1_11target_archE1030ELNS1_3gpuE2ELNS1_3repE0EEENS1_30default_config_static_selectorELNS0_4arch9wavefront6targetE1EEEvSM_
                                        ; -- End function
	.set _ZN7rocprim17ROCPRIM_400000_NS6detail17trampoline_kernelINS0_14default_configENS1_22reduce_config_selectorIlEEZNS1_11reduce_implILb1ES3_PlS7_lN6hipcub16HIPCUB_304000_NS6detail34convert_binary_result_type_wrapperINS9_3SumENS9_22TransformInputIteratorIb7NonZeroIdEPdlEElEEEE10hipError_tPvRmT1_T2_T3_mT4_P12ihipStream_tbEUlT_E1_NS1_11comp_targetILNS1_3genE8ELNS1_11target_archE1030ELNS1_3gpuE2ELNS1_3repE0EEENS1_30default_config_static_selectorELNS0_4arch9wavefront6targetE1EEEvSM_.num_vgpr, 0
	.set _ZN7rocprim17ROCPRIM_400000_NS6detail17trampoline_kernelINS0_14default_configENS1_22reduce_config_selectorIlEEZNS1_11reduce_implILb1ES3_PlS7_lN6hipcub16HIPCUB_304000_NS6detail34convert_binary_result_type_wrapperINS9_3SumENS9_22TransformInputIteratorIb7NonZeroIdEPdlEElEEEE10hipError_tPvRmT1_T2_T3_mT4_P12ihipStream_tbEUlT_E1_NS1_11comp_targetILNS1_3genE8ELNS1_11target_archE1030ELNS1_3gpuE2ELNS1_3repE0EEENS1_30default_config_static_selectorELNS0_4arch9wavefront6targetE1EEEvSM_.num_agpr, 0
	.set _ZN7rocprim17ROCPRIM_400000_NS6detail17trampoline_kernelINS0_14default_configENS1_22reduce_config_selectorIlEEZNS1_11reduce_implILb1ES3_PlS7_lN6hipcub16HIPCUB_304000_NS6detail34convert_binary_result_type_wrapperINS9_3SumENS9_22TransformInputIteratorIb7NonZeroIdEPdlEElEEEE10hipError_tPvRmT1_T2_T3_mT4_P12ihipStream_tbEUlT_E1_NS1_11comp_targetILNS1_3genE8ELNS1_11target_archE1030ELNS1_3gpuE2ELNS1_3repE0EEENS1_30default_config_static_selectorELNS0_4arch9wavefront6targetE1EEEvSM_.numbered_sgpr, 0
	.set _ZN7rocprim17ROCPRIM_400000_NS6detail17trampoline_kernelINS0_14default_configENS1_22reduce_config_selectorIlEEZNS1_11reduce_implILb1ES3_PlS7_lN6hipcub16HIPCUB_304000_NS6detail34convert_binary_result_type_wrapperINS9_3SumENS9_22TransformInputIteratorIb7NonZeroIdEPdlEElEEEE10hipError_tPvRmT1_T2_T3_mT4_P12ihipStream_tbEUlT_E1_NS1_11comp_targetILNS1_3genE8ELNS1_11target_archE1030ELNS1_3gpuE2ELNS1_3repE0EEENS1_30default_config_static_selectorELNS0_4arch9wavefront6targetE1EEEvSM_.num_named_barrier, 0
	.set _ZN7rocprim17ROCPRIM_400000_NS6detail17trampoline_kernelINS0_14default_configENS1_22reduce_config_selectorIlEEZNS1_11reduce_implILb1ES3_PlS7_lN6hipcub16HIPCUB_304000_NS6detail34convert_binary_result_type_wrapperINS9_3SumENS9_22TransformInputIteratorIb7NonZeroIdEPdlEElEEEE10hipError_tPvRmT1_T2_T3_mT4_P12ihipStream_tbEUlT_E1_NS1_11comp_targetILNS1_3genE8ELNS1_11target_archE1030ELNS1_3gpuE2ELNS1_3repE0EEENS1_30default_config_static_selectorELNS0_4arch9wavefront6targetE1EEEvSM_.private_seg_size, 0
	.set _ZN7rocprim17ROCPRIM_400000_NS6detail17trampoline_kernelINS0_14default_configENS1_22reduce_config_selectorIlEEZNS1_11reduce_implILb1ES3_PlS7_lN6hipcub16HIPCUB_304000_NS6detail34convert_binary_result_type_wrapperINS9_3SumENS9_22TransformInputIteratorIb7NonZeroIdEPdlEElEEEE10hipError_tPvRmT1_T2_T3_mT4_P12ihipStream_tbEUlT_E1_NS1_11comp_targetILNS1_3genE8ELNS1_11target_archE1030ELNS1_3gpuE2ELNS1_3repE0EEENS1_30default_config_static_selectorELNS0_4arch9wavefront6targetE1EEEvSM_.uses_vcc, 0
	.set _ZN7rocprim17ROCPRIM_400000_NS6detail17trampoline_kernelINS0_14default_configENS1_22reduce_config_selectorIlEEZNS1_11reduce_implILb1ES3_PlS7_lN6hipcub16HIPCUB_304000_NS6detail34convert_binary_result_type_wrapperINS9_3SumENS9_22TransformInputIteratorIb7NonZeroIdEPdlEElEEEE10hipError_tPvRmT1_T2_T3_mT4_P12ihipStream_tbEUlT_E1_NS1_11comp_targetILNS1_3genE8ELNS1_11target_archE1030ELNS1_3gpuE2ELNS1_3repE0EEENS1_30default_config_static_selectorELNS0_4arch9wavefront6targetE1EEEvSM_.uses_flat_scratch, 0
	.set _ZN7rocprim17ROCPRIM_400000_NS6detail17trampoline_kernelINS0_14default_configENS1_22reduce_config_selectorIlEEZNS1_11reduce_implILb1ES3_PlS7_lN6hipcub16HIPCUB_304000_NS6detail34convert_binary_result_type_wrapperINS9_3SumENS9_22TransformInputIteratorIb7NonZeroIdEPdlEElEEEE10hipError_tPvRmT1_T2_T3_mT4_P12ihipStream_tbEUlT_E1_NS1_11comp_targetILNS1_3genE8ELNS1_11target_archE1030ELNS1_3gpuE2ELNS1_3repE0EEENS1_30default_config_static_selectorELNS0_4arch9wavefront6targetE1EEEvSM_.has_dyn_sized_stack, 0
	.set _ZN7rocprim17ROCPRIM_400000_NS6detail17trampoline_kernelINS0_14default_configENS1_22reduce_config_selectorIlEEZNS1_11reduce_implILb1ES3_PlS7_lN6hipcub16HIPCUB_304000_NS6detail34convert_binary_result_type_wrapperINS9_3SumENS9_22TransformInputIteratorIb7NonZeroIdEPdlEElEEEE10hipError_tPvRmT1_T2_T3_mT4_P12ihipStream_tbEUlT_E1_NS1_11comp_targetILNS1_3genE8ELNS1_11target_archE1030ELNS1_3gpuE2ELNS1_3repE0EEENS1_30default_config_static_selectorELNS0_4arch9wavefront6targetE1EEEvSM_.has_recursion, 0
	.set _ZN7rocprim17ROCPRIM_400000_NS6detail17trampoline_kernelINS0_14default_configENS1_22reduce_config_selectorIlEEZNS1_11reduce_implILb1ES3_PlS7_lN6hipcub16HIPCUB_304000_NS6detail34convert_binary_result_type_wrapperINS9_3SumENS9_22TransformInputIteratorIb7NonZeroIdEPdlEElEEEE10hipError_tPvRmT1_T2_T3_mT4_P12ihipStream_tbEUlT_E1_NS1_11comp_targetILNS1_3genE8ELNS1_11target_archE1030ELNS1_3gpuE2ELNS1_3repE0EEENS1_30default_config_static_selectorELNS0_4arch9wavefront6targetE1EEEvSM_.has_indirect_call, 0
	.section	.AMDGPU.csdata,"",@progbits
; Kernel info:
; codeLenInByte = 0
; TotalNumSgprs: 4
; NumVgprs: 0
; ScratchSize: 0
; MemoryBound: 0
; FloatMode: 240
; IeeeMode: 1
; LDSByteSize: 0 bytes/workgroup (compile time only)
; SGPRBlocks: 0
; VGPRBlocks: 0
; NumSGPRsForWavesPerEU: 4
; NumVGPRsForWavesPerEU: 1
; Occupancy: 10
; WaveLimiterHint : 0
; COMPUTE_PGM_RSRC2:SCRATCH_EN: 0
; COMPUTE_PGM_RSRC2:USER_SGPR: 6
; COMPUTE_PGM_RSRC2:TRAP_HANDLER: 0
; COMPUTE_PGM_RSRC2:TGID_X_EN: 1
; COMPUTE_PGM_RSRC2:TGID_Y_EN: 0
; COMPUTE_PGM_RSRC2:TGID_Z_EN: 0
; COMPUTE_PGM_RSRC2:TIDIG_COMP_CNT: 0
	.section	.text._ZN7rocprim17ROCPRIM_400000_NS6detail17trampoline_kernelINS0_14default_configENS1_22reduce_config_selectorIbEEZNS1_11reduce_implILb1ES3_N6hipcub16HIPCUB_304000_NS22TransformInputIteratorIb7NonZeroIdEPdlEEPllNS8_6detail34convert_binary_result_type_wrapperINS8_3SumESD_lEEEE10hipError_tPvRmT1_T2_T3_mT4_P12ihipStream_tbEUlT_E0_NS1_11comp_targetILNS1_3genE0ELNS1_11target_archE4294967295ELNS1_3gpuE0ELNS1_3repE0EEENS1_30default_config_static_selectorELNS0_4arch9wavefront6targetE1EEEvSM_,"axG",@progbits,_ZN7rocprim17ROCPRIM_400000_NS6detail17trampoline_kernelINS0_14default_configENS1_22reduce_config_selectorIbEEZNS1_11reduce_implILb1ES3_N6hipcub16HIPCUB_304000_NS22TransformInputIteratorIb7NonZeroIdEPdlEEPllNS8_6detail34convert_binary_result_type_wrapperINS8_3SumESD_lEEEE10hipError_tPvRmT1_T2_T3_mT4_P12ihipStream_tbEUlT_E0_NS1_11comp_targetILNS1_3genE0ELNS1_11target_archE4294967295ELNS1_3gpuE0ELNS1_3repE0EEENS1_30default_config_static_selectorELNS0_4arch9wavefront6targetE1EEEvSM_,comdat
	.protected	_ZN7rocprim17ROCPRIM_400000_NS6detail17trampoline_kernelINS0_14default_configENS1_22reduce_config_selectorIbEEZNS1_11reduce_implILb1ES3_N6hipcub16HIPCUB_304000_NS22TransformInputIteratorIb7NonZeroIdEPdlEEPllNS8_6detail34convert_binary_result_type_wrapperINS8_3SumESD_lEEEE10hipError_tPvRmT1_T2_T3_mT4_P12ihipStream_tbEUlT_E0_NS1_11comp_targetILNS1_3genE0ELNS1_11target_archE4294967295ELNS1_3gpuE0ELNS1_3repE0EEENS1_30default_config_static_selectorELNS0_4arch9wavefront6targetE1EEEvSM_ ; -- Begin function _ZN7rocprim17ROCPRIM_400000_NS6detail17trampoline_kernelINS0_14default_configENS1_22reduce_config_selectorIbEEZNS1_11reduce_implILb1ES3_N6hipcub16HIPCUB_304000_NS22TransformInputIteratorIb7NonZeroIdEPdlEEPllNS8_6detail34convert_binary_result_type_wrapperINS8_3SumESD_lEEEE10hipError_tPvRmT1_T2_T3_mT4_P12ihipStream_tbEUlT_E0_NS1_11comp_targetILNS1_3genE0ELNS1_11target_archE4294967295ELNS1_3gpuE0ELNS1_3repE0EEENS1_30default_config_static_selectorELNS0_4arch9wavefront6targetE1EEEvSM_
	.globl	_ZN7rocprim17ROCPRIM_400000_NS6detail17trampoline_kernelINS0_14default_configENS1_22reduce_config_selectorIbEEZNS1_11reduce_implILb1ES3_N6hipcub16HIPCUB_304000_NS22TransformInputIteratorIb7NonZeroIdEPdlEEPllNS8_6detail34convert_binary_result_type_wrapperINS8_3SumESD_lEEEE10hipError_tPvRmT1_T2_T3_mT4_P12ihipStream_tbEUlT_E0_NS1_11comp_targetILNS1_3genE0ELNS1_11target_archE4294967295ELNS1_3gpuE0ELNS1_3repE0EEENS1_30default_config_static_selectorELNS0_4arch9wavefront6targetE1EEEvSM_
	.p2align	8
	.type	_ZN7rocprim17ROCPRIM_400000_NS6detail17trampoline_kernelINS0_14default_configENS1_22reduce_config_selectorIbEEZNS1_11reduce_implILb1ES3_N6hipcub16HIPCUB_304000_NS22TransformInputIteratorIb7NonZeroIdEPdlEEPllNS8_6detail34convert_binary_result_type_wrapperINS8_3SumESD_lEEEE10hipError_tPvRmT1_T2_T3_mT4_P12ihipStream_tbEUlT_E0_NS1_11comp_targetILNS1_3genE0ELNS1_11target_archE4294967295ELNS1_3gpuE0ELNS1_3repE0EEENS1_30default_config_static_selectorELNS0_4arch9wavefront6targetE1EEEvSM_,@function
_ZN7rocprim17ROCPRIM_400000_NS6detail17trampoline_kernelINS0_14default_configENS1_22reduce_config_selectorIbEEZNS1_11reduce_implILb1ES3_N6hipcub16HIPCUB_304000_NS22TransformInputIteratorIb7NonZeroIdEPdlEEPllNS8_6detail34convert_binary_result_type_wrapperINS8_3SumESD_lEEEE10hipError_tPvRmT1_T2_T3_mT4_P12ihipStream_tbEUlT_E0_NS1_11comp_targetILNS1_3genE0ELNS1_11target_archE4294967295ELNS1_3gpuE0ELNS1_3repE0EEENS1_30default_config_static_selectorELNS0_4arch9wavefront6targetE1EEEvSM_: ; @_ZN7rocprim17ROCPRIM_400000_NS6detail17trampoline_kernelINS0_14default_configENS1_22reduce_config_selectorIbEEZNS1_11reduce_implILb1ES3_N6hipcub16HIPCUB_304000_NS22TransformInputIteratorIb7NonZeroIdEPdlEEPllNS8_6detail34convert_binary_result_type_wrapperINS8_3SumESD_lEEEE10hipError_tPvRmT1_T2_T3_mT4_P12ihipStream_tbEUlT_E0_NS1_11comp_targetILNS1_3genE0ELNS1_11target_archE4294967295ELNS1_3gpuE0ELNS1_3repE0EEENS1_30default_config_static_selectorELNS0_4arch9wavefront6targetE1EEEvSM_
; %bb.0:
	.section	.rodata,"a",@progbits
	.p2align	6, 0x0
	.amdhsa_kernel _ZN7rocprim17ROCPRIM_400000_NS6detail17trampoline_kernelINS0_14default_configENS1_22reduce_config_selectorIbEEZNS1_11reduce_implILb1ES3_N6hipcub16HIPCUB_304000_NS22TransformInputIteratorIb7NonZeroIdEPdlEEPllNS8_6detail34convert_binary_result_type_wrapperINS8_3SumESD_lEEEE10hipError_tPvRmT1_T2_T3_mT4_P12ihipStream_tbEUlT_E0_NS1_11comp_targetILNS1_3genE0ELNS1_11target_archE4294967295ELNS1_3gpuE0ELNS1_3repE0EEENS1_30default_config_static_selectorELNS0_4arch9wavefront6targetE1EEEvSM_
		.amdhsa_group_segment_fixed_size 0
		.amdhsa_private_segment_fixed_size 0
		.amdhsa_kernarg_size 72
		.amdhsa_user_sgpr_count 6
		.amdhsa_user_sgpr_private_segment_buffer 1
		.amdhsa_user_sgpr_dispatch_ptr 0
		.amdhsa_user_sgpr_queue_ptr 0
		.amdhsa_user_sgpr_kernarg_segment_ptr 1
		.amdhsa_user_sgpr_dispatch_id 0
		.amdhsa_user_sgpr_flat_scratch_init 0
		.amdhsa_user_sgpr_private_segment_size 0
		.amdhsa_uses_dynamic_stack 0
		.amdhsa_system_sgpr_private_segment_wavefront_offset 0
		.amdhsa_system_sgpr_workgroup_id_x 1
		.amdhsa_system_sgpr_workgroup_id_y 0
		.amdhsa_system_sgpr_workgroup_id_z 0
		.amdhsa_system_sgpr_workgroup_info 0
		.amdhsa_system_vgpr_workitem_id 0
		.amdhsa_next_free_vgpr 1
		.amdhsa_next_free_sgpr 0
		.amdhsa_reserve_vcc 0
		.amdhsa_reserve_flat_scratch 0
		.amdhsa_float_round_mode_32 0
		.amdhsa_float_round_mode_16_64 0
		.amdhsa_float_denorm_mode_32 3
		.amdhsa_float_denorm_mode_16_64 3
		.amdhsa_dx10_clamp 1
		.amdhsa_ieee_mode 1
		.amdhsa_fp16_overflow 0
		.amdhsa_exception_fp_ieee_invalid_op 0
		.amdhsa_exception_fp_denorm_src 0
		.amdhsa_exception_fp_ieee_div_zero 0
		.amdhsa_exception_fp_ieee_overflow 0
		.amdhsa_exception_fp_ieee_underflow 0
		.amdhsa_exception_fp_ieee_inexact 0
		.amdhsa_exception_int_div_zero 0
	.end_amdhsa_kernel
	.section	.text._ZN7rocprim17ROCPRIM_400000_NS6detail17trampoline_kernelINS0_14default_configENS1_22reduce_config_selectorIbEEZNS1_11reduce_implILb1ES3_N6hipcub16HIPCUB_304000_NS22TransformInputIteratorIb7NonZeroIdEPdlEEPllNS8_6detail34convert_binary_result_type_wrapperINS8_3SumESD_lEEEE10hipError_tPvRmT1_T2_T3_mT4_P12ihipStream_tbEUlT_E0_NS1_11comp_targetILNS1_3genE0ELNS1_11target_archE4294967295ELNS1_3gpuE0ELNS1_3repE0EEENS1_30default_config_static_selectorELNS0_4arch9wavefront6targetE1EEEvSM_,"axG",@progbits,_ZN7rocprim17ROCPRIM_400000_NS6detail17trampoline_kernelINS0_14default_configENS1_22reduce_config_selectorIbEEZNS1_11reduce_implILb1ES3_N6hipcub16HIPCUB_304000_NS22TransformInputIteratorIb7NonZeroIdEPdlEEPllNS8_6detail34convert_binary_result_type_wrapperINS8_3SumESD_lEEEE10hipError_tPvRmT1_T2_T3_mT4_P12ihipStream_tbEUlT_E0_NS1_11comp_targetILNS1_3genE0ELNS1_11target_archE4294967295ELNS1_3gpuE0ELNS1_3repE0EEENS1_30default_config_static_selectorELNS0_4arch9wavefront6targetE1EEEvSM_,comdat
.Lfunc_end303:
	.size	_ZN7rocprim17ROCPRIM_400000_NS6detail17trampoline_kernelINS0_14default_configENS1_22reduce_config_selectorIbEEZNS1_11reduce_implILb1ES3_N6hipcub16HIPCUB_304000_NS22TransformInputIteratorIb7NonZeroIdEPdlEEPllNS8_6detail34convert_binary_result_type_wrapperINS8_3SumESD_lEEEE10hipError_tPvRmT1_T2_T3_mT4_P12ihipStream_tbEUlT_E0_NS1_11comp_targetILNS1_3genE0ELNS1_11target_archE4294967295ELNS1_3gpuE0ELNS1_3repE0EEENS1_30default_config_static_selectorELNS0_4arch9wavefront6targetE1EEEvSM_, .Lfunc_end303-_ZN7rocprim17ROCPRIM_400000_NS6detail17trampoline_kernelINS0_14default_configENS1_22reduce_config_selectorIbEEZNS1_11reduce_implILb1ES3_N6hipcub16HIPCUB_304000_NS22TransformInputIteratorIb7NonZeroIdEPdlEEPllNS8_6detail34convert_binary_result_type_wrapperINS8_3SumESD_lEEEE10hipError_tPvRmT1_T2_T3_mT4_P12ihipStream_tbEUlT_E0_NS1_11comp_targetILNS1_3genE0ELNS1_11target_archE4294967295ELNS1_3gpuE0ELNS1_3repE0EEENS1_30default_config_static_selectorELNS0_4arch9wavefront6targetE1EEEvSM_
                                        ; -- End function
	.set _ZN7rocprim17ROCPRIM_400000_NS6detail17trampoline_kernelINS0_14default_configENS1_22reduce_config_selectorIbEEZNS1_11reduce_implILb1ES3_N6hipcub16HIPCUB_304000_NS22TransformInputIteratorIb7NonZeroIdEPdlEEPllNS8_6detail34convert_binary_result_type_wrapperINS8_3SumESD_lEEEE10hipError_tPvRmT1_T2_T3_mT4_P12ihipStream_tbEUlT_E0_NS1_11comp_targetILNS1_3genE0ELNS1_11target_archE4294967295ELNS1_3gpuE0ELNS1_3repE0EEENS1_30default_config_static_selectorELNS0_4arch9wavefront6targetE1EEEvSM_.num_vgpr, 0
	.set _ZN7rocprim17ROCPRIM_400000_NS6detail17trampoline_kernelINS0_14default_configENS1_22reduce_config_selectorIbEEZNS1_11reduce_implILb1ES3_N6hipcub16HIPCUB_304000_NS22TransformInputIteratorIb7NonZeroIdEPdlEEPllNS8_6detail34convert_binary_result_type_wrapperINS8_3SumESD_lEEEE10hipError_tPvRmT1_T2_T3_mT4_P12ihipStream_tbEUlT_E0_NS1_11comp_targetILNS1_3genE0ELNS1_11target_archE4294967295ELNS1_3gpuE0ELNS1_3repE0EEENS1_30default_config_static_selectorELNS0_4arch9wavefront6targetE1EEEvSM_.num_agpr, 0
	.set _ZN7rocprim17ROCPRIM_400000_NS6detail17trampoline_kernelINS0_14default_configENS1_22reduce_config_selectorIbEEZNS1_11reduce_implILb1ES3_N6hipcub16HIPCUB_304000_NS22TransformInputIteratorIb7NonZeroIdEPdlEEPllNS8_6detail34convert_binary_result_type_wrapperINS8_3SumESD_lEEEE10hipError_tPvRmT1_T2_T3_mT4_P12ihipStream_tbEUlT_E0_NS1_11comp_targetILNS1_3genE0ELNS1_11target_archE4294967295ELNS1_3gpuE0ELNS1_3repE0EEENS1_30default_config_static_selectorELNS0_4arch9wavefront6targetE1EEEvSM_.numbered_sgpr, 0
	.set _ZN7rocprim17ROCPRIM_400000_NS6detail17trampoline_kernelINS0_14default_configENS1_22reduce_config_selectorIbEEZNS1_11reduce_implILb1ES3_N6hipcub16HIPCUB_304000_NS22TransformInputIteratorIb7NonZeroIdEPdlEEPllNS8_6detail34convert_binary_result_type_wrapperINS8_3SumESD_lEEEE10hipError_tPvRmT1_T2_T3_mT4_P12ihipStream_tbEUlT_E0_NS1_11comp_targetILNS1_3genE0ELNS1_11target_archE4294967295ELNS1_3gpuE0ELNS1_3repE0EEENS1_30default_config_static_selectorELNS0_4arch9wavefront6targetE1EEEvSM_.num_named_barrier, 0
	.set _ZN7rocprim17ROCPRIM_400000_NS6detail17trampoline_kernelINS0_14default_configENS1_22reduce_config_selectorIbEEZNS1_11reduce_implILb1ES3_N6hipcub16HIPCUB_304000_NS22TransformInputIteratorIb7NonZeroIdEPdlEEPllNS8_6detail34convert_binary_result_type_wrapperINS8_3SumESD_lEEEE10hipError_tPvRmT1_T2_T3_mT4_P12ihipStream_tbEUlT_E0_NS1_11comp_targetILNS1_3genE0ELNS1_11target_archE4294967295ELNS1_3gpuE0ELNS1_3repE0EEENS1_30default_config_static_selectorELNS0_4arch9wavefront6targetE1EEEvSM_.private_seg_size, 0
	.set _ZN7rocprim17ROCPRIM_400000_NS6detail17trampoline_kernelINS0_14default_configENS1_22reduce_config_selectorIbEEZNS1_11reduce_implILb1ES3_N6hipcub16HIPCUB_304000_NS22TransformInputIteratorIb7NonZeroIdEPdlEEPllNS8_6detail34convert_binary_result_type_wrapperINS8_3SumESD_lEEEE10hipError_tPvRmT1_T2_T3_mT4_P12ihipStream_tbEUlT_E0_NS1_11comp_targetILNS1_3genE0ELNS1_11target_archE4294967295ELNS1_3gpuE0ELNS1_3repE0EEENS1_30default_config_static_selectorELNS0_4arch9wavefront6targetE1EEEvSM_.uses_vcc, 0
	.set _ZN7rocprim17ROCPRIM_400000_NS6detail17trampoline_kernelINS0_14default_configENS1_22reduce_config_selectorIbEEZNS1_11reduce_implILb1ES3_N6hipcub16HIPCUB_304000_NS22TransformInputIteratorIb7NonZeroIdEPdlEEPllNS8_6detail34convert_binary_result_type_wrapperINS8_3SumESD_lEEEE10hipError_tPvRmT1_T2_T3_mT4_P12ihipStream_tbEUlT_E0_NS1_11comp_targetILNS1_3genE0ELNS1_11target_archE4294967295ELNS1_3gpuE0ELNS1_3repE0EEENS1_30default_config_static_selectorELNS0_4arch9wavefront6targetE1EEEvSM_.uses_flat_scratch, 0
	.set _ZN7rocprim17ROCPRIM_400000_NS6detail17trampoline_kernelINS0_14default_configENS1_22reduce_config_selectorIbEEZNS1_11reduce_implILb1ES3_N6hipcub16HIPCUB_304000_NS22TransformInputIteratorIb7NonZeroIdEPdlEEPllNS8_6detail34convert_binary_result_type_wrapperINS8_3SumESD_lEEEE10hipError_tPvRmT1_T2_T3_mT4_P12ihipStream_tbEUlT_E0_NS1_11comp_targetILNS1_3genE0ELNS1_11target_archE4294967295ELNS1_3gpuE0ELNS1_3repE0EEENS1_30default_config_static_selectorELNS0_4arch9wavefront6targetE1EEEvSM_.has_dyn_sized_stack, 0
	.set _ZN7rocprim17ROCPRIM_400000_NS6detail17trampoline_kernelINS0_14default_configENS1_22reduce_config_selectorIbEEZNS1_11reduce_implILb1ES3_N6hipcub16HIPCUB_304000_NS22TransformInputIteratorIb7NonZeroIdEPdlEEPllNS8_6detail34convert_binary_result_type_wrapperINS8_3SumESD_lEEEE10hipError_tPvRmT1_T2_T3_mT4_P12ihipStream_tbEUlT_E0_NS1_11comp_targetILNS1_3genE0ELNS1_11target_archE4294967295ELNS1_3gpuE0ELNS1_3repE0EEENS1_30default_config_static_selectorELNS0_4arch9wavefront6targetE1EEEvSM_.has_recursion, 0
	.set _ZN7rocprim17ROCPRIM_400000_NS6detail17trampoline_kernelINS0_14default_configENS1_22reduce_config_selectorIbEEZNS1_11reduce_implILb1ES3_N6hipcub16HIPCUB_304000_NS22TransformInputIteratorIb7NonZeroIdEPdlEEPllNS8_6detail34convert_binary_result_type_wrapperINS8_3SumESD_lEEEE10hipError_tPvRmT1_T2_T3_mT4_P12ihipStream_tbEUlT_E0_NS1_11comp_targetILNS1_3genE0ELNS1_11target_archE4294967295ELNS1_3gpuE0ELNS1_3repE0EEENS1_30default_config_static_selectorELNS0_4arch9wavefront6targetE1EEEvSM_.has_indirect_call, 0
	.section	.AMDGPU.csdata,"",@progbits
; Kernel info:
; codeLenInByte = 0
; TotalNumSgprs: 4
; NumVgprs: 0
; ScratchSize: 0
; MemoryBound: 0
; FloatMode: 240
; IeeeMode: 1
; LDSByteSize: 0 bytes/workgroup (compile time only)
; SGPRBlocks: 0
; VGPRBlocks: 0
; NumSGPRsForWavesPerEU: 4
; NumVGPRsForWavesPerEU: 1
; Occupancy: 10
; WaveLimiterHint : 0
; COMPUTE_PGM_RSRC2:SCRATCH_EN: 0
; COMPUTE_PGM_RSRC2:USER_SGPR: 6
; COMPUTE_PGM_RSRC2:TRAP_HANDLER: 0
; COMPUTE_PGM_RSRC2:TGID_X_EN: 1
; COMPUTE_PGM_RSRC2:TGID_Y_EN: 0
; COMPUTE_PGM_RSRC2:TGID_Z_EN: 0
; COMPUTE_PGM_RSRC2:TIDIG_COMP_CNT: 0
	.section	.text._ZN7rocprim17ROCPRIM_400000_NS6detail17trampoline_kernelINS0_14default_configENS1_22reduce_config_selectorIbEEZNS1_11reduce_implILb1ES3_N6hipcub16HIPCUB_304000_NS22TransformInputIteratorIb7NonZeroIdEPdlEEPllNS8_6detail34convert_binary_result_type_wrapperINS8_3SumESD_lEEEE10hipError_tPvRmT1_T2_T3_mT4_P12ihipStream_tbEUlT_E0_NS1_11comp_targetILNS1_3genE5ELNS1_11target_archE942ELNS1_3gpuE9ELNS1_3repE0EEENS1_30default_config_static_selectorELNS0_4arch9wavefront6targetE1EEEvSM_,"axG",@progbits,_ZN7rocprim17ROCPRIM_400000_NS6detail17trampoline_kernelINS0_14default_configENS1_22reduce_config_selectorIbEEZNS1_11reduce_implILb1ES3_N6hipcub16HIPCUB_304000_NS22TransformInputIteratorIb7NonZeroIdEPdlEEPllNS8_6detail34convert_binary_result_type_wrapperINS8_3SumESD_lEEEE10hipError_tPvRmT1_T2_T3_mT4_P12ihipStream_tbEUlT_E0_NS1_11comp_targetILNS1_3genE5ELNS1_11target_archE942ELNS1_3gpuE9ELNS1_3repE0EEENS1_30default_config_static_selectorELNS0_4arch9wavefront6targetE1EEEvSM_,comdat
	.protected	_ZN7rocprim17ROCPRIM_400000_NS6detail17trampoline_kernelINS0_14default_configENS1_22reduce_config_selectorIbEEZNS1_11reduce_implILb1ES3_N6hipcub16HIPCUB_304000_NS22TransformInputIteratorIb7NonZeroIdEPdlEEPllNS8_6detail34convert_binary_result_type_wrapperINS8_3SumESD_lEEEE10hipError_tPvRmT1_T2_T3_mT4_P12ihipStream_tbEUlT_E0_NS1_11comp_targetILNS1_3genE5ELNS1_11target_archE942ELNS1_3gpuE9ELNS1_3repE0EEENS1_30default_config_static_selectorELNS0_4arch9wavefront6targetE1EEEvSM_ ; -- Begin function _ZN7rocprim17ROCPRIM_400000_NS6detail17trampoline_kernelINS0_14default_configENS1_22reduce_config_selectorIbEEZNS1_11reduce_implILb1ES3_N6hipcub16HIPCUB_304000_NS22TransformInputIteratorIb7NonZeroIdEPdlEEPllNS8_6detail34convert_binary_result_type_wrapperINS8_3SumESD_lEEEE10hipError_tPvRmT1_T2_T3_mT4_P12ihipStream_tbEUlT_E0_NS1_11comp_targetILNS1_3genE5ELNS1_11target_archE942ELNS1_3gpuE9ELNS1_3repE0EEENS1_30default_config_static_selectorELNS0_4arch9wavefront6targetE1EEEvSM_
	.globl	_ZN7rocprim17ROCPRIM_400000_NS6detail17trampoline_kernelINS0_14default_configENS1_22reduce_config_selectorIbEEZNS1_11reduce_implILb1ES3_N6hipcub16HIPCUB_304000_NS22TransformInputIteratorIb7NonZeroIdEPdlEEPllNS8_6detail34convert_binary_result_type_wrapperINS8_3SumESD_lEEEE10hipError_tPvRmT1_T2_T3_mT4_P12ihipStream_tbEUlT_E0_NS1_11comp_targetILNS1_3genE5ELNS1_11target_archE942ELNS1_3gpuE9ELNS1_3repE0EEENS1_30default_config_static_selectorELNS0_4arch9wavefront6targetE1EEEvSM_
	.p2align	8
	.type	_ZN7rocprim17ROCPRIM_400000_NS6detail17trampoline_kernelINS0_14default_configENS1_22reduce_config_selectorIbEEZNS1_11reduce_implILb1ES3_N6hipcub16HIPCUB_304000_NS22TransformInputIteratorIb7NonZeroIdEPdlEEPllNS8_6detail34convert_binary_result_type_wrapperINS8_3SumESD_lEEEE10hipError_tPvRmT1_T2_T3_mT4_P12ihipStream_tbEUlT_E0_NS1_11comp_targetILNS1_3genE5ELNS1_11target_archE942ELNS1_3gpuE9ELNS1_3repE0EEENS1_30default_config_static_selectorELNS0_4arch9wavefront6targetE1EEEvSM_,@function
_ZN7rocprim17ROCPRIM_400000_NS6detail17trampoline_kernelINS0_14default_configENS1_22reduce_config_selectorIbEEZNS1_11reduce_implILb1ES3_N6hipcub16HIPCUB_304000_NS22TransformInputIteratorIb7NonZeroIdEPdlEEPllNS8_6detail34convert_binary_result_type_wrapperINS8_3SumESD_lEEEE10hipError_tPvRmT1_T2_T3_mT4_P12ihipStream_tbEUlT_E0_NS1_11comp_targetILNS1_3genE5ELNS1_11target_archE942ELNS1_3gpuE9ELNS1_3repE0EEENS1_30default_config_static_selectorELNS0_4arch9wavefront6targetE1EEEvSM_: ; @_ZN7rocprim17ROCPRIM_400000_NS6detail17trampoline_kernelINS0_14default_configENS1_22reduce_config_selectorIbEEZNS1_11reduce_implILb1ES3_N6hipcub16HIPCUB_304000_NS22TransformInputIteratorIb7NonZeroIdEPdlEEPllNS8_6detail34convert_binary_result_type_wrapperINS8_3SumESD_lEEEE10hipError_tPvRmT1_T2_T3_mT4_P12ihipStream_tbEUlT_E0_NS1_11comp_targetILNS1_3genE5ELNS1_11target_archE942ELNS1_3gpuE9ELNS1_3repE0EEENS1_30default_config_static_selectorELNS0_4arch9wavefront6targetE1EEEvSM_
; %bb.0:
	.section	.rodata,"a",@progbits
	.p2align	6, 0x0
	.amdhsa_kernel _ZN7rocprim17ROCPRIM_400000_NS6detail17trampoline_kernelINS0_14default_configENS1_22reduce_config_selectorIbEEZNS1_11reduce_implILb1ES3_N6hipcub16HIPCUB_304000_NS22TransformInputIteratorIb7NonZeroIdEPdlEEPllNS8_6detail34convert_binary_result_type_wrapperINS8_3SumESD_lEEEE10hipError_tPvRmT1_T2_T3_mT4_P12ihipStream_tbEUlT_E0_NS1_11comp_targetILNS1_3genE5ELNS1_11target_archE942ELNS1_3gpuE9ELNS1_3repE0EEENS1_30default_config_static_selectorELNS0_4arch9wavefront6targetE1EEEvSM_
		.amdhsa_group_segment_fixed_size 0
		.amdhsa_private_segment_fixed_size 0
		.amdhsa_kernarg_size 72
		.amdhsa_user_sgpr_count 6
		.amdhsa_user_sgpr_private_segment_buffer 1
		.amdhsa_user_sgpr_dispatch_ptr 0
		.amdhsa_user_sgpr_queue_ptr 0
		.amdhsa_user_sgpr_kernarg_segment_ptr 1
		.amdhsa_user_sgpr_dispatch_id 0
		.amdhsa_user_sgpr_flat_scratch_init 0
		.amdhsa_user_sgpr_private_segment_size 0
		.amdhsa_uses_dynamic_stack 0
		.amdhsa_system_sgpr_private_segment_wavefront_offset 0
		.amdhsa_system_sgpr_workgroup_id_x 1
		.amdhsa_system_sgpr_workgroup_id_y 0
		.amdhsa_system_sgpr_workgroup_id_z 0
		.amdhsa_system_sgpr_workgroup_info 0
		.amdhsa_system_vgpr_workitem_id 0
		.amdhsa_next_free_vgpr 1
		.amdhsa_next_free_sgpr 0
		.amdhsa_reserve_vcc 0
		.amdhsa_reserve_flat_scratch 0
		.amdhsa_float_round_mode_32 0
		.amdhsa_float_round_mode_16_64 0
		.amdhsa_float_denorm_mode_32 3
		.amdhsa_float_denorm_mode_16_64 3
		.amdhsa_dx10_clamp 1
		.amdhsa_ieee_mode 1
		.amdhsa_fp16_overflow 0
		.amdhsa_exception_fp_ieee_invalid_op 0
		.amdhsa_exception_fp_denorm_src 0
		.amdhsa_exception_fp_ieee_div_zero 0
		.amdhsa_exception_fp_ieee_overflow 0
		.amdhsa_exception_fp_ieee_underflow 0
		.amdhsa_exception_fp_ieee_inexact 0
		.amdhsa_exception_int_div_zero 0
	.end_amdhsa_kernel
	.section	.text._ZN7rocprim17ROCPRIM_400000_NS6detail17trampoline_kernelINS0_14default_configENS1_22reduce_config_selectorIbEEZNS1_11reduce_implILb1ES3_N6hipcub16HIPCUB_304000_NS22TransformInputIteratorIb7NonZeroIdEPdlEEPllNS8_6detail34convert_binary_result_type_wrapperINS8_3SumESD_lEEEE10hipError_tPvRmT1_T2_T3_mT4_P12ihipStream_tbEUlT_E0_NS1_11comp_targetILNS1_3genE5ELNS1_11target_archE942ELNS1_3gpuE9ELNS1_3repE0EEENS1_30default_config_static_selectorELNS0_4arch9wavefront6targetE1EEEvSM_,"axG",@progbits,_ZN7rocprim17ROCPRIM_400000_NS6detail17trampoline_kernelINS0_14default_configENS1_22reduce_config_selectorIbEEZNS1_11reduce_implILb1ES3_N6hipcub16HIPCUB_304000_NS22TransformInputIteratorIb7NonZeroIdEPdlEEPllNS8_6detail34convert_binary_result_type_wrapperINS8_3SumESD_lEEEE10hipError_tPvRmT1_T2_T3_mT4_P12ihipStream_tbEUlT_E0_NS1_11comp_targetILNS1_3genE5ELNS1_11target_archE942ELNS1_3gpuE9ELNS1_3repE0EEENS1_30default_config_static_selectorELNS0_4arch9wavefront6targetE1EEEvSM_,comdat
.Lfunc_end304:
	.size	_ZN7rocprim17ROCPRIM_400000_NS6detail17trampoline_kernelINS0_14default_configENS1_22reduce_config_selectorIbEEZNS1_11reduce_implILb1ES3_N6hipcub16HIPCUB_304000_NS22TransformInputIteratorIb7NonZeroIdEPdlEEPllNS8_6detail34convert_binary_result_type_wrapperINS8_3SumESD_lEEEE10hipError_tPvRmT1_T2_T3_mT4_P12ihipStream_tbEUlT_E0_NS1_11comp_targetILNS1_3genE5ELNS1_11target_archE942ELNS1_3gpuE9ELNS1_3repE0EEENS1_30default_config_static_selectorELNS0_4arch9wavefront6targetE1EEEvSM_, .Lfunc_end304-_ZN7rocprim17ROCPRIM_400000_NS6detail17trampoline_kernelINS0_14default_configENS1_22reduce_config_selectorIbEEZNS1_11reduce_implILb1ES3_N6hipcub16HIPCUB_304000_NS22TransformInputIteratorIb7NonZeroIdEPdlEEPllNS8_6detail34convert_binary_result_type_wrapperINS8_3SumESD_lEEEE10hipError_tPvRmT1_T2_T3_mT4_P12ihipStream_tbEUlT_E0_NS1_11comp_targetILNS1_3genE5ELNS1_11target_archE942ELNS1_3gpuE9ELNS1_3repE0EEENS1_30default_config_static_selectorELNS0_4arch9wavefront6targetE1EEEvSM_
                                        ; -- End function
	.set _ZN7rocprim17ROCPRIM_400000_NS6detail17trampoline_kernelINS0_14default_configENS1_22reduce_config_selectorIbEEZNS1_11reduce_implILb1ES3_N6hipcub16HIPCUB_304000_NS22TransformInputIteratorIb7NonZeroIdEPdlEEPllNS8_6detail34convert_binary_result_type_wrapperINS8_3SumESD_lEEEE10hipError_tPvRmT1_T2_T3_mT4_P12ihipStream_tbEUlT_E0_NS1_11comp_targetILNS1_3genE5ELNS1_11target_archE942ELNS1_3gpuE9ELNS1_3repE0EEENS1_30default_config_static_selectorELNS0_4arch9wavefront6targetE1EEEvSM_.num_vgpr, 0
	.set _ZN7rocprim17ROCPRIM_400000_NS6detail17trampoline_kernelINS0_14default_configENS1_22reduce_config_selectorIbEEZNS1_11reduce_implILb1ES3_N6hipcub16HIPCUB_304000_NS22TransformInputIteratorIb7NonZeroIdEPdlEEPllNS8_6detail34convert_binary_result_type_wrapperINS8_3SumESD_lEEEE10hipError_tPvRmT1_T2_T3_mT4_P12ihipStream_tbEUlT_E0_NS1_11comp_targetILNS1_3genE5ELNS1_11target_archE942ELNS1_3gpuE9ELNS1_3repE0EEENS1_30default_config_static_selectorELNS0_4arch9wavefront6targetE1EEEvSM_.num_agpr, 0
	.set _ZN7rocprim17ROCPRIM_400000_NS6detail17trampoline_kernelINS0_14default_configENS1_22reduce_config_selectorIbEEZNS1_11reduce_implILb1ES3_N6hipcub16HIPCUB_304000_NS22TransformInputIteratorIb7NonZeroIdEPdlEEPllNS8_6detail34convert_binary_result_type_wrapperINS8_3SumESD_lEEEE10hipError_tPvRmT1_T2_T3_mT4_P12ihipStream_tbEUlT_E0_NS1_11comp_targetILNS1_3genE5ELNS1_11target_archE942ELNS1_3gpuE9ELNS1_3repE0EEENS1_30default_config_static_selectorELNS0_4arch9wavefront6targetE1EEEvSM_.numbered_sgpr, 0
	.set _ZN7rocprim17ROCPRIM_400000_NS6detail17trampoline_kernelINS0_14default_configENS1_22reduce_config_selectorIbEEZNS1_11reduce_implILb1ES3_N6hipcub16HIPCUB_304000_NS22TransformInputIteratorIb7NonZeroIdEPdlEEPllNS8_6detail34convert_binary_result_type_wrapperINS8_3SumESD_lEEEE10hipError_tPvRmT1_T2_T3_mT4_P12ihipStream_tbEUlT_E0_NS1_11comp_targetILNS1_3genE5ELNS1_11target_archE942ELNS1_3gpuE9ELNS1_3repE0EEENS1_30default_config_static_selectorELNS0_4arch9wavefront6targetE1EEEvSM_.num_named_barrier, 0
	.set _ZN7rocprim17ROCPRIM_400000_NS6detail17trampoline_kernelINS0_14default_configENS1_22reduce_config_selectorIbEEZNS1_11reduce_implILb1ES3_N6hipcub16HIPCUB_304000_NS22TransformInputIteratorIb7NonZeroIdEPdlEEPllNS8_6detail34convert_binary_result_type_wrapperINS8_3SumESD_lEEEE10hipError_tPvRmT1_T2_T3_mT4_P12ihipStream_tbEUlT_E0_NS1_11comp_targetILNS1_3genE5ELNS1_11target_archE942ELNS1_3gpuE9ELNS1_3repE0EEENS1_30default_config_static_selectorELNS0_4arch9wavefront6targetE1EEEvSM_.private_seg_size, 0
	.set _ZN7rocprim17ROCPRIM_400000_NS6detail17trampoline_kernelINS0_14default_configENS1_22reduce_config_selectorIbEEZNS1_11reduce_implILb1ES3_N6hipcub16HIPCUB_304000_NS22TransformInputIteratorIb7NonZeroIdEPdlEEPllNS8_6detail34convert_binary_result_type_wrapperINS8_3SumESD_lEEEE10hipError_tPvRmT1_T2_T3_mT4_P12ihipStream_tbEUlT_E0_NS1_11comp_targetILNS1_3genE5ELNS1_11target_archE942ELNS1_3gpuE9ELNS1_3repE0EEENS1_30default_config_static_selectorELNS0_4arch9wavefront6targetE1EEEvSM_.uses_vcc, 0
	.set _ZN7rocprim17ROCPRIM_400000_NS6detail17trampoline_kernelINS0_14default_configENS1_22reduce_config_selectorIbEEZNS1_11reduce_implILb1ES3_N6hipcub16HIPCUB_304000_NS22TransformInputIteratorIb7NonZeroIdEPdlEEPllNS8_6detail34convert_binary_result_type_wrapperINS8_3SumESD_lEEEE10hipError_tPvRmT1_T2_T3_mT4_P12ihipStream_tbEUlT_E0_NS1_11comp_targetILNS1_3genE5ELNS1_11target_archE942ELNS1_3gpuE9ELNS1_3repE0EEENS1_30default_config_static_selectorELNS0_4arch9wavefront6targetE1EEEvSM_.uses_flat_scratch, 0
	.set _ZN7rocprim17ROCPRIM_400000_NS6detail17trampoline_kernelINS0_14default_configENS1_22reduce_config_selectorIbEEZNS1_11reduce_implILb1ES3_N6hipcub16HIPCUB_304000_NS22TransformInputIteratorIb7NonZeroIdEPdlEEPllNS8_6detail34convert_binary_result_type_wrapperINS8_3SumESD_lEEEE10hipError_tPvRmT1_T2_T3_mT4_P12ihipStream_tbEUlT_E0_NS1_11comp_targetILNS1_3genE5ELNS1_11target_archE942ELNS1_3gpuE9ELNS1_3repE0EEENS1_30default_config_static_selectorELNS0_4arch9wavefront6targetE1EEEvSM_.has_dyn_sized_stack, 0
	.set _ZN7rocprim17ROCPRIM_400000_NS6detail17trampoline_kernelINS0_14default_configENS1_22reduce_config_selectorIbEEZNS1_11reduce_implILb1ES3_N6hipcub16HIPCUB_304000_NS22TransformInputIteratorIb7NonZeroIdEPdlEEPllNS8_6detail34convert_binary_result_type_wrapperINS8_3SumESD_lEEEE10hipError_tPvRmT1_T2_T3_mT4_P12ihipStream_tbEUlT_E0_NS1_11comp_targetILNS1_3genE5ELNS1_11target_archE942ELNS1_3gpuE9ELNS1_3repE0EEENS1_30default_config_static_selectorELNS0_4arch9wavefront6targetE1EEEvSM_.has_recursion, 0
	.set _ZN7rocprim17ROCPRIM_400000_NS6detail17trampoline_kernelINS0_14default_configENS1_22reduce_config_selectorIbEEZNS1_11reduce_implILb1ES3_N6hipcub16HIPCUB_304000_NS22TransformInputIteratorIb7NonZeroIdEPdlEEPllNS8_6detail34convert_binary_result_type_wrapperINS8_3SumESD_lEEEE10hipError_tPvRmT1_T2_T3_mT4_P12ihipStream_tbEUlT_E0_NS1_11comp_targetILNS1_3genE5ELNS1_11target_archE942ELNS1_3gpuE9ELNS1_3repE0EEENS1_30default_config_static_selectorELNS0_4arch9wavefront6targetE1EEEvSM_.has_indirect_call, 0
	.section	.AMDGPU.csdata,"",@progbits
; Kernel info:
; codeLenInByte = 0
; TotalNumSgprs: 4
; NumVgprs: 0
; ScratchSize: 0
; MemoryBound: 0
; FloatMode: 240
; IeeeMode: 1
; LDSByteSize: 0 bytes/workgroup (compile time only)
; SGPRBlocks: 0
; VGPRBlocks: 0
; NumSGPRsForWavesPerEU: 4
; NumVGPRsForWavesPerEU: 1
; Occupancy: 10
; WaveLimiterHint : 0
; COMPUTE_PGM_RSRC2:SCRATCH_EN: 0
; COMPUTE_PGM_RSRC2:USER_SGPR: 6
; COMPUTE_PGM_RSRC2:TRAP_HANDLER: 0
; COMPUTE_PGM_RSRC2:TGID_X_EN: 1
; COMPUTE_PGM_RSRC2:TGID_Y_EN: 0
; COMPUTE_PGM_RSRC2:TGID_Z_EN: 0
; COMPUTE_PGM_RSRC2:TIDIG_COMP_CNT: 0
	.section	.text._ZN7rocprim17ROCPRIM_400000_NS6detail17trampoline_kernelINS0_14default_configENS1_22reduce_config_selectorIbEEZNS1_11reduce_implILb1ES3_N6hipcub16HIPCUB_304000_NS22TransformInputIteratorIb7NonZeroIdEPdlEEPllNS8_6detail34convert_binary_result_type_wrapperINS8_3SumESD_lEEEE10hipError_tPvRmT1_T2_T3_mT4_P12ihipStream_tbEUlT_E0_NS1_11comp_targetILNS1_3genE4ELNS1_11target_archE910ELNS1_3gpuE8ELNS1_3repE0EEENS1_30default_config_static_selectorELNS0_4arch9wavefront6targetE1EEEvSM_,"axG",@progbits,_ZN7rocprim17ROCPRIM_400000_NS6detail17trampoline_kernelINS0_14default_configENS1_22reduce_config_selectorIbEEZNS1_11reduce_implILb1ES3_N6hipcub16HIPCUB_304000_NS22TransformInputIteratorIb7NonZeroIdEPdlEEPllNS8_6detail34convert_binary_result_type_wrapperINS8_3SumESD_lEEEE10hipError_tPvRmT1_T2_T3_mT4_P12ihipStream_tbEUlT_E0_NS1_11comp_targetILNS1_3genE4ELNS1_11target_archE910ELNS1_3gpuE8ELNS1_3repE0EEENS1_30default_config_static_selectorELNS0_4arch9wavefront6targetE1EEEvSM_,comdat
	.protected	_ZN7rocprim17ROCPRIM_400000_NS6detail17trampoline_kernelINS0_14default_configENS1_22reduce_config_selectorIbEEZNS1_11reduce_implILb1ES3_N6hipcub16HIPCUB_304000_NS22TransformInputIteratorIb7NonZeroIdEPdlEEPllNS8_6detail34convert_binary_result_type_wrapperINS8_3SumESD_lEEEE10hipError_tPvRmT1_T2_T3_mT4_P12ihipStream_tbEUlT_E0_NS1_11comp_targetILNS1_3genE4ELNS1_11target_archE910ELNS1_3gpuE8ELNS1_3repE0EEENS1_30default_config_static_selectorELNS0_4arch9wavefront6targetE1EEEvSM_ ; -- Begin function _ZN7rocprim17ROCPRIM_400000_NS6detail17trampoline_kernelINS0_14default_configENS1_22reduce_config_selectorIbEEZNS1_11reduce_implILb1ES3_N6hipcub16HIPCUB_304000_NS22TransformInputIteratorIb7NonZeroIdEPdlEEPllNS8_6detail34convert_binary_result_type_wrapperINS8_3SumESD_lEEEE10hipError_tPvRmT1_T2_T3_mT4_P12ihipStream_tbEUlT_E0_NS1_11comp_targetILNS1_3genE4ELNS1_11target_archE910ELNS1_3gpuE8ELNS1_3repE0EEENS1_30default_config_static_selectorELNS0_4arch9wavefront6targetE1EEEvSM_
	.globl	_ZN7rocprim17ROCPRIM_400000_NS6detail17trampoline_kernelINS0_14default_configENS1_22reduce_config_selectorIbEEZNS1_11reduce_implILb1ES3_N6hipcub16HIPCUB_304000_NS22TransformInputIteratorIb7NonZeroIdEPdlEEPllNS8_6detail34convert_binary_result_type_wrapperINS8_3SumESD_lEEEE10hipError_tPvRmT1_T2_T3_mT4_P12ihipStream_tbEUlT_E0_NS1_11comp_targetILNS1_3genE4ELNS1_11target_archE910ELNS1_3gpuE8ELNS1_3repE0EEENS1_30default_config_static_selectorELNS0_4arch9wavefront6targetE1EEEvSM_
	.p2align	8
	.type	_ZN7rocprim17ROCPRIM_400000_NS6detail17trampoline_kernelINS0_14default_configENS1_22reduce_config_selectorIbEEZNS1_11reduce_implILb1ES3_N6hipcub16HIPCUB_304000_NS22TransformInputIteratorIb7NonZeroIdEPdlEEPllNS8_6detail34convert_binary_result_type_wrapperINS8_3SumESD_lEEEE10hipError_tPvRmT1_T2_T3_mT4_P12ihipStream_tbEUlT_E0_NS1_11comp_targetILNS1_3genE4ELNS1_11target_archE910ELNS1_3gpuE8ELNS1_3repE0EEENS1_30default_config_static_selectorELNS0_4arch9wavefront6targetE1EEEvSM_,@function
_ZN7rocprim17ROCPRIM_400000_NS6detail17trampoline_kernelINS0_14default_configENS1_22reduce_config_selectorIbEEZNS1_11reduce_implILb1ES3_N6hipcub16HIPCUB_304000_NS22TransformInputIteratorIb7NonZeroIdEPdlEEPllNS8_6detail34convert_binary_result_type_wrapperINS8_3SumESD_lEEEE10hipError_tPvRmT1_T2_T3_mT4_P12ihipStream_tbEUlT_E0_NS1_11comp_targetILNS1_3genE4ELNS1_11target_archE910ELNS1_3gpuE8ELNS1_3repE0EEENS1_30default_config_static_selectorELNS0_4arch9wavefront6targetE1EEEvSM_: ; @_ZN7rocprim17ROCPRIM_400000_NS6detail17trampoline_kernelINS0_14default_configENS1_22reduce_config_selectorIbEEZNS1_11reduce_implILb1ES3_N6hipcub16HIPCUB_304000_NS22TransformInputIteratorIb7NonZeroIdEPdlEEPllNS8_6detail34convert_binary_result_type_wrapperINS8_3SumESD_lEEEE10hipError_tPvRmT1_T2_T3_mT4_P12ihipStream_tbEUlT_E0_NS1_11comp_targetILNS1_3genE4ELNS1_11target_archE910ELNS1_3gpuE8ELNS1_3repE0EEENS1_30default_config_static_selectorELNS0_4arch9wavefront6targetE1EEEvSM_
; %bb.0:
	.section	.rodata,"a",@progbits
	.p2align	6, 0x0
	.amdhsa_kernel _ZN7rocprim17ROCPRIM_400000_NS6detail17trampoline_kernelINS0_14default_configENS1_22reduce_config_selectorIbEEZNS1_11reduce_implILb1ES3_N6hipcub16HIPCUB_304000_NS22TransformInputIteratorIb7NonZeroIdEPdlEEPllNS8_6detail34convert_binary_result_type_wrapperINS8_3SumESD_lEEEE10hipError_tPvRmT1_T2_T3_mT4_P12ihipStream_tbEUlT_E0_NS1_11comp_targetILNS1_3genE4ELNS1_11target_archE910ELNS1_3gpuE8ELNS1_3repE0EEENS1_30default_config_static_selectorELNS0_4arch9wavefront6targetE1EEEvSM_
		.amdhsa_group_segment_fixed_size 0
		.amdhsa_private_segment_fixed_size 0
		.amdhsa_kernarg_size 72
		.amdhsa_user_sgpr_count 6
		.amdhsa_user_sgpr_private_segment_buffer 1
		.amdhsa_user_sgpr_dispatch_ptr 0
		.amdhsa_user_sgpr_queue_ptr 0
		.amdhsa_user_sgpr_kernarg_segment_ptr 1
		.amdhsa_user_sgpr_dispatch_id 0
		.amdhsa_user_sgpr_flat_scratch_init 0
		.amdhsa_user_sgpr_private_segment_size 0
		.amdhsa_uses_dynamic_stack 0
		.amdhsa_system_sgpr_private_segment_wavefront_offset 0
		.amdhsa_system_sgpr_workgroup_id_x 1
		.amdhsa_system_sgpr_workgroup_id_y 0
		.amdhsa_system_sgpr_workgroup_id_z 0
		.amdhsa_system_sgpr_workgroup_info 0
		.amdhsa_system_vgpr_workitem_id 0
		.amdhsa_next_free_vgpr 1
		.amdhsa_next_free_sgpr 0
		.amdhsa_reserve_vcc 0
		.amdhsa_reserve_flat_scratch 0
		.amdhsa_float_round_mode_32 0
		.amdhsa_float_round_mode_16_64 0
		.amdhsa_float_denorm_mode_32 3
		.amdhsa_float_denorm_mode_16_64 3
		.amdhsa_dx10_clamp 1
		.amdhsa_ieee_mode 1
		.amdhsa_fp16_overflow 0
		.amdhsa_exception_fp_ieee_invalid_op 0
		.amdhsa_exception_fp_denorm_src 0
		.amdhsa_exception_fp_ieee_div_zero 0
		.amdhsa_exception_fp_ieee_overflow 0
		.amdhsa_exception_fp_ieee_underflow 0
		.amdhsa_exception_fp_ieee_inexact 0
		.amdhsa_exception_int_div_zero 0
	.end_amdhsa_kernel
	.section	.text._ZN7rocprim17ROCPRIM_400000_NS6detail17trampoline_kernelINS0_14default_configENS1_22reduce_config_selectorIbEEZNS1_11reduce_implILb1ES3_N6hipcub16HIPCUB_304000_NS22TransformInputIteratorIb7NonZeroIdEPdlEEPllNS8_6detail34convert_binary_result_type_wrapperINS8_3SumESD_lEEEE10hipError_tPvRmT1_T2_T3_mT4_P12ihipStream_tbEUlT_E0_NS1_11comp_targetILNS1_3genE4ELNS1_11target_archE910ELNS1_3gpuE8ELNS1_3repE0EEENS1_30default_config_static_selectorELNS0_4arch9wavefront6targetE1EEEvSM_,"axG",@progbits,_ZN7rocprim17ROCPRIM_400000_NS6detail17trampoline_kernelINS0_14default_configENS1_22reduce_config_selectorIbEEZNS1_11reduce_implILb1ES3_N6hipcub16HIPCUB_304000_NS22TransformInputIteratorIb7NonZeroIdEPdlEEPllNS8_6detail34convert_binary_result_type_wrapperINS8_3SumESD_lEEEE10hipError_tPvRmT1_T2_T3_mT4_P12ihipStream_tbEUlT_E0_NS1_11comp_targetILNS1_3genE4ELNS1_11target_archE910ELNS1_3gpuE8ELNS1_3repE0EEENS1_30default_config_static_selectorELNS0_4arch9wavefront6targetE1EEEvSM_,comdat
.Lfunc_end305:
	.size	_ZN7rocprim17ROCPRIM_400000_NS6detail17trampoline_kernelINS0_14default_configENS1_22reduce_config_selectorIbEEZNS1_11reduce_implILb1ES3_N6hipcub16HIPCUB_304000_NS22TransformInputIteratorIb7NonZeroIdEPdlEEPllNS8_6detail34convert_binary_result_type_wrapperINS8_3SumESD_lEEEE10hipError_tPvRmT1_T2_T3_mT4_P12ihipStream_tbEUlT_E0_NS1_11comp_targetILNS1_3genE4ELNS1_11target_archE910ELNS1_3gpuE8ELNS1_3repE0EEENS1_30default_config_static_selectorELNS0_4arch9wavefront6targetE1EEEvSM_, .Lfunc_end305-_ZN7rocprim17ROCPRIM_400000_NS6detail17trampoline_kernelINS0_14default_configENS1_22reduce_config_selectorIbEEZNS1_11reduce_implILb1ES3_N6hipcub16HIPCUB_304000_NS22TransformInputIteratorIb7NonZeroIdEPdlEEPllNS8_6detail34convert_binary_result_type_wrapperINS8_3SumESD_lEEEE10hipError_tPvRmT1_T2_T3_mT4_P12ihipStream_tbEUlT_E0_NS1_11comp_targetILNS1_3genE4ELNS1_11target_archE910ELNS1_3gpuE8ELNS1_3repE0EEENS1_30default_config_static_selectorELNS0_4arch9wavefront6targetE1EEEvSM_
                                        ; -- End function
	.set _ZN7rocprim17ROCPRIM_400000_NS6detail17trampoline_kernelINS0_14default_configENS1_22reduce_config_selectorIbEEZNS1_11reduce_implILb1ES3_N6hipcub16HIPCUB_304000_NS22TransformInputIteratorIb7NonZeroIdEPdlEEPllNS8_6detail34convert_binary_result_type_wrapperINS8_3SumESD_lEEEE10hipError_tPvRmT1_T2_T3_mT4_P12ihipStream_tbEUlT_E0_NS1_11comp_targetILNS1_3genE4ELNS1_11target_archE910ELNS1_3gpuE8ELNS1_3repE0EEENS1_30default_config_static_selectorELNS0_4arch9wavefront6targetE1EEEvSM_.num_vgpr, 0
	.set _ZN7rocprim17ROCPRIM_400000_NS6detail17trampoline_kernelINS0_14default_configENS1_22reduce_config_selectorIbEEZNS1_11reduce_implILb1ES3_N6hipcub16HIPCUB_304000_NS22TransformInputIteratorIb7NonZeroIdEPdlEEPllNS8_6detail34convert_binary_result_type_wrapperINS8_3SumESD_lEEEE10hipError_tPvRmT1_T2_T3_mT4_P12ihipStream_tbEUlT_E0_NS1_11comp_targetILNS1_3genE4ELNS1_11target_archE910ELNS1_3gpuE8ELNS1_3repE0EEENS1_30default_config_static_selectorELNS0_4arch9wavefront6targetE1EEEvSM_.num_agpr, 0
	.set _ZN7rocprim17ROCPRIM_400000_NS6detail17trampoline_kernelINS0_14default_configENS1_22reduce_config_selectorIbEEZNS1_11reduce_implILb1ES3_N6hipcub16HIPCUB_304000_NS22TransformInputIteratorIb7NonZeroIdEPdlEEPllNS8_6detail34convert_binary_result_type_wrapperINS8_3SumESD_lEEEE10hipError_tPvRmT1_T2_T3_mT4_P12ihipStream_tbEUlT_E0_NS1_11comp_targetILNS1_3genE4ELNS1_11target_archE910ELNS1_3gpuE8ELNS1_3repE0EEENS1_30default_config_static_selectorELNS0_4arch9wavefront6targetE1EEEvSM_.numbered_sgpr, 0
	.set _ZN7rocprim17ROCPRIM_400000_NS6detail17trampoline_kernelINS0_14default_configENS1_22reduce_config_selectorIbEEZNS1_11reduce_implILb1ES3_N6hipcub16HIPCUB_304000_NS22TransformInputIteratorIb7NonZeroIdEPdlEEPllNS8_6detail34convert_binary_result_type_wrapperINS8_3SumESD_lEEEE10hipError_tPvRmT1_T2_T3_mT4_P12ihipStream_tbEUlT_E0_NS1_11comp_targetILNS1_3genE4ELNS1_11target_archE910ELNS1_3gpuE8ELNS1_3repE0EEENS1_30default_config_static_selectorELNS0_4arch9wavefront6targetE1EEEvSM_.num_named_barrier, 0
	.set _ZN7rocprim17ROCPRIM_400000_NS6detail17trampoline_kernelINS0_14default_configENS1_22reduce_config_selectorIbEEZNS1_11reduce_implILb1ES3_N6hipcub16HIPCUB_304000_NS22TransformInputIteratorIb7NonZeroIdEPdlEEPllNS8_6detail34convert_binary_result_type_wrapperINS8_3SumESD_lEEEE10hipError_tPvRmT1_T2_T3_mT4_P12ihipStream_tbEUlT_E0_NS1_11comp_targetILNS1_3genE4ELNS1_11target_archE910ELNS1_3gpuE8ELNS1_3repE0EEENS1_30default_config_static_selectorELNS0_4arch9wavefront6targetE1EEEvSM_.private_seg_size, 0
	.set _ZN7rocprim17ROCPRIM_400000_NS6detail17trampoline_kernelINS0_14default_configENS1_22reduce_config_selectorIbEEZNS1_11reduce_implILb1ES3_N6hipcub16HIPCUB_304000_NS22TransformInputIteratorIb7NonZeroIdEPdlEEPllNS8_6detail34convert_binary_result_type_wrapperINS8_3SumESD_lEEEE10hipError_tPvRmT1_T2_T3_mT4_P12ihipStream_tbEUlT_E0_NS1_11comp_targetILNS1_3genE4ELNS1_11target_archE910ELNS1_3gpuE8ELNS1_3repE0EEENS1_30default_config_static_selectorELNS0_4arch9wavefront6targetE1EEEvSM_.uses_vcc, 0
	.set _ZN7rocprim17ROCPRIM_400000_NS6detail17trampoline_kernelINS0_14default_configENS1_22reduce_config_selectorIbEEZNS1_11reduce_implILb1ES3_N6hipcub16HIPCUB_304000_NS22TransformInputIteratorIb7NonZeroIdEPdlEEPllNS8_6detail34convert_binary_result_type_wrapperINS8_3SumESD_lEEEE10hipError_tPvRmT1_T2_T3_mT4_P12ihipStream_tbEUlT_E0_NS1_11comp_targetILNS1_3genE4ELNS1_11target_archE910ELNS1_3gpuE8ELNS1_3repE0EEENS1_30default_config_static_selectorELNS0_4arch9wavefront6targetE1EEEvSM_.uses_flat_scratch, 0
	.set _ZN7rocprim17ROCPRIM_400000_NS6detail17trampoline_kernelINS0_14default_configENS1_22reduce_config_selectorIbEEZNS1_11reduce_implILb1ES3_N6hipcub16HIPCUB_304000_NS22TransformInputIteratorIb7NonZeroIdEPdlEEPllNS8_6detail34convert_binary_result_type_wrapperINS8_3SumESD_lEEEE10hipError_tPvRmT1_T2_T3_mT4_P12ihipStream_tbEUlT_E0_NS1_11comp_targetILNS1_3genE4ELNS1_11target_archE910ELNS1_3gpuE8ELNS1_3repE0EEENS1_30default_config_static_selectorELNS0_4arch9wavefront6targetE1EEEvSM_.has_dyn_sized_stack, 0
	.set _ZN7rocprim17ROCPRIM_400000_NS6detail17trampoline_kernelINS0_14default_configENS1_22reduce_config_selectorIbEEZNS1_11reduce_implILb1ES3_N6hipcub16HIPCUB_304000_NS22TransformInputIteratorIb7NonZeroIdEPdlEEPllNS8_6detail34convert_binary_result_type_wrapperINS8_3SumESD_lEEEE10hipError_tPvRmT1_T2_T3_mT4_P12ihipStream_tbEUlT_E0_NS1_11comp_targetILNS1_3genE4ELNS1_11target_archE910ELNS1_3gpuE8ELNS1_3repE0EEENS1_30default_config_static_selectorELNS0_4arch9wavefront6targetE1EEEvSM_.has_recursion, 0
	.set _ZN7rocprim17ROCPRIM_400000_NS6detail17trampoline_kernelINS0_14default_configENS1_22reduce_config_selectorIbEEZNS1_11reduce_implILb1ES3_N6hipcub16HIPCUB_304000_NS22TransformInputIteratorIb7NonZeroIdEPdlEEPllNS8_6detail34convert_binary_result_type_wrapperINS8_3SumESD_lEEEE10hipError_tPvRmT1_T2_T3_mT4_P12ihipStream_tbEUlT_E0_NS1_11comp_targetILNS1_3genE4ELNS1_11target_archE910ELNS1_3gpuE8ELNS1_3repE0EEENS1_30default_config_static_selectorELNS0_4arch9wavefront6targetE1EEEvSM_.has_indirect_call, 0
	.section	.AMDGPU.csdata,"",@progbits
; Kernel info:
; codeLenInByte = 0
; TotalNumSgprs: 4
; NumVgprs: 0
; ScratchSize: 0
; MemoryBound: 0
; FloatMode: 240
; IeeeMode: 1
; LDSByteSize: 0 bytes/workgroup (compile time only)
; SGPRBlocks: 0
; VGPRBlocks: 0
; NumSGPRsForWavesPerEU: 4
; NumVGPRsForWavesPerEU: 1
; Occupancy: 10
; WaveLimiterHint : 0
; COMPUTE_PGM_RSRC2:SCRATCH_EN: 0
; COMPUTE_PGM_RSRC2:USER_SGPR: 6
; COMPUTE_PGM_RSRC2:TRAP_HANDLER: 0
; COMPUTE_PGM_RSRC2:TGID_X_EN: 1
; COMPUTE_PGM_RSRC2:TGID_Y_EN: 0
; COMPUTE_PGM_RSRC2:TGID_Z_EN: 0
; COMPUTE_PGM_RSRC2:TIDIG_COMP_CNT: 0
	.section	.text._ZN7rocprim17ROCPRIM_400000_NS6detail17trampoline_kernelINS0_14default_configENS1_22reduce_config_selectorIbEEZNS1_11reduce_implILb1ES3_N6hipcub16HIPCUB_304000_NS22TransformInputIteratorIb7NonZeroIdEPdlEEPllNS8_6detail34convert_binary_result_type_wrapperINS8_3SumESD_lEEEE10hipError_tPvRmT1_T2_T3_mT4_P12ihipStream_tbEUlT_E0_NS1_11comp_targetILNS1_3genE3ELNS1_11target_archE908ELNS1_3gpuE7ELNS1_3repE0EEENS1_30default_config_static_selectorELNS0_4arch9wavefront6targetE1EEEvSM_,"axG",@progbits,_ZN7rocprim17ROCPRIM_400000_NS6detail17trampoline_kernelINS0_14default_configENS1_22reduce_config_selectorIbEEZNS1_11reduce_implILb1ES3_N6hipcub16HIPCUB_304000_NS22TransformInputIteratorIb7NonZeroIdEPdlEEPllNS8_6detail34convert_binary_result_type_wrapperINS8_3SumESD_lEEEE10hipError_tPvRmT1_T2_T3_mT4_P12ihipStream_tbEUlT_E0_NS1_11comp_targetILNS1_3genE3ELNS1_11target_archE908ELNS1_3gpuE7ELNS1_3repE0EEENS1_30default_config_static_selectorELNS0_4arch9wavefront6targetE1EEEvSM_,comdat
	.protected	_ZN7rocprim17ROCPRIM_400000_NS6detail17trampoline_kernelINS0_14default_configENS1_22reduce_config_selectorIbEEZNS1_11reduce_implILb1ES3_N6hipcub16HIPCUB_304000_NS22TransformInputIteratorIb7NonZeroIdEPdlEEPllNS8_6detail34convert_binary_result_type_wrapperINS8_3SumESD_lEEEE10hipError_tPvRmT1_T2_T3_mT4_P12ihipStream_tbEUlT_E0_NS1_11comp_targetILNS1_3genE3ELNS1_11target_archE908ELNS1_3gpuE7ELNS1_3repE0EEENS1_30default_config_static_selectorELNS0_4arch9wavefront6targetE1EEEvSM_ ; -- Begin function _ZN7rocprim17ROCPRIM_400000_NS6detail17trampoline_kernelINS0_14default_configENS1_22reduce_config_selectorIbEEZNS1_11reduce_implILb1ES3_N6hipcub16HIPCUB_304000_NS22TransformInputIteratorIb7NonZeroIdEPdlEEPllNS8_6detail34convert_binary_result_type_wrapperINS8_3SumESD_lEEEE10hipError_tPvRmT1_T2_T3_mT4_P12ihipStream_tbEUlT_E0_NS1_11comp_targetILNS1_3genE3ELNS1_11target_archE908ELNS1_3gpuE7ELNS1_3repE0EEENS1_30default_config_static_selectorELNS0_4arch9wavefront6targetE1EEEvSM_
	.globl	_ZN7rocprim17ROCPRIM_400000_NS6detail17trampoline_kernelINS0_14default_configENS1_22reduce_config_selectorIbEEZNS1_11reduce_implILb1ES3_N6hipcub16HIPCUB_304000_NS22TransformInputIteratorIb7NonZeroIdEPdlEEPllNS8_6detail34convert_binary_result_type_wrapperINS8_3SumESD_lEEEE10hipError_tPvRmT1_T2_T3_mT4_P12ihipStream_tbEUlT_E0_NS1_11comp_targetILNS1_3genE3ELNS1_11target_archE908ELNS1_3gpuE7ELNS1_3repE0EEENS1_30default_config_static_selectorELNS0_4arch9wavefront6targetE1EEEvSM_
	.p2align	8
	.type	_ZN7rocprim17ROCPRIM_400000_NS6detail17trampoline_kernelINS0_14default_configENS1_22reduce_config_selectorIbEEZNS1_11reduce_implILb1ES3_N6hipcub16HIPCUB_304000_NS22TransformInputIteratorIb7NonZeroIdEPdlEEPllNS8_6detail34convert_binary_result_type_wrapperINS8_3SumESD_lEEEE10hipError_tPvRmT1_T2_T3_mT4_P12ihipStream_tbEUlT_E0_NS1_11comp_targetILNS1_3genE3ELNS1_11target_archE908ELNS1_3gpuE7ELNS1_3repE0EEENS1_30default_config_static_selectorELNS0_4arch9wavefront6targetE1EEEvSM_,@function
_ZN7rocprim17ROCPRIM_400000_NS6detail17trampoline_kernelINS0_14default_configENS1_22reduce_config_selectorIbEEZNS1_11reduce_implILb1ES3_N6hipcub16HIPCUB_304000_NS22TransformInputIteratorIb7NonZeroIdEPdlEEPllNS8_6detail34convert_binary_result_type_wrapperINS8_3SumESD_lEEEE10hipError_tPvRmT1_T2_T3_mT4_P12ihipStream_tbEUlT_E0_NS1_11comp_targetILNS1_3genE3ELNS1_11target_archE908ELNS1_3gpuE7ELNS1_3repE0EEENS1_30default_config_static_selectorELNS0_4arch9wavefront6targetE1EEEvSM_: ; @_ZN7rocprim17ROCPRIM_400000_NS6detail17trampoline_kernelINS0_14default_configENS1_22reduce_config_selectorIbEEZNS1_11reduce_implILb1ES3_N6hipcub16HIPCUB_304000_NS22TransformInputIteratorIb7NonZeroIdEPdlEEPllNS8_6detail34convert_binary_result_type_wrapperINS8_3SumESD_lEEEE10hipError_tPvRmT1_T2_T3_mT4_P12ihipStream_tbEUlT_E0_NS1_11comp_targetILNS1_3genE3ELNS1_11target_archE908ELNS1_3gpuE7ELNS1_3repE0EEENS1_30default_config_static_selectorELNS0_4arch9wavefront6targetE1EEEvSM_
; %bb.0:
	.section	.rodata,"a",@progbits
	.p2align	6, 0x0
	.amdhsa_kernel _ZN7rocprim17ROCPRIM_400000_NS6detail17trampoline_kernelINS0_14default_configENS1_22reduce_config_selectorIbEEZNS1_11reduce_implILb1ES3_N6hipcub16HIPCUB_304000_NS22TransformInputIteratorIb7NonZeroIdEPdlEEPllNS8_6detail34convert_binary_result_type_wrapperINS8_3SumESD_lEEEE10hipError_tPvRmT1_T2_T3_mT4_P12ihipStream_tbEUlT_E0_NS1_11comp_targetILNS1_3genE3ELNS1_11target_archE908ELNS1_3gpuE7ELNS1_3repE0EEENS1_30default_config_static_selectorELNS0_4arch9wavefront6targetE1EEEvSM_
		.amdhsa_group_segment_fixed_size 0
		.amdhsa_private_segment_fixed_size 0
		.amdhsa_kernarg_size 72
		.amdhsa_user_sgpr_count 6
		.amdhsa_user_sgpr_private_segment_buffer 1
		.amdhsa_user_sgpr_dispatch_ptr 0
		.amdhsa_user_sgpr_queue_ptr 0
		.amdhsa_user_sgpr_kernarg_segment_ptr 1
		.amdhsa_user_sgpr_dispatch_id 0
		.amdhsa_user_sgpr_flat_scratch_init 0
		.amdhsa_user_sgpr_private_segment_size 0
		.amdhsa_uses_dynamic_stack 0
		.amdhsa_system_sgpr_private_segment_wavefront_offset 0
		.amdhsa_system_sgpr_workgroup_id_x 1
		.amdhsa_system_sgpr_workgroup_id_y 0
		.amdhsa_system_sgpr_workgroup_id_z 0
		.amdhsa_system_sgpr_workgroup_info 0
		.amdhsa_system_vgpr_workitem_id 0
		.amdhsa_next_free_vgpr 1
		.amdhsa_next_free_sgpr 0
		.amdhsa_reserve_vcc 0
		.amdhsa_reserve_flat_scratch 0
		.amdhsa_float_round_mode_32 0
		.amdhsa_float_round_mode_16_64 0
		.amdhsa_float_denorm_mode_32 3
		.amdhsa_float_denorm_mode_16_64 3
		.amdhsa_dx10_clamp 1
		.amdhsa_ieee_mode 1
		.amdhsa_fp16_overflow 0
		.amdhsa_exception_fp_ieee_invalid_op 0
		.amdhsa_exception_fp_denorm_src 0
		.amdhsa_exception_fp_ieee_div_zero 0
		.amdhsa_exception_fp_ieee_overflow 0
		.amdhsa_exception_fp_ieee_underflow 0
		.amdhsa_exception_fp_ieee_inexact 0
		.amdhsa_exception_int_div_zero 0
	.end_amdhsa_kernel
	.section	.text._ZN7rocprim17ROCPRIM_400000_NS6detail17trampoline_kernelINS0_14default_configENS1_22reduce_config_selectorIbEEZNS1_11reduce_implILb1ES3_N6hipcub16HIPCUB_304000_NS22TransformInputIteratorIb7NonZeroIdEPdlEEPllNS8_6detail34convert_binary_result_type_wrapperINS8_3SumESD_lEEEE10hipError_tPvRmT1_T2_T3_mT4_P12ihipStream_tbEUlT_E0_NS1_11comp_targetILNS1_3genE3ELNS1_11target_archE908ELNS1_3gpuE7ELNS1_3repE0EEENS1_30default_config_static_selectorELNS0_4arch9wavefront6targetE1EEEvSM_,"axG",@progbits,_ZN7rocprim17ROCPRIM_400000_NS6detail17trampoline_kernelINS0_14default_configENS1_22reduce_config_selectorIbEEZNS1_11reduce_implILb1ES3_N6hipcub16HIPCUB_304000_NS22TransformInputIteratorIb7NonZeroIdEPdlEEPllNS8_6detail34convert_binary_result_type_wrapperINS8_3SumESD_lEEEE10hipError_tPvRmT1_T2_T3_mT4_P12ihipStream_tbEUlT_E0_NS1_11comp_targetILNS1_3genE3ELNS1_11target_archE908ELNS1_3gpuE7ELNS1_3repE0EEENS1_30default_config_static_selectorELNS0_4arch9wavefront6targetE1EEEvSM_,comdat
.Lfunc_end306:
	.size	_ZN7rocprim17ROCPRIM_400000_NS6detail17trampoline_kernelINS0_14default_configENS1_22reduce_config_selectorIbEEZNS1_11reduce_implILb1ES3_N6hipcub16HIPCUB_304000_NS22TransformInputIteratorIb7NonZeroIdEPdlEEPllNS8_6detail34convert_binary_result_type_wrapperINS8_3SumESD_lEEEE10hipError_tPvRmT1_T2_T3_mT4_P12ihipStream_tbEUlT_E0_NS1_11comp_targetILNS1_3genE3ELNS1_11target_archE908ELNS1_3gpuE7ELNS1_3repE0EEENS1_30default_config_static_selectorELNS0_4arch9wavefront6targetE1EEEvSM_, .Lfunc_end306-_ZN7rocprim17ROCPRIM_400000_NS6detail17trampoline_kernelINS0_14default_configENS1_22reduce_config_selectorIbEEZNS1_11reduce_implILb1ES3_N6hipcub16HIPCUB_304000_NS22TransformInputIteratorIb7NonZeroIdEPdlEEPllNS8_6detail34convert_binary_result_type_wrapperINS8_3SumESD_lEEEE10hipError_tPvRmT1_T2_T3_mT4_P12ihipStream_tbEUlT_E0_NS1_11comp_targetILNS1_3genE3ELNS1_11target_archE908ELNS1_3gpuE7ELNS1_3repE0EEENS1_30default_config_static_selectorELNS0_4arch9wavefront6targetE1EEEvSM_
                                        ; -- End function
	.set _ZN7rocprim17ROCPRIM_400000_NS6detail17trampoline_kernelINS0_14default_configENS1_22reduce_config_selectorIbEEZNS1_11reduce_implILb1ES3_N6hipcub16HIPCUB_304000_NS22TransformInputIteratorIb7NonZeroIdEPdlEEPllNS8_6detail34convert_binary_result_type_wrapperINS8_3SumESD_lEEEE10hipError_tPvRmT1_T2_T3_mT4_P12ihipStream_tbEUlT_E0_NS1_11comp_targetILNS1_3genE3ELNS1_11target_archE908ELNS1_3gpuE7ELNS1_3repE0EEENS1_30default_config_static_selectorELNS0_4arch9wavefront6targetE1EEEvSM_.num_vgpr, 0
	.set _ZN7rocprim17ROCPRIM_400000_NS6detail17trampoline_kernelINS0_14default_configENS1_22reduce_config_selectorIbEEZNS1_11reduce_implILb1ES3_N6hipcub16HIPCUB_304000_NS22TransformInputIteratorIb7NonZeroIdEPdlEEPllNS8_6detail34convert_binary_result_type_wrapperINS8_3SumESD_lEEEE10hipError_tPvRmT1_T2_T3_mT4_P12ihipStream_tbEUlT_E0_NS1_11comp_targetILNS1_3genE3ELNS1_11target_archE908ELNS1_3gpuE7ELNS1_3repE0EEENS1_30default_config_static_selectorELNS0_4arch9wavefront6targetE1EEEvSM_.num_agpr, 0
	.set _ZN7rocprim17ROCPRIM_400000_NS6detail17trampoline_kernelINS0_14default_configENS1_22reduce_config_selectorIbEEZNS1_11reduce_implILb1ES3_N6hipcub16HIPCUB_304000_NS22TransformInputIteratorIb7NonZeroIdEPdlEEPllNS8_6detail34convert_binary_result_type_wrapperINS8_3SumESD_lEEEE10hipError_tPvRmT1_T2_T3_mT4_P12ihipStream_tbEUlT_E0_NS1_11comp_targetILNS1_3genE3ELNS1_11target_archE908ELNS1_3gpuE7ELNS1_3repE0EEENS1_30default_config_static_selectorELNS0_4arch9wavefront6targetE1EEEvSM_.numbered_sgpr, 0
	.set _ZN7rocprim17ROCPRIM_400000_NS6detail17trampoline_kernelINS0_14default_configENS1_22reduce_config_selectorIbEEZNS1_11reduce_implILb1ES3_N6hipcub16HIPCUB_304000_NS22TransformInputIteratorIb7NonZeroIdEPdlEEPllNS8_6detail34convert_binary_result_type_wrapperINS8_3SumESD_lEEEE10hipError_tPvRmT1_T2_T3_mT4_P12ihipStream_tbEUlT_E0_NS1_11comp_targetILNS1_3genE3ELNS1_11target_archE908ELNS1_3gpuE7ELNS1_3repE0EEENS1_30default_config_static_selectorELNS0_4arch9wavefront6targetE1EEEvSM_.num_named_barrier, 0
	.set _ZN7rocprim17ROCPRIM_400000_NS6detail17trampoline_kernelINS0_14default_configENS1_22reduce_config_selectorIbEEZNS1_11reduce_implILb1ES3_N6hipcub16HIPCUB_304000_NS22TransformInputIteratorIb7NonZeroIdEPdlEEPllNS8_6detail34convert_binary_result_type_wrapperINS8_3SumESD_lEEEE10hipError_tPvRmT1_T2_T3_mT4_P12ihipStream_tbEUlT_E0_NS1_11comp_targetILNS1_3genE3ELNS1_11target_archE908ELNS1_3gpuE7ELNS1_3repE0EEENS1_30default_config_static_selectorELNS0_4arch9wavefront6targetE1EEEvSM_.private_seg_size, 0
	.set _ZN7rocprim17ROCPRIM_400000_NS6detail17trampoline_kernelINS0_14default_configENS1_22reduce_config_selectorIbEEZNS1_11reduce_implILb1ES3_N6hipcub16HIPCUB_304000_NS22TransformInputIteratorIb7NonZeroIdEPdlEEPllNS8_6detail34convert_binary_result_type_wrapperINS8_3SumESD_lEEEE10hipError_tPvRmT1_T2_T3_mT4_P12ihipStream_tbEUlT_E0_NS1_11comp_targetILNS1_3genE3ELNS1_11target_archE908ELNS1_3gpuE7ELNS1_3repE0EEENS1_30default_config_static_selectorELNS0_4arch9wavefront6targetE1EEEvSM_.uses_vcc, 0
	.set _ZN7rocprim17ROCPRIM_400000_NS6detail17trampoline_kernelINS0_14default_configENS1_22reduce_config_selectorIbEEZNS1_11reduce_implILb1ES3_N6hipcub16HIPCUB_304000_NS22TransformInputIteratorIb7NonZeroIdEPdlEEPllNS8_6detail34convert_binary_result_type_wrapperINS8_3SumESD_lEEEE10hipError_tPvRmT1_T2_T3_mT4_P12ihipStream_tbEUlT_E0_NS1_11comp_targetILNS1_3genE3ELNS1_11target_archE908ELNS1_3gpuE7ELNS1_3repE0EEENS1_30default_config_static_selectorELNS0_4arch9wavefront6targetE1EEEvSM_.uses_flat_scratch, 0
	.set _ZN7rocprim17ROCPRIM_400000_NS6detail17trampoline_kernelINS0_14default_configENS1_22reduce_config_selectorIbEEZNS1_11reduce_implILb1ES3_N6hipcub16HIPCUB_304000_NS22TransformInputIteratorIb7NonZeroIdEPdlEEPllNS8_6detail34convert_binary_result_type_wrapperINS8_3SumESD_lEEEE10hipError_tPvRmT1_T2_T3_mT4_P12ihipStream_tbEUlT_E0_NS1_11comp_targetILNS1_3genE3ELNS1_11target_archE908ELNS1_3gpuE7ELNS1_3repE0EEENS1_30default_config_static_selectorELNS0_4arch9wavefront6targetE1EEEvSM_.has_dyn_sized_stack, 0
	.set _ZN7rocprim17ROCPRIM_400000_NS6detail17trampoline_kernelINS0_14default_configENS1_22reduce_config_selectorIbEEZNS1_11reduce_implILb1ES3_N6hipcub16HIPCUB_304000_NS22TransformInputIteratorIb7NonZeroIdEPdlEEPllNS8_6detail34convert_binary_result_type_wrapperINS8_3SumESD_lEEEE10hipError_tPvRmT1_T2_T3_mT4_P12ihipStream_tbEUlT_E0_NS1_11comp_targetILNS1_3genE3ELNS1_11target_archE908ELNS1_3gpuE7ELNS1_3repE0EEENS1_30default_config_static_selectorELNS0_4arch9wavefront6targetE1EEEvSM_.has_recursion, 0
	.set _ZN7rocprim17ROCPRIM_400000_NS6detail17trampoline_kernelINS0_14default_configENS1_22reduce_config_selectorIbEEZNS1_11reduce_implILb1ES3_N6hipcub16HIPCUB_304000_NS22TransformInputIteratorIb7NonZeroIdEPdlEEPllNS8_6detail34convert_binary_result_type_wrapperINS8_3SumESD_lEEEE10hipError_tPvRmT1_T2_T3_mT4_P12ihipStream_tbEUlT_E0_NS1_11comp_targetILNS1_3genE3ELNS1_11target_archE908ELNS1_3gpuE7ELNS1_3repE0EEENS1_30default_config_static_selectorELNS0_4arch9wavefront6targetE1EEEvSM_.has_indirect_call, 0
	.section	.AMDGPU.csdata,"",@progbits
; Kernel info:
; codeLenInByte = 0
; TotalNumSgprs: 4
; NumVgprs: 0
; ScratchSize: 0
; MemoryBound: 0
; FloatMode: 240
; IeeeMode: 1
; LDSByteSize: 0 bytes/workgroup (compile time only)
; SGPRBlocks: 0
; VGPRBlocks: 0
; NumSGPRsForWavesPerEU: 4
; NumVGPRsForWavesPerEU: 1
; Occupancy: 10
; WaveLimiterHint : 0
; COMPUTE_PGM_RSRC2:SCRATCH_EN: 0
; COMPUTE_PGM_RSRC2:USER_SGPR: 6
; COMPUTE_PGM_RSRC2:TRAP_HANDLER: 0
; COMPUTE_PGM_RSRC2:TGID_X_EN: 1
; COMPUTE_PGM_RSRC2:TGID_Y_EN: 0
; COMPUTE_PGM_RSRC2:TGID_Z_EN: 0
; COMPUTE_PGM_RSRC2:TIDIG_COMP_CNT: 0
	.section	.text._ZN7rocprim17ROCPRIM_400000_NS6detail17trampoline_kernelINS0_14default_configENS1_22reduce_config_selectorIbEEZNS1_11reduce_implILb1ES3_N6hipcub16HIPCUB_304000_NS22TransformInputIteratorIb7NonZeroIdEPdlEEPllNS8_6detail34convert_binary_result_type_wrapperINS8_3SumESD_lEEEE10hipError_tPvRmT1_T2_T3_mT4_P12ihipStream_tbEUlT_E0_NS1_11comp_targetILNS1_3genE2ELNS1_11target_archE906ELNS1_3gpuE6ELNS1_3repE0EEENS1_30default_config_static_selectorELNS0_4arch9wavefront6targetE1EEEvSM_,"axG",@progbits,_ZN7rocprim17ROCPRIM_400000_NS6detail17trampoline_kernelINS0_14default_configENS1_22reduce_config_selectorIbEEZNS1_11reduce_implILb1ES3_N6hipcub16HIPCUB_304000_NS22TransformInputIteratorIb7NonZeroIdEPdlEEPllNS8_6detail34convert_binary_result_type_wrapperINS8_3SumESD_lEEEE10hipError_tPvRmT1_T2_T3_mT4_P12ihipStream_tbEUlT_E0_NS1_11comp_targetILNS1_3genE2ELNS1_11target_archE906ELNS1_3gpuE6ELNS1_3repE0EEENS1_30default_config_static_selectorELNS0_4arch9wavefront6targetE1EEEvSM_,comdat
	.protected	_ZN7rocprim17ROCPRIM_400000_NS6detail17trampoline_kernelINS0_14default_configENS1_22reduce_config_selectorIbEEZNS1_11reduce_implILb1ES3_N6hipcub16HIPCUB_304000_NS22TransformInputIteratorIb7NonZeroIdEPdlEEPllNS8_6detail34convert_binary_result_type_wrapperINS8_3SumESD_lEEEE10hipError_tPvRmT1_T2_T3_mT4_P12ihipStream_tbEUlT_E0_NS1_11comp_targetILNS1_3genE2ELNS1_11target_archE906ELNS1_3gpuE6ELNS1_3repE0EEENS1_30default_config_static_selectorELNS0_4arch9wavefront6targetE1EEEvSM_ ; -- Begin function _ZN7rocprim17ROCPRIM_400000_NS6detail17trampoline_kernelINS0_14default_configENS1_22reduce_config_selectorIbEEZNS1_11reduce_implILb1ES3_N6hipcub16HIPCUB_304000_NS22TransformInputIteratorIb7NonZeroIdEPdlEEPllNS8_6detail34convert_binary_result_type_wrapperINS8_3SumESD_lEEEE10hipError_tPvRmT1_T2_T3_mT4_P12ihipStream_tbEUlT_E0_NS1_11comp_targetILNS1_3genE2ELNS1_11target_archE906ELNS1_3gpuE6ELNS1_3repE0EEENS1_30default_config_static_selectorELNS0_4arch9wavefront6targetE1EEEvSM_
	.globl	_ZN7rocprim17ROCPRIM_400000_NS6detail17trampoline_kernelINS0_14default_configENS1_22reduce_config_selectorIbEEZNS1_11reduce_implILb1ES3_N6hipcub16HIPCUB_304000_NS22TransformInputIteratorIb7NonZeroIdEPdlEEPllNS8_6detail34convert_binary_result_type_wrapperINS8_3SumESD_lEEEE10hipError_tPvRmT1_T2_T3_mT4_P12ihipStream_tbEUlT_E0_NS1_11comp_targetILNS1_3genE2ELNS1_11target_archE906ELNS1_3gpuE6ELNS1_3repE0EEENS1_30default_config_static_selectorELNS0_4arch9wavefront6targetE1EEEvSM_
	.p2align	8
	.type	_ZN7rocprim17ROCPRIM_400000_NS6detail17trampoline_kernelINS0_14default_configENS1_22reduce_config_selectorIbEEZNS1_11reduce_implILb1ES3_N6hipcub16HIPCUB_304000_NS22TransformInputIteratorIb7NonZeroIdEPdlEEPllNS8_6detail34convert_binary_result_type_wrapperINS8_3SumESD_lEEEE10hipError_tPvRmT1_T2_T3_mT4_P12ihipStream_tbEUlT_E0_NS1_11comp_targetILNS1_3genE2ELNS1_11target_archE906ELNS1_3gpuE6ELNS1_3repE0EEENS1_30default_config_static_selectorELNS0_4arch9wavefront6targetE1EEEvSM_,@function
_ZN7rocprim17ROCPRIM_400000_NS6detail17trampoline_kernelINS0_14default_configENS1_22reduce_config_selectorIbEEZNS1_11reduce_implILb1ES3_N6hipcub16HIPCUB_304000_NS22TransformInputIteratorIb7NonZeroIdEPdlEEPllNS8_6detail34convert_binary_result_type_wrapperINS8_3SumESD_lEEEE10hipError_tPvRmT1_T2_T3_mT4_P12ihipStream_tbEUlT_E0_NS1_11comp_targetILNS1_3genE2ELNS1_11target_archE906ELNS1_3gpuE6ELNS1_3repE0EEENS1_30default_config_static_selectorELNS0_4arch9wavefront6targetE1EEEvSM_: ; @_ZN7rocprim17ROCPRIM_400000_NS6detail17trampoline_kernelINS0_14default_configENS1_22reduce_config_selectorIbEEZNS1_11reduce_implILb1ES3_N6hipcub16HIPCUB_304000_NS22TransformInputIteratorIb7NonZeroIdEPdlEEPllNS8_6detail34convert_binary_result_type_wrapperINS8_3SumESD_lEEEE10hipError_tPvRmT1_T2_T3_mT4_P12ihipStream_tbEUlT_E0_NS1_11comp_targetILNS1_3genE2ELNS1_11target_archE906ELNS1_3gpuE6ELNS1_3repE0EEENS1_30default_config_static_selectorELNS0_4arch9wavefront6targetE1EEEvSM_
; %bb.0:
	s_load_dwordx8 s[8:15], s[4:5], 0x10
	s_load_dwordx2 s[0:1], s[4:5], 0x0
	s_load_dwordx4 s[16:19], s[4:5], 0x30
	s_mov_b32 s5, 0
	s_mov_b32 s7, s5
	s_waitcnt lgkmcnt(0)
	s_lshl_b64 s[2:3], s[8:9], 3
	s_add_u32 s8, s0, s2
	s_addc_u32 s9, s1, s3
	s_lshl_b32 s4, s6, 11
	s_lshr_b64 s[0:1], s[10:11], 11
	s_lshl_b64 s[2:3], s[4:5], 3
	s_add_u32 s2, s8, s2
	s_addc_u32 s3, s9, s3
	s_cmp_lg_u64 s[0:1], s[6:7]
	v_lshlrev_b32_e32 v11, 3, v0
	v_mbcnt_lo_u32_b32 v33, -1, 0
	s_cbranch_scc0 .LBB307_6
; %bb.1:
	global_load_dwordx2 v[1:2], v11, s[2:3]
	global_load_dwordx2 v[3:4], v11, s[2:3] offset:1024
	global_load_dwordx2 v[5:6], v11, s[2:3] offset:2048
	;; [unrolled: 1-line block ×3, first 2 shown]
	v_mov_b32_e32 v9, s3
	v_add_co_u32_e32 v24, vcc, s2, v11
	v_addc_co_u32_e32 v25, vcc, 0, v9, vcc
	v_add_co_u32_e32 v9, vcc, 0x1000, v24
	v_addc_co_u32_e32 v10, vcc, 0, v25, vcc
	global_load_dwordx2 v[12:13], v[9:10], off
	s_movk_i32 s1, 0x3000
	v_add_co_u32_e32 v14, vcc, s1, v24
	v_addc_co_u32_e32 v15, vcc, 0, v25, vcc
	global_load_dwordx2 v[16:17], v[9:10], off offset:1024
	global_load_dwordx2 v[18:19], v[9:10], off offset:2048
	;; [unrolled: 1-line block ×3, first 2 shown]
	global_load_dwordx2 v[22:23], v[14:15], off offset:-4096
	s_movk_i32 s0, 0x2000
	v_add_co_u32_e32 v9, vcc, s0, v24
	v_addc_co_u32_e32 v10, vcc, 0, v25, vcc
	global_load_dwordx2 v[24:25], v[9:10], off offset:1024
	global_load_dwordx2 v[26:27], v[9:10], off offset:2048
	;; [unrolled: 1-line block ×3, first 2 shown]
	global_load_dwordx2 v[30:31], v[14:15], off
	global_load_dwordx2 v[34:35], v[14:15], off offset:1024
	s_waitcnt vmcnt(13)
	v_cmp_neq_f64_e32 vcc, 0, v[1:2]
	s_waitcnt vmcnt(10)
	v_cmp_neq_f64_e64 s[0:1], 0, v[7:8]
	global_load_dwordx2 v[1:2], v[14:15], off offset:2048
	global_load_dwordx2 v[9:10], v[14:15], off offset:3072
	v_mov_b32_e32 v7, 0
	v_cndmask_b32_e64 v8, 0, 1, s[0:1]
	v_cmp_neq_f64_e64 s[0:1], 0, v[3:4]
	v_cndmask_b32_e64 v4, 0, 1, vcc
	v_cmp_neq_f64_e32 vcc, 0, v[5:6]
	v_cndmask_b32_e64 v3, 0, 1, s[0:1]
	v_addc_co_u32_e32 v3, vcc, v3, v4, vcc
	v_add_co_u32_e32 v3, vcc, v3, v8
	v_addc_co_u32_e64 v4, s[0:1], 0, 0, vcc
	s_waitcnt vmcnt(11)
	v_cmp_neq_f64_e32 vcc, 0, v[12:13]
	v_cndmask_b32_e64 v5, 0, 1, vcc
	s_waitcnt vmcnt(10)
	v_cmp_neq_f64_e32 vcc, 0, v[16:17]
	v_cndmask_b32_e64 v6, 0, 1, vcc
	;; [unrolled: 3-line block ×12, first 2 shown]
	v_add_co_u32_e32 v3, vcc, v3, v5
	v_addc_co_u32_e32 v4, vcc, 0, v4, vcc
	v_add_co_u32_e32 v3, vcc, v3, v6
	v_addc_co_u32_e32 v4, vcc, 0, v4, vcc
	;; [unrolled: 2-line block ×12, first 2 shown]
	s_nop 0
	v_mov_b32_dpp v4, v1 quad_perm:[1,0,3,2] row_mask:0xf bank_mask:0xf bound_ctrl:1
	v_add_co_u32_e32 v1, vcc, v1, v4
	v_addc_co_u32_e32 v2, vcc, 0, v2, vcc
	v_mov_b32_dpp v5, v7 quad_perm:[1,0,3,2] row_mask:0xf bank_mask:0xf bound_ctrl:1
	v_add_co_u32_e32 v4, vcc, 0, v1
	v_addc_co_u32_e32 v2, vcc, v5, v2, vcc
	v_mov_b32_dpp v1, v1 quad_perm:[2,3,0,1] row_mask:0xf bank_mask:0xf bound_ctrl:1
	v_add_co_u32_e32 v1, vcc, v4, v1
	v_mov_b32_dpp v5, v2 quad_perm:[2,3,0,1] row_mask:0xf bank_mask:0xf bound_ctrl:1
	v_addc_co_u32_e32 v2, vcc, 0, v2, vcc
	v_add_co_u32_e32 v4, vcc, 0, v1
	v_addc_co_u32_e32 v2, vcc, v2, v5, vcc
	v_mov_b32_dpp v1, v1 row_ror:4 row_mask:0xf bank_mask:0xf bound_ctrl:1
	v_add_co_u32_e32 v1, vcc, v4, v1
	v_mov_b32_dpp v5, v2 row_ror:4 row_mask:0xf bank_mask:0xf bound_ctrl:1
	v_addc_co_u32_e32 v2, vcc, 0, v2, vcc
	v_add_co_u32_e32 v4, vcc, 0, v1
	v_addc_co_u32_e32 v2, vcc, v2, v5, vcc
	v_mov_b32_dpp v1, v1 row_ror:8 row_mask:0xf bank_mask:0xf bound_ctrl:1
	v_add_co_u32_e32 v1, vcc, v4, v1
	v_mov_b32_dpp v5, v2 row_ror:8 row_mask:0xf bank_mask:0xf bound_ctrl:1
	v_addc_co_u32_e32 v2, vcc, 0, v2, vcc
	v_add_co_u32_e32 v4, vcc, 0, v1
	v_addc_co_u32_e32 v2, vcc, v2, v5, vcc
	v_mov_b32_dpp v1, v1 row_bcast:15 row_mask:0xf bank_mask:0xf bound_ctrl:1
	v_add_co_u32_e32 v1, vcc, v4, v1
	v_mov_b32_dpp v5, v2 row_bcast:15 row_mask:0xf bank_mask:0xf bound_ctrl:1
	v_addc_co_u32_e32 v2, vcc, 0, v2, vcc
	v_add_co_u32_e32 v4, vcc, 0, v1
	v_addc_co_u32_e32 v2, vcc, v2, v5, vcc
	v_mov_b32_dpp v1, v1 row_bcast:31 row_mask:0xf bank_mask:0xf bound_ctrl:1
	v_add_co_u32_e32 v1, vcc, v4, v1
	v_mbcnt_hi_u32_b32 v3, -1, v33
	v_addc_co_u32_e32 v4, vcc, 0, v2, vcc
	v_cmp_eq_u32_e32 vcc, 0, v3
	s_nop 0
	v_add_u32_dpp v2, v2, v4 row_bcast:31 row_mask:0xf bank_mask:0xf bound_ctrl:1
	v_lshlrev_b32_e32 v4, 2, v3
	v_or_b32_e32 v5, 0xfc, v4
	ds_bpermute_b32 v1, v5, v1
	ds_bpermute_b32 v2, v5, v2
	s_and_saveexec_b64 s[0:1], vcc
	s_cbranch_execz .LBB307_3
; %bb.2:
	v_lshrrev_b32_e32 v5, 3, v0
	v_and_b32_e32 v5, 8, v5
	s_waitcnt lgkmcnt(0)
	ds_write_b64 v5, v[1:2]
.LBB307_3:
	s_or_b64 exec, exec, s[0:1]
	v_cmp_gt_u32_e32 vcc, 64, v0
	s_waitcnt lgkmcnt(0)
	s_barrier
	s_and_saveexec_b64 s[0:1], vcc
	s_cbranch_execz .LBB307_5
; %bb.4:
	v_and_b32_e32 v1, 1, v3
	v_lshlrev_b32_e32 v1, 3, v1
	ds_read_b64 v[1:2], v1
	v_or_b32_e32 v3, 4, v4
	s_waitcnt lgkmcnt(0)
	ds_bpermute_b32 v4, v3, v1
	ds_bpermute_b32 v3, v3, v2
	s_waitcnt lgkmcnt(1)
	v_add_co_u32_e32 v1, vcc, v1, v4
	v_addc_co_u32_e32 v2, vcc, 0, v2, vcc
	v_add_co_u32_e32 v1, vcc, 0, v1
	s_waitcnt lgkmcnt(0)
	v_addc_co_u32_e32 v2, vcc, v2, v3, vcc
.LBB307_5:
	s_or_b64 exec, exec, s[0:1]
	s_branch .LBB307_54
.LBB307_6:
                                        ; implicit-def: $vgpr1_vgpr2
	s_cbranch_execz .LBB307_54
; %bb.7:
	s_sub_i32 s4, s10, s4
	v_cmp_gt_u32_e32 vcc, s4, v0
                                        ; implicit-def: $vgpr1_vgpr2
	s_and_saveexec_b64 s[0:1], vcc
	s_cbranch_execz .LBB307_9
; %bb.8:
	global_load_dwordx2 v[1:2], v11, s[2:3]
	s_waitcnt vmcnt(0)
	v_cmp_neq_f64_e32 vcc, 0, v[1:2]
	v_mov_b32_e32 v2, s5
	v_cndmask_b32_e64 v1, 0, 1, vcc
.LBB307_9:
	s_or_b64 exec, exec, s[0:1]
	v_or_b32_e32 v7, 0x80, v0
	v_mov_b32_e32 v3, 0
	v_mov_b32_e32 v5, 0
	;; [unrolled: 1-line block ×4, first 2 shown]
	v_cmp_gt_u32_e32 vcc, s4, v7
	s_and_saveexec_b64 s[0:1], vcc
	s_cbranch_execz .LBB307_11
; %bb.10:
	global_load_dwordx2 v[5:6], v11, s[2:3] offset:1024
	s_waitcnt vmcnt(0)
	v_cmp_neq_f64_e32 vcc, 0, v[5:6]
	v_mov_b32_e32 v6, s5
	v_cndmask_b32_e64 v5, 0, 1, vcc
.LBB307_11:
	s_or_b64 exec, exec, s[0:1]
	v_or_b32_e32 v7, 0x100, v0
	v_cmp_gt_u32_e32 vcc, s4, v7
	s_and_saveexec_b64 s[0:1], vcc
	s_cbranch_execz .LBB307_13
; %bb.12:
	global_load_dwordx2 v[3:4], v11, s[2:3] offset:2048
	s_waitcnt vmcnt(0)
	v_cmp_neq_f64_e32 vcc, 0, v[3:4]
	v_mov_b32_e32 v4, s5
	v_cndmask_b32_e64 v3, 0, 1, vcc
.LBB307_13:
	s_or_b64 exec, exec, s[0:1]
	v_or_b32_e32 v12, 0x180, v0
	v_mov_b32_e32 v7, 0
	v_mov_b32_e32 v9, 0
	;; [unrolled: 1-line block ×4, first 2 shown]
	v_cmp_gt_u32_e32 vcc, s4, v12
	s_and_saveexec_b64 s[0:1], vcc
	s_cbranch_execz .LBB307_15
; %bb.14:
	global_load_dwordx2 v[9:10], v11, s[2:3] offset:3072
	s_waitcnt vmcnt(0)
	v_cmp_neq_f64_e32 vcc, 0, v[9:10]
	v_mov_b32_e32 v10, s5
	v_cndmask_b32_e64 v9, 0, 1, vcc
.LBB307_15:
	s_or_b64 exec, exec, s[0:1]
	v_or_b32_e32 v11, 0x200, v0
	v_cmp_gt_u32_e32 vcc, s4, v11
	s_and_saveexec_b64 s[0:1], vcc
	s_cbranch_execz .LBB307_17
; %bb.16:
	v_lshlrev_b32_e32 v7, 3, v11
	global_load_dwordx2 v[7:8], v7, s[2:3]
	s_waitcnt vmcnt(0)
	v_cmp_neq_f64_e32 vcc, 0, v[7:8]
	v_mov_b32_e32 v8, s5
	v_cndmask_b32_e64 v7, 0, 1, vcc
.LBB307_17:
	s_or_b64 exec, exec, s[0:1]
	v_or_b32_e32 v15, 0x280, v0
	v_mov_b32_e32 v11, 0
	v_mov_b32_e32 v13, 0
	v_mov_b32_e32 v12, 0
	v_mov_b32_e32 v14, 0
	v_cmp_gt_u32_e32 vcc, s4, v15
	s_and_saveexec_b64 s[0:1], vcc
	s_cbranch_execz .LBB307_19
; %bb.18:
	v_lshlrev_b32_e32 v13, 3, v15
	global_load_dwordx2 v[13:14], v13, s[2:3]
	s_waitcnt vmcnt(0)
	v_cmp_neq_f64_e32 vcc, 0, v[13:14]
	v_mov_b32_e32 v14, s5
	v_cndmask_b32_e64 v13, 0, 1, vcc
.LBB307_19:
	s_or_b64 exec, exec, s[0:1]
	v_or_b32_e32 v15, 0x300, v0
	v_cmp_gt_u32_e32 vcc, s4, v15
	s_and_saveexec_b64 s[0:1], vcc
	s_cbranch_execz .LBB307_21
; %bb.20:
	v_lshlrev_b32_e32 v11, 3, v15
	global_load_dwordx2 v[11:12], v11, s[2:3]
	s_waitcnt vmcnt(0)
	v_cmp_neq_f64_e32 vcc, 0, v[11:12]
	v_mov_b32_e32 v12, s5
	v_cndmask_b32_e64 v11, 0, 1, vcc
.LBB307_21:
	s_or_b64 exec, exec, s[0:1]
	v_or_b32_e32 v19, 0x380, v0
	v_mov_b32_e32 v15, 0
	v_mov_b32_e32 v17, 0
	v_mov_b32_e32 v16, 0
	v_mov_b32_e32 v18, 0
	v_cmp_gt_u32_e32 vcc, s4, v19
	s_and_saveexec_b64 s[0:1], vcc
	s_cbranch_execz .LBB307_23
; %bb.22:
	v_lshlrev_b32_e32 v17, 3, v19
	global_load_dwordx2 v[17:18], v17, s[2:3]
	s_waitcnt vmcnt(0)
	v_cmp_neq_f64_e32 vcc, 0, v[17:18]
	v_mov_b32_e32 v18, s5
	v_cndmask_b32_e64 v17, 0, 1, vcc
.LBB307_23:
	;; [unrolled: 30-line block ×5, first 2 shown]
	s_or_b64 exec, exec, s[0:1]
	v_or_b32_e32 v31, 0x700, v0
	v_cmp_gt_u32_e32 vcc, s4, v31
	s_and_saveexec_b64 s[0:1], vcc
	s_cbranch_execz .LBB307_37
; %bb.36:
	v_lshlrev_b32_e32 v27, 3, v31
	global_load_dwordx2 v[27:28], v27, s[2:3]
	s_waitcnt vmcnt(0)
	v_cmp_neq_f64_e32 vcc, 0, v[27:28]
	v_mov_b32_e32 v28, s5
	v_cndmask_b32_e64 v27, 0, 1, vcc
.LBB307_37:
	s_or_b64 exec, exec, s[0:1]
	v_or_b32_e32 v34, 0x780, v0
	v_mov_b32_e32 v31, 0
	v_mov_b32_e32 v32, 0
	v_cmp_gt_u32_e32 vcc, s4, v34
	s_and_saveexec_b64 s[0:1], vcc
	s_cbranch_execz .LBB307_39
; %bb.38:
	v_lshlrev_b32_e32 v31, 3, v34
	global_load_dwordx2 v[31:32], v31, s[2:3]
	s_mov_b32 s2, 0
	s_waitcnt vmcnt(0)
	v_cmp_neq_f64_e32 vcc, 0, v[31:32]
	v_mov_b32_e32 v32, s2
	v_cndmask_b32_e64 v31, 0, 1, vcc
.LBB307_39:
	s_or_b64 exec, exec, s[0:1]
	v_add_co_u32_e32 v1, vcc, v5, v1
	v_addc_co_u32_e32 v2, vcc, v6, v2, vcc
	v_add_co_u32_e32 v1, vcc, v1, v3
	v_addc_co_u32_e32 v2, vcc, v2, v4, vcc
	;; [unrolled: 2-line block ×14, first 2 shown]
	v_add_co_u32_e32 v1, vcc, v1, v31
	v_mbcnt_hi_u32_b32 v3, -1, v33
	v_addc_co_u32_e32 v2, vcc, v2, v32, vcc
	v_and_b32_e32 v4, 63, v3
	v_cmp_ne_u32_e32 vcc, 63, v4
	v_addc_co_u32_e32 v6, vcc, 0, v3, vcc
	v_lshlrev_b32_e32 v6, 2, v6
	ds_bpermute_b32 v8, v6, v1
	ds_bpermute_b32 v7, v6, v2
	s_min_u32 s2, s4, 0x80
	v_and_b32_e32 v5, 64, v0
	v_sub_u32_e64 v5, s2, v5 clamp
	v_add_u32_e32 v6, 1, v4
	v_cmp_lt_u32_e32 vcc, v6, v5
	v_mov_b32_e32 v6, v1
	s_and_saveexec_b64 s[0:1], vcc
	s_cbranch_execz .LBB307_41
; %bb.40:
	s_waitcnt lgkmcnt(1)
	v_add_co_u32_e32 v6, vcc, v1, v8
	v_addc_co_u32_e32 v2, vcc, 0, v2, vcc
	v_add_co_u32_e32 v1, vcc, 0, v6
	s_waitcnt lgkmcnt(0)
	v_addc_co_u32_e32 v2, vcc, v7, v2, vcc
.LBB307_41:
	s_or_b64 exec, exec, s[0:1]
	v_cmp_gt_u32_e32 vcc, 62, v4
	s_waitcnt lgkmcnt(0)
	v_cndmask_b32_e64 v7, 0, 2, vcc
	v_add_lshl_u32 v7, v7, v3, 2
	ds_bpermute_b32 v8, v7, v6
	ds_bpermute_b32 v7, v7, v2
	v_add_u32_e32 v9, 2, v4
	v_cmp_lt_u32_e32 vcc, v9, v5
	s_and_saveexec_b64 s[0:1], vcc
	s_cbranch_execz .LBB307_43
; %bb.42:
	s_waitcnt lgkmcnt(1)
	v_add_co_u32_e32 v6, vcc, v1, v8
	v_addc_co_u32_e32 v2, vcc, 0, v2, vcc
	v_add_co_u32_e32 v1, vcc, 0, v6
	s_waitcnt lgkmcnt(0)
	v_addc_co_u32_e32 v2, vcc, v7, v2, vcc
.LBB307_43:
	s_or_b64 exec, exec, s[0:1]
	v_cmp_gt_u32_e32 vcc, 60, v4
	s_waitcnt lgkmcnt(0)
	v_cndmask_b32_e64 v7, 0, 4, vcc
	v_add_lshl_u32 v7, v7, v3, 2
	ds_bpermute_b32 v8, v7, v6
	ds_bpermute_b32 v7, v7, v2
	v_add_u32_e32 v9, 4, v4
	v_cmp_lt_u32_e32 vcc, v9, v5
	s_and_saveexec_b64 s[0:1], vcc
	s_cbranch_execz .LBB307_45
; %bb.44:
	s_waitcnt lgkmcnt(1)
	v_add_co_u32_e32 v6, vcc, v1, v8
	v_addc_co_u32_e32 v2, vcc, 0, v2, vcc
	v_add_co_u32_e32 v1, vcc, 0, v6
	s_waitcnt lgkmcnt(0)
	v_addc_co_u32_e32 v2, vcc, v7, v2, vcc
.LBB307_45:
	s_or_b64 exec, exec, s[0:1]
	v_cmp_gt_u32_e32 vcc, 56, v4
	s_waitcnt lgkmcnt(0)
	v_cndmask_b32_e64 v7, 0, 8, vcc
	v_add_lshl_u32 v7, v7, v3, 2
	ds_bpermute_b32 v8, v7, v6
	ds_bpermute_b32 v7, v7, v2
	v_add_u32_e32 v9, 8, v4
	v_cmp_lt_u32_e32 vcc, v9, v5
	s_and_saveexec_b64 s[0:1], vcc
	s_cbranch_execz .LBB307_47
; %bb.46:
	s_waitcnt lgkmcnt(1)
	v_add_co_u32_e32 v6, vcc, v1, v8
	v_addc_co_u32_e32 v2, vcc, 0, v2, vcc
	v_add_co_u32_e32 v1, vcc, 0, v6
	s_waitcnt lgkmcnt(0)
	v_addc_co_u32_e32 v2, vcc, v7, v2, vcc
.LBB307_47:
	s_or_b64 exec, exec, s[0:1]
	v_cmp_gt_u32_e32 vcc, 48, v4
	s_waitcnt lgkmcnt(0)
	v_cndmask_b32_e64 v7, 0, 16, vcc
	v_add_lshl_u32 v7, v7, v3, 2
	ds_bpermute_b32 v8, v7, v6
	ds_bpermute_b32 v7, v7, v2
	v_add_u32_e32 v9, 16, v4
	v_cmp_lt_u32_e32 vcc, v9, v5
	s_and_saveexec_b64 s[0:1], vcc
	s_cbranch_execz .LBB307_49
; %bb.48:
	s_waitcnt lgkmcnt(1)
	v_add_co_u32_e32 v6, vcc, v1, v8
	v_addc_co_u32_e32 v2, vcc, 0, v2, vcc
	v_add_co_u32_e32 v1, vcc, 0, v6
	s_waitcnt lgkmcnt(0)
	v_addc_co_u32_e32 v2, vcc, v7, v2, vcc
.LBB307_49:
	s_or_b64 exec, exec, s[0:1]
	s_waitcnt lgkmcnt(0)
	v_lshlrev_b32_e32 v7, 2, v3
	v_or_b32_e32 v8, 0x80, v7
	ds_bpermute_b32 v6, v8, v6
	ds_bpermute_b32 v8, v8, v2
	v_add_u32_e32 v4, 32, v4
	s_waitcnt lgkmcnt(1)
	v_add_co_u32_e32 v6, vcc, v1, v6
	v_addc_co_u32_e32 v9, vcc, 0, v2, vcc
	v_add_co_u32_e32 v6, vcc, 0, v6
	s_waitcnt lgkmcnt(0)
	v_addc_co_u32_e32 v8, vcc, v9, v8, vcc
	v_cmp_lt_u32_e32 vcc, v4, v5
	v_cndmask_b32_e32 v2, v2, v8, vcc
	v_cndmask_b32_e32 v1, v1, v6, vcc
	v_cmp_eq_u32_e32 vcc, 0, v3
	s_and_saveexec_b64 s[0:1], vcc
; %bb.50:
	v_lshrrev_b32_e32 v4, 3, v0
	v_and_b32_e32 v4, 8, v4
	ds_write_b64 v4, v[1:2] offset:16
; %bb.51:
	s_or_b64 exec, exec, s[0:1]
	v_cmp_gt_u32_e32 vcc, 2, v0
	s_waitcnt lgkmcnt(0)
	s_barrier
	s_and_saveexec_b64 s[0:1], vcc
	s_cbranch_execz .LBB307_53
; %bb.52:
	v_lshlrev_b32_e32 v1, 3, v3
	ds_read_b64 v[1:2], v1 offset:16
	v_or_b32_e32 v4, 4, v7
	s_add_i32 s2, s2, 63
	v_and_b32_e32 v3, 1, v3
	s_lshr_b32 s2, s2, 6
	s_waitcnt lgkmcnt(0)
	ds_bpermute_b32 v5, v4, v2
	ds_bpermute_b32 v4, v4, v1
	v_add_u32_e32 v3, 1, v3
	v_cmp_gt_u32_e32 vcc, s2, v3
	s_waitcnt lgkmcnt(1)
	v_cndmask_b32_e32 v3, 0, v5, vcc
	s_waitcnt lgkmcnt(0)
	v_cndmask_b32_e32 v4, 0, v4, vcc
	v_add_co_u32_e32 v1, vcc, v4, v1
	v_addc_co_u32_e32 v2, vcc, v3, v2, vcc
.LBB307_53:
	s_or_b64 exec, exec, s[0:1]
.LBB307_54:
	v_cmp_eq_u32_e32 vcc, 0, v0
	s_and_saveexec_b64 s[0:1], vcc
	s_cbranch_execnz .LBB307_56
; %bb.55:
	s_endpgm
.LBB307_56:
	s_mul_i32 s0, s16, s15
	s_mul_hi_u32 s1, s16, s14
	s_add_i32 s0, s1, s0
	s_mul_i32 s1, s17, s14
	s_add_i32 s1, s0, s1
	s_mul_i32 s0, s16, s14
	s_lshl_b64 s[0:1], s[0:1], 3
	s_add_u32 s2, s12, s0
	s_addc_u32 s3, s13, s1
	s_cmp_eq_u64 s[10:11], 0
	v_mov_b32_e32 v0, s19
	s_cselect_b64 vcc, -1, 0
	s_lshl_b64 s[0:1], s[6:7], 3
	v_cndmask_b32_e32 v2, v2, v0, vcc
	v_mov_b32_e32 v0, s18
	s_add_u32 s0, s2, s0
	v_cndmask_b32_e32 v1, v1, v0, vcc
	s_addc_u32 s1, s3, s1
	v_mov_b32_e32 v0, 0
	global_store_dwordx2 v0, v[1:2], s[0:1]
	s_endpgm
	.section	.rodata,"a",@progbits
	.p2align	6, 0x0
	.amdhsa_kernel _ZN7rocprim17ROCPRIM_400000_NS6detail17trampoline_kernelINS0_14default_configENS1_22reduce_config_selectorIbEEZNS1_11reduce_implILb1ES3_N6hipcub16HIPCUB_304000_NS22TransformInputIteratorIb7NonZeroIdEPdlEEPllNS8_6detail34convert_binary_result_type_wrapperINS8_3SumESD_lEEEE10hipError_tPvRmT1_T2_T3_mT4_P12ihipStream_tbEUlT_E0_NS1_11comp_targetILNS1_3genE2ELNS1_11target_archE906ELNS1_3gpuE6ELNS1_3repE0EEENS1_30default_config_static_selectorELNS0_4arch9wavefront6targetE1EEEvSM_
		.amdhsa_group_segment_fixed_size 32
		.amdhsa_private_segment_fixed_size 0
		.amdhsa_kernarg_size 72
		.amdhsa_user_sgpr_count 6
		.amdhsa_user_sgpr_private_segment_buffer 1
		.amdhsa_user_sgpr_dispatch_ptr 0
		.amdhsa_user_sgpr_queue_ptr 0
		.amdhsa_user_sgpr_kernarg_segment_ptr 1
		.amdhsa_user_sgpr_dispatch_id 0
		.amdhsa_user_sgpr_flat_scratch_init 0
		.amdhsa_user_sgpr_private_segment_size 0
		.amdhsa_uses_dynamic_stack 0
		.amdhsa_system_sgpr_private_segment_wavefront_offset 0
		.amdhsa_system_sgpr_workgroup_id_x 1
		.amdhsa_system_sgpr_workgroup_id_y 0
		.amdhsa_system_sgpr_workgroup_id_z 0
		.amdhsa_system_sgpr_workgroup_info 0
		.amdhsa_system_vgpr_workitem_id 0
		.amdhsa_next_free_vgpr 36
		.amdhsa_next_free_sgpr 20
		.amdhsa_reserve_vcc 1
		.amdhsa_reserve_flat_scratch 0
		.amdhsa_float_round_mode_32 0
		.amdhsa_float_round_mode_16_64 0
		.amdhsa_float_denorm_mode_32 3
		.amdhsa_float_denorm_mode_16_64 3
		.amdhsa_dx10_clamp 1
		.amdhsa_ieee_mode 1
		.amdhsa_fp16_overflow 0
		.amdhsa_exception_fp_ieee_invalid_op 0
		.amdhsa_exception_fp_denorm_src 0
		.amdhsa_exception_fp_ieee_div_zero 0
		.amdhsa_exception_fp_ieee_overflow 0
		.amdhsa_exception_fp_ieee_underflow 0
		.amdhsa_exception_fp_ieee_inexact 0
		.amdhsa_exception_int_div_zero 0
	.end_amdhsa_kernel
	.section	.text._ZN7rocprim17ROCPRIM_400000_NS6detail17trampoline_kernelINS0_14default_configENS1_22reduce_config_selectorIbEEZNS1_11reduce_implILb1ES3_N6hipcub16HIPCUB_304000_NS22TransformInputIteratorIb7NonZeroIdEPdlEEPllNS8_6detail34convert_binary_result_type_wrapperINS8_3SumESD_lEEEE10hipError_tPvRmT1_T2_T3_mT4_P12ihipStream_tbEUlT_E0_NS1_11comp_targetILNS1_3genE2ELNS1_11target_archE906ELNS1_3gpuE6ELNS1_3repE0EEENS1_30default_config_static_selectorELNS0_4arch9wavefront6targetE1EEEvSM_,"axG",@progbits,_ZN7rocprim17ROCPRIM_400000_NS6detail17trampoline_kernelINS0_14default_configENS1_22reduce_config_selectorIbEEZNS1_11reduce_implILb1ES3_N6hipcub16HIPCUB_304000_NS22TransformInputIteratorIb7NonZeroIdEPdlEEPllNS8_6detail34convert_binary_result_type_wrapperINS8_3SumESD_lEEEE10hipError_tPvRmT1_T2_T3_mT4_P12ihipStream_tbEUlT_E0_NS1_11comp_targetILNS1_3genE2ELNS1_11target_archE906ELNS1_3gpuE6ELNS1_3repE0EEENS1_30default_config_static_selectorELNS0_4arch9wavefront6targetE1EEEvSM_,comdat
.Lfunc_end307:
	.size	_ZN7rocprim17ROCPRIM_400000_NS6detail17trampoline_kernelINS0_14default_configENS1_22reduce_config_selectorIbEEZNS1_11reduce_implILb1ES3_N6hipcub16HIPCUB_304000_NS22TransformInputIteratorIb7NonZeroIdEPdlEEPllNS8_6detail34convert_binary_result_type_wrapperINS8_3SumESD_lEEEE10hipError_tPvRmT1_T2_T3_mT4_P12ihipStream_tbEUlT_E0_NS1_11comp_targetILNS1_3genE2ELNS1_11target_archE906ELNS1_3gpuE6ELNS1_3repE0EEENS1_30default_config_static_selectorELNS0_4arch9wavefront6targetE1EEEvSM_, .Lfunc_end307-_ZN7rocprim17ROCPRIM_400000_NS6detail17trampoline_kernelINS0_14default_configENS1_22reduce_config_selectorIbEEZNS1_11reduce_implILb1ES3_N6hipcub16HIPCUB_304000_NS22TransformInputIteratorIb7NonZeroIdEPdlEEPllNS8_6detail34convert_binary_result_type_wrapperINS8_3SumESD_lEEEE10hipError_tPvRmT1_T2_T3_mT4_P12ihipStream_tbEUlT_E0_NS1_11comp_targetILNS1_3genE2ELNS1_11target_archE906ELNS1_3gpuE6ELNS1_3repE0EEENS1_30default_config_static_selectorELNS0_4arch9wavefront6targetE1EEEvSM_
                                        ; -- End function
	.set _ZN7rocprim17ROCPRIM_400000_NS6detail17trampoline_kernelINS0_14default_configENS1_22reduce_config_selectorIbEEZNS1_11reduce_implILb1ES3_N6hipcub16HIPCUB_304000_NS22TransformInputIteratorIb7NonZeroIdEPdlEEPllNS8_6detail34convert_binary_result_type_wrapperINS8_3SumESD_lEEEE10hipError_tPvRmT1_T2_T3_mT4_P12ihipStream_tbEUlT_E0_NS1_11comp_targetILNS1_3genE2ELNS1_11target_archE906ELNS1_3gpuE6ELNS1_3repE0EEENS1_30default_config_static_selectorELNS0_4arch9wavefront6targetE1EEEvSM_.num_vgpr, 36
	.set _ZN7rocprim17ROCPRIM_400000_NS6detail17trampoline_kernelINS0_14default_configENS1_22reduce_config_selectorIbEEZNS1_11reduce_implILb1ES3_N6hipcub16HIPCUB_304000_NS22TransformInputIteratorIb7NonZeroIdEPdlEEPllNS8_6detail34convert_binary_result_type_wrapperINS8_3SumESD_lEEEE10hipError_tPvRmT1_T2_T3_mT4_P12ihipStream_tbEUlT_E0_NS1_11comp_targetILNS1_3genE2ELNS1_11target_archE906ELNS1_3gpuE6ELNS1_3repE0EEENS1_30default_config_static_selectorELNS0_4arch9wavefront6targetE1EEEvSM_.num_agpr, 0
	.set _ZN7rocprim17ROCPRIM_400000_NS6detail17trampoline_kernelINS0_14default_configENS1_22reduce_config_selectorIbEEZNS1_11reduce_implILb1ES3_N6hipcub16HIPCUB_304000_NS22TransformInputIteratorIb7NonZeroIdEPdlEEPllNS8_6detail34convert_binary_result_type_wrapperINS8_3SumESD_lEEEE10hipError_tPvRmT1_T2_T3_mT4_P12ihipStream_tbEUlT_E0_NS1_11comp_targetILNS1_3genE2ELNS1_11target_archE906ELNS1_3gpuE6ELNS1_3repE0EEENS1_30default_config_static_selectorELNS0_4arch9wavefront6targetE1EEEvSM_.numbered_sgpr, 20
	.set _ZN7rocprim17ROCPRIM_400000_NS6detail17trampoline_kernelINS0_14default_configENS1_22reduce_config_selectorIbEEZNS1_11reduce_implILb1ES3_N6hipcub16HIPCUB_304000_NS22TransformInputIteratorIb7NonZeroIdEPdlEEPllNS8_6detail34convert_binary_result_type_wrapperINS8_3SumESD_lEEEE10hipError_tPvRmT1_T2_T3_mT4_P12ihipStream_tbEUlT_E0_NS1_11comp_targetILNS1_3genE2ELNS1_11target_archE906ELNS1_3gpuE6ELNS1_3repE0EEENS1_30default_config_static_selectorELNS0_4arch9wavefront6targetE1EEEvSM_.num_named_barrier, 0
	.set _ZN7rocprim17ROCPRIM_400000_NS6detail17trampoline_kernelINS0_14default_configENS1_22reduce_config_selectorIbEEZNS1_11reduce_implILb1ES3_N6hipcub16HIPCUB_304000_NS22TransformInputIteratorIb7NonZeroIdEPdlEEPllNS8_6detail34convert_binary_result_type_wrapperINS8_3SumESD_lEEEE10hipError_tPvRmT1_T2_T3_mT4_P12ihipStream_tbEUlT_E0_NS1_11comp_targetILNS1_3genE2ELNS1_11target_archE906ELNS1_3gpuE6ELNS1_3repE0EEENS1_30default_config_static_selectorELNS0_4arch9wavefront6targetE1EEEvSM_.private_seg_size, 0
	.set _ZN7rocprim17ROCPRIM_400000_NS6detail17trampoline_kernelINS0_14default_configENS1_22reduce_config_selectorIbEEZNS1_11reduce_implILb1ES3_N6hipcub16HIPCUB_304000_NS22TransformInputIteratorIb7NonZeroIdEPdlEEPllNS8_6detail34convert_binary_result_type_wrapperINS8_3SumESD_lEEEE10hipError_tPvRmT1_T2_T3_mT4_P12ihipStream_tbEUlT_E0_NS1_11comp_targetILNS1_3genE2ELNS1_11target_archE906ELNS1_3gpuE6ELNS1_3repE0EEENS1_30default_config_static_selectorELNS0_4arch9wavefront6targetE1EEEvSM_.uses_vcc, 1
	.set _ZN7rocprim17ROCPRIM_400000_NS6detail17trampoline_kernelINS0_14default_configENS1_22reduce_config_selectorIbEEZNS1_11reduce_implILb1ES3_N6hipcub16HIPCUB_304000_NS22TransformInputIteratorIb7NonZeroIdEPdlEEPllNS8_6detail34convert_binary_result_type_wrapperINS8_3SumESD_lEEEE10hipError_tPvRmT1_T2_T3_mT4_P12ihipStream_tbEUlT_E0_NS1_11comp_targetILNS1_3genE2ELNS1_11target_archE906ELNS1_3gpuE6ELNS1_3repE0EEENS1_30default_config_static_selectorELNS0_4arch9wavefront6targetE1EEEvSM_.uses_flat_scratch, 0
	.set _ZN7rocprim17ROCPRIM_400000_NS6detail17trampoline_kernelINS0_14default_configENS1_22reduce_config_selectorIbEEZNS1_11reduce_implILb1ES3_N6hipcub16HIPCUB_304000_NS22TransformInputIteratorIb7NonZeroIdEPdlEEPllNS8_6detail34convert_binary_result_type_wrapperINS8_3SumESD_lEEEE10hipError_tPvRmT1_T2_T3_mT4_P12ihipStream_tbEUlT_E0_NS1_11comp_targetILNS1_3genE2ELNS1_11target_archE906ELNS1_3gpuE6ELNS1_3repE0EEENS1_30default_config_static_selectorELNS0_4arch9wavefront6targetE1EEEvSM_.has_dyn_sized_stack, 0
	.set _ZN7rocprim17ROCPRIM_400000_NS6detail17trampoline_kernelINS0_14default_configENS1_22reduce_config_selectorIbEEZNS1_11reduce_implILb1ES3_N6hipcub16HIPCUB_304000_NS22TransformInputIteratorIb7NonZeroIdEPdlEEPllNS8_6detail34convert_binary_result_type_wrapperINS8_3SumESD_lEEEE10hipError_tPvRmT1_T2_T3_mT4_P12ihipStream_tbEUlT_E0_NS1_11comp_targetILNS1_3genE2ELNS1_11target_archE906ELNS1_3gpuE6ELNS1_3repE0EEENS1_30default_config_static_selectorELNS0_4arch9wavefront6targetE1EEEvSM_.has_recursion, 0
	.set _ZN7rocprim17ROCPRIM_400000_NS6detail17trampoline_kernelINS0_14default_configENS1_22reduce_config_selectorIbEEZNS1_11reduce_implILb1ES3_N6hipcub16HIPCUB_304000_NS22TransformInputIteratorIb7NonZeroIdEPdlEEPllNS8_6detail34convert_binary_result_type_wrapperINS8_3SumESD_lEEEE10hipError_tPvRmT1_T2_T3_mT4_P12ihipStream_tbEUlT_E0_NS1_11comp_targetILNS1_3genE2ELNS1_11target_archE906ELNS1_3gpuE6ELNS1_3repE0EEENS1_30default_config_static_selectorELNS0_4arch9wavefront6targetE1EEEvSM_.has_indirect_call, 0
	.section	.AMDGPU.csdata,"",@progbits
; Kernel info:
; codeLenInByte = 2860
; TotalNumSgprs: 24
; NumVgprs: 36
; ScratchSize: 0
; MemoryBound: 0
; FloatMode: 240
; IeeeMode: 1
; LDSByteSize: 32 bytes/workgroup (compile time only)
; SGPRBlocks: 2
; VGPRBlocks: 8
; NumSGPRsForWavesPerEU: 24
; NumVGPRsForWavesPerEU: 36
; Occupancy: 7
; WaveLimiterHint : 1
; COMPUTE_PGM_RSRC2:SCRATCH_EN: 0
; COMPUTE_PGM_RSRC2:USER_SGPR: 6
; COMPUTE_PGM_RSRC2:TRAP_HANDLER: 0
; COMPUTE_PGM_RSRC2:TGID_X_EN: 1
; COMPUTE_PGM_RSRC2:TGID_Y_EN: 0
; COMPUTE_PGM_RSRC2:TGID_Z_EN: 0
; COMPUTE_PGM_RSRC2:TIDIG_COMP_CNT: 0
	.section	.text._ZN7rocprim17ROCPRIM_400000_NS6detail17trampoline_kernelINS0_14default_configENS1_22reduce_config_selectorIbEEZNS1_11reduce_implILb1ES3_N6hipcub16HIPCUB_304000_NS22TransformInputIteratorIb7NonZeroIdEPdlEEPllNS8_6detail34convert_binary_result_type_wrapperINS8_3SumESD_lEEEE10hipError_tPvRmT1_T2_T3_mT4_P12ihipStream_tbEUlT_E0_NS1_11comp_targetILNS1_3genE10ELNS1_11target_archE1201ELNS1_3gpuE5ELNS1_3repE0EEENS1_30default_config_static_selectorELNS0_4arch9wavefront6targetE1EEEvSM_,"axG",@progbits,_ZN7rocprim17ROCPRIM_400000_NS6detail17trampoline_kernelINS0_14default_configENS1_22reduce_config_selectorIbEEZNS1_11reduce_implILb1ES3_N6hipcub16HIPCUB_304000_NS22TransformInputIteratorIb7NonZeroIdEPdlEEPllNS8_6detail34convert_binary_result_type_wrapperINS8_3SumESD_lEEEE10hipError_tPvRmT1_T2_T3_mT4_P12ihipStream_tbEUlT_E0_NS1_11comp_targetILNS1_3genE10ELNS1_11target_archE1201ELNS1_3gpuE5ELNS1_3repE0EEENS1_30default_config_static_selectorELNS0_4arch9wavefront6targetE1EEEvSM_,comdat
	.protected	_ZN7rocprim17ROCPRIM_400000_NS6detail17trampoline_kernelINS0_14default_configENS1_22reduce_config_selectorIbEEZNS1_11reduce_implILb1ES3_N6hipcub16HIPCUB_304000_NS22TransformInputIteratorIb7NonZeroIdEPdlEEPllNS8_6detail34convert_binary_result_type_wrapperINS8_3SumESD_lEEEE10hipError_tPvRmT1_T2_T3_mT4_P12ihipStream_tbEUlT_E0_NS1_11comp_targetILNS1_3genE10ELNS1_11target_archE1201ELNS1_3gpuE5ELNS1_3repE0EEENS1_30default_config_static_selectorELNS0_4arch9wavefront6targetE1EEEvSM_ ; -- Begin function _ZN7rocprim17ROCPRIM_400000_NS6detail17trampoline_kernelINS0_14default_configENS1_22reduce_config_selectorIbEEZNS1_11reduce_implILb1ES3_N6hipcub16HIPCUB_304000_NS22TransformInputIteratorIb7NonZeroIdEPdlEEPllNS8_6detail34convert_binary_result_type_wrapperINS8_3SumESD_lEEEE10hipError_tPvRmT1_T2_T3_mT4_P12ihipStream_tbEUlT_E0_NS1_11comp_targetILNS1_3genE10ELNS1_11target_archE1201ELNS1_3gpuE5ELNS1_3repE0EEENS1_30default_config_static_selectorELNS0_4arch9wavefront6targetE1EEEvSM_
	.globl	_ZN7rocprim17ROCPRIM_400000_NS6detail17trampoline_kernelINS0_14default_configENS1_22reduce_config_selectorIbEEZNS1_11reduce_implILb1ES3_N6hipcub16HIPCUB_304000_NS22TransformInputIteratorIb7NonZeroIdEPdlEEPllNS8_6detail34convert_binary_result_type_wrapperINS8_3SumESD_lEEEE10hipError_tPvRmT1_T2_T3_mT4_P12ihipStream_tbEUlT_E0_NS1_11comp_targetILNS1_3genE10ELNS1_11target_archE1201ELNS1_3gpuE5ELNS1_3repE0EEENS1_30default_config_static_selectorELNS0_4arch9wavefront6targetE1EEEvSM_
	.p2align	8
	.type	_ZN7rocprim17ROCPRIM_400000_NS6detail17trampoline_kernelINS0_14default_configENS1_22reduce_config_selectorIbEEZNS1_11reduce_implILb1ES3_N6hipcub16HIPCUB_304000_NS22TransformInputIteratorIb7NonZeroIdEPdlEEPllNS8_6detail34convert_binary_result_type_wrapperINS8_3SumESD_lEEEE10hipError_tPvRmT1_T2_T3_mT4_P12ihipStream_tbEUlT_E0_NS1_11comp_targetILNS1_3genE10ELNS1_11target_archE1201ELNS1_3gpuE5ELNS1_3repE0EEENS1_30default_config_static_selectorELNS0_4arch9wavefront6targetE1EEEvSM_,@function
_ZN7rocprim17ROCPRIM_400000_NS6detail17trampoline_kernelINS0_14default_configENS1_22reduce_config_selectorIbEEZNS1_11reduce_implILb1ES3_N6hipcub16HIPCUB_304000_NS22TransformInputIteratorIb7NonZeroIdEPdlEEPllNS8_6detail34convert_binary_result_type_wrapperINS8_3SumESD_lEEEE10hipError_tPvRmT1_T2_T3_mT4_P12ihipStream_tbEUlT_E0_NS1_11comp_targetILNS1_3genE10ELNS1_11target_archE1201ELNS1_3gpuE5ELNS1_3repE0EEENS1_30default_config_static_selectorELNS0_4arch9wavefront6targetE1EEEvSM_: ; @_ZN7rocprim17ROCPRIM_400000_NS6detail17trampoline_kernelINS0_14default_configENS1_22reduce_config_selectorIbEEZNS1_11reduce_implILb1ES3_N6hipcub16HIPCUB_304000_NS22TransformInputIteratorIb7NonZeroIdEPdlEEPllNS8_6detail34convert_binary_result_type_wrapperINS8_3SumESD_lEEEE10hipError_tPvRmT1_T2_T3_mT4_P12ihipStream_tbEUlT_E0_NS1_11comp_targetILNS1_3genE10ELNS1_11target_archE1201ELNS1_3gpuE5ELNS1_3repE0EEENS1_30default_config_static_selectorELNS0_4arch9wavefront6targetE1EEEvSM_
; %bb.0:
	.section	.rodata,"a",@progbits
	.p2align	6, 0x0
	.amdhsa_kernel _ZN7rocprim17ROCPRIM_400000_NS6detail17trampoline_kernelINS0_14default_configENS1_22reduce_config_selectorIbEEZNS1_11reduce_implILb1ES3_N6hipcub16HIPCUB_304000_NS22TransformInputIteratorIb7NonZeroIdEPdlEEPllNS8_6detail34convert_binary_result_type_wrapperINS8_3SumESD_lEEEE10hipError_tPvRmT1_T2_T3_mT4_P12ihipStream_tbEUlT_E0_NS1_11comp_targetILNS1_3genE10ELNS1_11target_archE1201ELNS1_3gpuE5ELNS1_3repE0EEENS1_30default_config_static_selectorELNS0_4arch9wavefront6targetE1EEEvSM_
		.amdhsa_group_segment_fixed_size 0
		.amdhsa_private_segment_fixed_size 0
		.amdhsa_kernarg_size 72
		.amdhsa_user_sgpr_count 6
		.amdhsa_user_sgpr_private_segment_buffer 1
		.amdhsa_user_sgpr_dispatch_ptr 0
		.amdhsa_user_sgpr_queue_ptr 0
		.amdhsa_user_sgpr_kernarg_segment_ptr 1
		.amdhsa_user_sgpr_dispatch_id 0
		.amdhsa_user_sgpr_flat_scratch_init 0
		.amdhsa_user_sgpr_private_segment_size 0
		.amdhsa_uses_dynamic_stack 0
		.amdhsa_system_sgpr_private_segment_wavefront_offset 0
		.amdhsa_system_sgpr_workgroup_id_x 1
		.amdhsa_system_sgpr_workgroup_id_y 0
		.amdhsa_system_sgpr_workgroup_id_z 0
		.amdhsa_system_sgpr_workgroup_info 0
		.amdhsa_system_vgpr_workitem_id 0
		.amdhsa_next_free_vgpr 1
		.amdhsa_next_free_sgpr 0
		.amdhsa_reserve_vcc 0
		.amdhsa_reserve_flat_scratch 0
		.amdhsa_float_round_mode_32 0
		.amdhsa_float_round_mode_16_64 0
		.amdhsa_float_denorm_mode_32 3
		.amdhsa_float_denorm_mode_16_64 3
		.amdhsa_dx10_clamp 1
		.amdhsa_ieee_mode 1
		.amdhsa_fp16_overflow 0
		.amdhsa_exception_fp_ieee_invalid_op 0
		.amdhsa_exception_fp_denorm_src 0
		.amdhsa_exception_fp_ieee_div_zero 0
		.amdhsa_exception_fp_ieee_overflow 0
		.amdhsa_exception_fp_ieee_underflow 0
		.amdhsa_exception_fp_ieee_inexact 0
		.amdhsa_exception_int_div_zero 0
	.end_amdhsa_kernel
	.section	.text._ZN7rocprim17ROCPRIM_400000_NS6detail17trampoline_kernelINS0_14default_configENS1_22reduce_config_selectorIbEEZNS1_11reduce_implILb1ES3_N6hipcub16HIPCUB_304000_NS22TransformInputIteratorIb7NonZeroIdEPdlEEPllNS8_6detail34convert_binary_result_type_wrapperINS8_3SumESD_lEEEE10hipError_tPvRmT1_T2_T3_mT4_P12ihipStream_tbEUlT_E0_NS1_11comp_targetILNS1_3genE10ELNS1_11target_archE1201ELNS1_3gpuE5ELNS1_3repE0EEENS1_30default_config_static_selectorELNS0_4arch9wavefront6targetE1EEEvSM_,"axG",@progbits,_ZN7rocprim17ROCPRIM_400000_NS6detail17trampoline_kernelINS0_14default_configENS1_22reduce_config_selectorIbEEZNS1_11reduce_implILb1ES3_N6hipcub16HIPCUB_304000_NS22TransformInputIteratorIb7NonZeroIdEPdlEEPllNS8_6detail34convert_binary_result_type_wrapperINS8_3SumESD_lEEEE10hipError_tPvRmT1_T2_T3_mT4_P12ihipStream_tbEUlT_E0_NS1_11comp_targetILNS1_3genE10ELNS1_11target_archE1201ELNS1_3gpuE5ELNS1_3repE0EEENS1_30default_config_static_selectorELNS0_4arch9wavefront6targetE1EEEvSM_,comdat
.Lfunc_end308:
	.size	_ZN7rocprim17ROCPRIM_400000_NS6detail17trampoline_kernelINS0_14default_configENS1_22reduce_config_selectorIbEEZNS1_11reduce_implILb1ES3_N6hipcub16HIPCUB_304000_NS22TransformInputIteratorIb7NonZeroIdEPdlEEPllNS8_6detail34convert_binary_result_type_wrapperINS8_3SumESD_lEEEE10hipError_tPvRmT1_T2_T3_mT4_P12ihipStream_tbEUlT_E0_NS1_11comp_targetILNS1_3genE10ELNS1_11target_archE1201ELNS1_3gpuE5ELNS1_3repE0EEENS1_30default_config_static_selectorELNS0_4arch9wavefront6targetE1EEEvSM_, .Lfunc_end308-_ZN7rocprim17ROCPRIM_400000_NS6detail17trampoline_kernelINS0_14default_configENS1_22reduce_config_selectorIbEEZNS1_11reduce_implILb1ES3_N6hipcub16HIPCUB_304000_NS22TransformInputIteratorIb7NonZeroIdEPdlEEPllNS8_6detail34convert_binary_result_type_wrapperINS8_3SumESD_lEEEE10hipError_tPvRmT1_T2_T3_mT4_P12ihipStream_tbEUlT_E0_NS1_11comp_targetILNS1_3genE10ELNS1_11target_archE1201ELNS1_3gpuE5ELNS1_3repE0EEENS1_30default_config_static_selectorELNS0_4arch9wavefront6targetE1EEEvSM_
                                        ; -- End function
	.set _ZN7rocprim17ROCPRIM_400000_NS6detail17trampoline_kernelINS0_14default_configENS1_22reduce_config_selectorIbEEZNS1_11reduce_implILb1ES3_N6hipcub16HIPCUB_304000_NS22TransformInputIteratorIb7NonZeroIdEPdlEEPllNS8_6detail34convert_binary_result_type_wrapperINS8_3SumESD_lEEEE10hipError_tPvRmT1_T2_T3_mT4_P12ihipStream_tbEUlT_E0_NS1_11comp_targetILNS1_3genE10ELNS1_11target_archE1201ELNS1_3gpuE5ELNS1_3repE0EEENS1_30default_config_static_selectorELNS0_4arch9wavefront6targetE1EEEvSM_.num_vgpr, 0
	.set _ZN7rocprim17ROCPRIM_400000_NS6detail17trampoline_kernelINS0_14default_configENS1_22reduce_config_selectorIbEEZNS1_11reduce_implILb1ES3_N6hipcub16HIPCUB_304000_NS22TransformInputIteratorIb7NonZeroIdEPdlEEPllNS8_6detail34convert_binary_result_type_wrapperINS8_3SumESD_lEEEE10hipError_tPvRmT1_T2_T3_mT4_P12ihipStream_tbEUlT_E0_NS1_11comp_targetILNS1_3genE10ELNS1_11target_archE1201ELNS1_3gpuE5ELNS1_3repE0EEENS1_30default_config_static_selectorELNS0_4arch9wavefront6targetE1EEEvSM_.num_agpr, 0
	.set _ZN7rocprim17ROCPRIM_400000_NS6detail17trampoline_kernelINS0_14default_configENS1_22reduce_config_selectorIbEEZNS1_11reduce_implILb1ES3_N6hipcub16HIPCUB_304000_NS22TransformInputIteratorIb7NonZeroIdEPdlEEPllNS8_6detail34convert_binary_result_type_wrapperINS8_3SumESD_lEEEE10hipError_tPvRmT1_T2_T3_mT4_P12ihipStream_tbEUlT_E0_NS1_11comp_targetILNS1_3genE10ELNS1_11target_archE1201ELNS1_3gpuE5ELNS1_3repE0EEENS1_30default_config_static_selectorELNS0_4arch9wavefront6targetE1EEEvSM_.numbered_sgpr, 0
	.set _ZN7rocprim17ROCPRIM_400000_NS6detail17trampoline_kernelINS0_14default_configENS1_22reduce_config_selectorIbEEZNS1_11reduce_implILb1ES3_N6hipcub16HIPCUB_304000_NS22TransformInputIteratorIb7NonZeroIdEPdlEEPllNS8_6detail34convert_binary_result_type_wrapperINS8_3SumESD_lEEEE10hipError_tPvRmT1_T2_T3_mT4_P12ihipStream_tbEUlT_E0_NS1_11comp_targetILNS1_3genE10ELNS1_11target_archE1201ELNS1_3gpuE5ELNS1_3repE0EEENS1_30default_config_static_selectorELNS0_4arch9wavefront6targetE1EEEvSM_.num_named_barrier, 0
	.set _ZN7rocprim17ROCPRIM_400000_NS6detail17trampoline_kernelINS0_14default_configENS1_22reduce_config_selectorIbEEZNS1_11reduce_implILb1ES3_N6hipcub16HIPCUB_304000_NS22TransformInputIteratorIb7NonZeroIdEPdlEEPllNS8_6detail34convert_binary_result_type_wrapperINS8_3SumESD_lEEEE10hipError_tPvRmT1_T2_T3_mT4_P12ihipStream_tbEUlT_E0_NS1_11comp_targetILNS1_3genE10ELNS1_11target_archE1201ELNS1_3gpuE5ELNS1_3repE0EEENS1_30default_config_static_selectorELNS0_4arch9wavefront6targetE1EEEvSM_.private_seg_size, 0
	.set _ZN7rocprim17ROCPRIM_400000_NS6detail17trampoline_kernelINS0_14default_configENS1_22reduce_config_selectorIbEEZNS1_11reduce_implILb1ES3_N6hipcub16HIPCUB_304000_NS22TransformInputIteratorIb7NonZeroIdEPdlEEPllNS8_6detail34convert_binary_result_type_wrapperINS8_3SumESD_lEEEE10hipError_tPvRmT1_T2_T3_mT4_P12ihipStream_tbEUlT_E0_NS1_11comp_targetILNS1_3genE10ELNS1_11target_archE1201ELNS1_3gpuE5ELNS1_3repE0EEENS1_30default_config_static_selectorELNS0_4arch9wavefront6targetE1EEEvSM_.uses_vcc, 0
	.set _ZN7rocprim17ROCPRIM_400000_NS6detail17trampoline_kernelINS0_14default_configENS1_22reduce_config_selectorIbEEZNS1_11reduce_implILb1ES3_N6hipcub16HIPCUB_304000_NS22TransformInputIteratorIb7NonZeroIdEPdlEEPllNS8_6detail34convert_binary_result_type_wrapperINS8_3SumESD_lEEEE10hipError_tPvRmT1_T2_T3_mT4_P12ihipStream_tbEUlT_E0_NS1_11comp_targetILNS1_3genE10ELNS1_11target_archE1201ELNS1_3gpuE5ELNS1_3repE0EEENS1_30default_config_static_selectorELNS0_4arch9wavefront6targetE1EEEvSM_.uses_flat_scratch, 0
	.set _ZN7rocprim17ROCPRIM_400000_NS6detail17trampoline_kernelINS0_14default_configENS1_22reduce_config_selectorIbEEZNS1_11reduce_implILb1ES3_N6hipcub16HIPCUB_304000_NS22TransformInputIteratorIb7NonZeroIdEPdlEEPllNS8_6detail34convert_binary_result_type_wrapperINS8_3SumESD_lEEEE10hipError_tPvRmT1_T2_T3_mT4_P12ihipStream_tbEUlT_E0_NS1_11comp_targetILNS1_3genE10ELNS1_11target_archE1201ELNS1_3gpuE5ELNS1_3repE0EEENS1_30default_config_static_selectorELNS0_4arch9wavefront6targetE1EEEvSM_.has_dyn_sized_stack, 0
	.set _ZN7rocprim17ROCPRIM_400000_NS6detail17trampoline_kernelINS0_14default_configENS1_22reduce_config_selectorIbEEZNS1_11reduce_implILb1ES3_N6hipcub16HIPCUB_304000_NS22TransformInputIteratorIb7NonZeroIdEPdlEEPllNS8_6detail34convert_binary_result_type_wrapperINS8_3SumESD_lEEEE10hipError_tPvRmT1_T2_T3_mT4_P12ihipStream_tbEUlT_E0_NS1_11comp_targetILNS1_3genE10ELNS1_11target_archE1201ELNS1_3gpuE5ELNS1_3repE0EEENS1_30default_config_static_selectorELNS0_4arch9wavefront6targetE1EEEvSM_.has_recursion, 0
	.set _ZN7rocprim17ROCPRIM_400000_NS6detail17trampoline_kernelINS0_14default_configENS1_22reduce_config_selectorIbEEZNS1_11reduce_implILb1ES3_N6hipcub16HIPCUB_304000_NS22TransformInputIteratorIb7NonZeroIdEPdlEEPllNS8_6detail34convert_binary_result_type_wrapperINS8_3SumESD_lEEEE10hipError_tPvRmT1_T2_T3_mT4_P12ihipStream_tbEUlT_E0_NS1_11comp_targetILNS1_3genE10ELNS1_11target_archE1201ELNS1_3gpuE5ELNS1_3repE0EEENS1_30default_config_static_selectorELNS0_4arch9wavefront6targetE1EEEvSM_.has_indirect_call, 0
	.section	.AMDGPU.csdata,"",@progbits
; Kernel info:
; codeLenInByte = 0
; TotalNumSgprs: 4
; NumVgprs: 0
; ScratchSize: 0
; MemoryBound: 0
; FloatMode: 240
; IeeeMode: 1
; LDSByteSize: 0 bytes/workgroup (compile time only)
; SGPRBlocks: 0
; VGPRBlocks: 0
; NumSGPRsForWavesPerEU: 4
; NumVGPRsForWavesPerEU: 1
; Occupancy: 10
; WaveLimiterHint : 0
; COMPUTE_PGM_RSRC2:SCRATCH_EN: 0
; COMPUTE_PGM_RSRC2:USER_SGPR: 6
; COMPUTE_PGM_RSRC2:TRAP_HANDLER: 0
; COMPUTE_PGM_RSRC2:TGID_X_EN: 1
; COMPUTE_PGM_RSRC2:TGID_Y_EN: 0
; COMPUTE_PGM_RSRC2:TGID_Z_EN: 0
; COMPUTE_PGM_RSRC2:TIDIG_COMP_CNT: 0
	.section	.text._ZN7rocprim17ROCPRIM_400000_NS6detail17trampoline_kernelINS0_14default_configENS1_22reduce_config_selectorIbEEZNS1_11reduce_implILb1ES3_N6hipcub16HIPCUB_304000_NS22TransformInputIteratorIb7NonZeroIdEPdlEEPllNS8_6detail34convert_binary_result_type_wrapperINS8_3SumESD_lEEEE10hipError_tPvRmT1_T2_T3_mT4_P12ihipStream_tbEUlT_E0_NS1_11comp_targetILNS1_3genE10ELNS1_11target_archE1200ELNS1_3gpuE4ELNS1_3repE0EEENS1_30default_config_static_selectorELNS0_4arch9wavefront6targetE1EEEvSM_,"axG",@progbits,_ZN7rocprim17ROCPRIM_400000_NS6detail17trampoline_kernelINS0_14default_configENS1_22reduce_config_selectorIbEEZNS1_11reduce_implILb1ES3_N6hipcub16HIPCUB_304000_NS22TransformInputIteratorIb7NonZeroIdEPdlEEPllNS8_6detail34convert_binary_result_type_wrapperINS8_3SumESD_lEEEE10hipError_tPvRmT1_T2_T3_mT4_P12ihipStream_tbEUlT_E0_NS1_11comp_targetILNS1_3genE10ELNS1_11target_archE1200ELNS1_3gpuE4ELNS1_3repE0EEENS1_30default_config_static_selectorELNS0_4arch9wavefront6targetE1EEEvSM_,comdat
	.protected	_ZN7rocprim17ROCPRIM_400000_NS6detail17trampoline_kernelINS0_14default_configENS1_22reduce_config_selectorIbEEZNS1_11reduce_implILb1ES3_N6hipcub16HIPCUB_304000_NS22TransformInputIteratorIb7NonZeroIdEPdlEEPllNS8_6detail34convert_binary_result_type_wrapperINS8_3SumESD_lEEEE10hipError_tPvRmT1_T2_T3_mT4_P12ihipStream_tbEUlT_E0_NS1_11comp_targetILNS1_3genE10ELNS1_11target_archE1200ELNS1_3gpuE4ELNS1_3repE0EEENS1_30default_config_static_selectorELNS0_4arch9wavefront6targetE1EEEvSM_ ; -- Begin function _ZN7rocprim17ROCPRIM_400000_NS6detail17trampoline_kernelINS0_14default_configENS1_22reduce_config_selectorIbEEZNS1_11reduce_implILb1ES3_N6hipcub16HIPCUB_304000_NS22TransformInputIteratorIb7NonZeroIdEPdlEEPllNS8_6detail34convert_binary_result_type_wrapperINS8_3SumESD_lEEEE10hipError_tPvRmT1_T2_T3_mT4_P12ihipStream_tbEUlT_E0_NS1_11comp_targetILNS1_3genE10ELNS1_11target_archE1200ELNS1_3gpuE4ELNS1_3repE0EEENS1_30default_config_static_selectorELNS0_4arch9wavefront6targetE1EEEvSM_
	.globl	_ZN7rocprim17ROCPRIM_400000_NS6detail17trampoline_kernelINS0_14default_configENS1_22reduce_config_selectorIbEEZNS1_11reduce_implILb1ES3_N6hipcub16HIPCUB_304000_NS22TransformInputIteratorIb7NonZeroIdEPdlEEPllNS8_6detail34convert_binary_result_type_wrapperINS8_3SumESD_lEEEE10hipError_tPvRmT1_T2_T3_mT4_P12ihipStream_tbEUlT_E0_NS1_11comp_targetILNS1_3genE10ELNS1_11target_archE1200ELNS1_3gpuE4ELNS1_3repE0EEENS1_30default_config_static_selectorELNS0_4arch9wavefront6targetE1EEEvSM_
	.p2align	8
	.type	_ZN7rocprim17ROCPRIM_400000_NS6detail17trampoline_kernelINS0_14default_configENS1_22reduce_config_selectorIbEEZNS1_11reduce_implILb1ES3_N6hipcub16HIPCUB_304000_NS22TransformInputIteratorIb7NonZeroIdEPdlEEPllNS8_6detail34convert_binary_result_type_wrapperINS8_3SumESD_lEEEE10hipError_tPvRmT1_T2_T3_mT4_P12ihipStream_tbEUlT_E0_NS1_11comp_targetILNS1_3genE10ELNS1_11target_archE1200ELNS1_3gpuE4ELNS1_3repE0EEENS1_30default_config_static_selectorELNS0_4arch9wavefront6targetE1EEEvSM_,@function
_ZN7rocprim17ROCPRIM_400000_NS6detail17trampoline_kernelINS0_14default_configENS1_22reduce_config_selectorIbEEZNS1_11reduce_implILb1ES3_N6hipcub16HIPCUB_304000_NS22TransformInputIteratorIb7NonZeroIdEPdlEEPllNS8_6detail34convert_binary_result_type_wrapperINS8_3SumESD_lEEEE10hipError_tPvRmT1_T2_T3_mT4_P12ihipStream_tbEUlT_E0_NS1_11comp_targetILNS1_3genE10ELNS1_11target_archE1200ELNS1_3gpuE4ELNS1_3repE0EEENS1_30default_config_static_selectorELNS0_4arch9wavefront6targetE1EEEvSM_: ; @_ZN7rocprim17ROCPRIM_400000_NS6detail17trampoline_kernelINS0_14default_configENS1_22reduce_config_selectorIbEEZNS1_11reduce_implILb1ES3_N6hipcub16HIPCUB_304000_NS22TransformInputIteratorIb7NonZeroIdEPdlEEPllNS8_6detail34convert_binary_result_type_wrapperINS8_3SumESD_lEEEE10hipError_tPvRmT1_T2_T3_mT4_P12ihipStream_tbEUlT_E0_NS1_11comp_targetILNS1_3genE10ELNS1_11target_archE1200ELNS1_3gpuE4ELNS1_3repE0EEENS1_30default_config_static_selectorELNS0_4arch9wavefront6targetE1EEEvSM_
; %bb.0:
	.section	.rodata,"a",@progbits
	.p2align	6, 0x0
	.amdhsa_kernel _ZN7rocprim17ROCPRIM_400000_NS6detail17trampoline_kernelINS0_14default_configENS1_22reduce_config_selectorIbEEZNS1_11reduce_implILb1ES3_N6hipcub16HIPCUB_304000_NS22TransformInputIteratorIb7NonZeroIdEPdlEEPllNS8_6detail34convert_binary_result_type_wrapperINS8_3SumESD_lEEEE10hipError_tPvRmT1_T2_T3_mT4_P12ihipStream_tbEUlT_E0_NS1_11comp_targetILNS1_3genE10ELNS1_11target_archE1200ELNS1_3gpuE4ELNS1_3repE0EEENS1_30default_config_static_selectorELNS0_4arch9wavefront6targetE1EEEvSM_
		.amdhsa_group_segment_fixed_size 0
		.amdhsa_private_segment_fixed_size 0
		.amdhsa_kernarg_size 72
		.amdhsa_user_sgpr_count 6
		.amdhsa_user_sgpr_private_segment_buffer 1
		.amdhsa_user_sgpr_dispatch_ptr 0
		.amdhsa_user_sgpr_queue_ptr 0
		.amdhsa_user_sgpr_kernarg_segment_ptr 1
		.amdhsa_user_sgpr_dispatch_id 0
		.amdhsa_user_sgpr_flat_scratch_init 0
		.amdhsa_user_sgpr_private_segment_size 0
		.amdhsa_uses_dynamic_stack 0
		.amdhsa_system_sgpr_private_segment_wavefront_offset 0
		.amdhsa_system_sgpr_workgroup_id_x 1
		.amdhsa_system_sgpr_workgroup_id_y 0
		.amdhsa_system_sgpr_workgroup_id_z 0
		.amdhsa_system_sgpr_workgroup_info 0
		.amdhsa_system_vgpr_workitem_id 0
		.amdhsa_next_free_vgpr 1
		.amdhsa_next_free_sgpr 0
		.amdhsa_reserve_vcc 0
		.amdhsa_reserve_flat_scratch 0
		.amdhsa_float_round_mode_32 0
		.amdhsa_float_round_mode_16_64 0
		.amdhsa_float_denorm_mode_32 3
		.amdhsa_float_denorm_mode_16_64 3
		.amdhsa_dx10_clamp 1
		.amdhsa_ieee_mode 1
		.amdhsa_fp16_overflow 0
		.amdhsa_exception_fp_ieee_invalid_op 0
		.amdhsa_exception_fp_denorm_src 0
		.amdhsa_exception_fp_ieee_div_zero 0
		.amdhsa_exception_fp_ieee_overflow 0
		.amdhsa_exception_fp_ieee_underflow 0
		.amdhsa_exception_fp_ieee_inexact 0
		.amdhsa_exception_int_div_zero 0
	.end_amdhsa_kernel
	.section	.text._ZN7rocprim17ROCPRIM_400000_NS6detail17trampoline_kernelINS0_14default_configENS1_22reduce_config_selectorIbEEZNS1_11reduce_implILb1ES3_N6hipcub16HIPCUB_304000_NS22TransformInputIteratorIb7NonZeroIdEPdlEEPllNS8_6detail34convert_binary_result_type_wrapperINS8_3SumESD_lEEEE10hipError_tPvRmT1_T2_T3_mT4_P12ihipStream_tbEUlT_E0_NS1_11comp_targetILNS1_3genE10ELNS1_11target_archE1200ELNS1_3gpuE4ELNS1_3repE0EEENS1_30default_config_static_selectorELNS0_4arch9wavefront6targetE1EEEvSM_,"axG",@progbits,_ZN7rocprim17ROCPRIM_400000_NS6detail17trampoline_kernelINS0_14default_configENS1_22reduce_config_selectorIbEEZNS1_11reduce_implILb1ES3_N6hipcub16HIPCUB_304000_NS22TransformInputIteratorIb7NonZeroIdEPdlEEPllNS8_6detail34convert_binary_result_type_wrapperINS8_3SumESD_lEEEE10hipError_tPvRmT1_T2_T3_mT4_P12ihipStream_tbEUlT_E0_NS1_11comp_targetILNS1_3genE10ELNS1_11target_archE1200ELNS1_3gpuE4ELNS1_3repE0EEENS1_30default_config_static_selectorELNS0_4arch9wavefront6targetE1EEEvSM_,comdat
.Lfunc_end309:
	.size	_ZN7rocprim17ROCPRIM_400000_NS6detail17trampoline_kernelINS0_14default_configENS1_22reduce_config_selectorIbEEZNS1_11reduce_implILb1ES3_N6hipcub16HIPCUB_304000_NS22TransformInputIteratorIb7NonZeroIdEPdlEEPllNS8_6detail34convert_binary_result_type_wrapperINS8_3SumESD_lEEEE10hipError_tPvRmT1_T2_T3_mT4_P12ihipStream_tbEUlT_E0_NS1_11comp_targetILNS1_3genE10ELNS1_11target_archE1200ELNS1_3gpuE4ELNS1_3repE0EEENS1_30default_config_static_selectorELNS0_4arch9wavefront6targetE1EEEvSM_, .Lfunc_end309-_ZN7rocprim17ROCPRIM_400000_NS6detail17trampoline_kernelINS0_14default_configENS1_22reduce_config_selectorIbEEZNS1_11reduce_implILb1ES3_N6hipcub16HIPCUB_304000_NS22TransformInputIteratorIb7NonZeroIdEPdlEEPllNS8_6detail34convert_binary_result_type_wrapperINS8_3SumESD_lEEEE10hipError_tPvRmT1_T2_T3_mT4_P12ihipStream_tbEUlT_E0_NS1_11comp_targetILNS1_3genE10ELNS1_11target_archE1200ELNS1_3gpuE4ELNS1_3repE0EEENS1_30default_config_static_selectorELNS0_4arch9wavefront6targetE1EEEvSM_
                                        ; -- End function
	.set _ZN7rocprim17ROCPRIM_400000_NS6detail17trampoline_kernelINS0_14default_configENS1_22reduce_config_selectorIbEEZNS1_11reduce_implILb1ES3_N6hipcub16HIPCUB_304000_NS22TransformInputIteratorIb7NonZeroIdEPdlEEPllNS8_6detail34convert_binary_result_type_wrapperINS8_3SumESD_lEEEE10hipError_tPvRmT1_T2_T3_mT4_P12ihipStream_tbEUlT_E0_NS1_11comp_targetILNS1_3genE10ELNS1_11target_archE1200ELNS1_3gpuE4ELNS1_3repE0EEENS1_30default_config_static_selectorELNS0_4arch9wavefront6targetE1EEEvSM_.num_vgpr, 0
	.set _ZN7rocprim17ROCPRIM_400000_NS6detail17trampoline_kernelINS0_14default_configENS1_22reduce_config_selectorIbEEZNS1_11reduce_implILb1ES3_N6hipcub16HIPCUB_304000_NS22TransformInputIteratorIb7NonZeroIdEPdlEEPllNS8_6detail34convert_binary_result_type_wrapperINS8_3SumESD_lEEEE10hipError_tPvRmT1_T2_T3_mT4_P12ihipStream_tbEUlT_E0_NS1_11comp_targetILNS1_3genE10ELNS1_11target_archE1200ELNS1_3gpuE4ELNS1_3repE0EEENS1_30default_config_static_selectorELNS0_4arch9wavefront6targetE1EEEvSM_.num_agpr, 0
	.set _ZN7rocprim17ROCPRIM_400000_NS6detail17trampoline_kernelINS0_14default_configENS1_22reduce_config_selectorIbEEZNS1_11reduce_implILb1ES3_N6hipcub16HIPCUB_304000_NS22TransformInputIteratorIb7NonZeroIdEPdlEEPllNS8_6detail34convert_binary_result_type_wrapperINS8_3SumESD_lEEEE10hipError_tPvRmT1_T2_T3_mT4_P12ihipStream_tbEUlT_E0_NS1_11comp_targetILNS1_3genE10ELNS1_11target_archE1200ELNS1_3gpuE4ELNS1_3repE0EEENS1_30default_config_static_selectorELNS0_4arch9wavefront6targetE1EEEvSM_.numbered_sgpr, 0
	.set _ZN7rocprim17ROCPRIM_400000_NS6detail17trampoline_kernelINS0_14default_configENS1_22reduce_config_selectorIbEEZNS1_11reduce_implILb1ES3_N6hipcub16HIPCUB_304000_NS22TransformInputIteratorIb7NonZeroIdEPdlEEPllNS8_6detail34convert_binary_result_type_wrapperINS8_3SumESD_lEEEE10hipError_tPvRmT1_T2_T3_mT4_P12ihipStream_tbEUlT_E0_NS1_11comp_targetILNS1_3genE10ELNS1_11target_archE1200ELNS1_3gpuE4ELNS1_3repE0EEENS1_30default_config_static_selectorELNS0_4arch9wavefront6targetE1EEEvSM_.num_named_barrier, 0
	.set _ZN7rocprim17ROCPRIM_400000_NS6detail17trampoline_kernelINS0_14default_configENS1_22reduce_config_selectorIbEEZNS1_11reduce_implILb1ES3_N6hipcub16HIPCUB_304000_NS22TransformInputIteratorIb7NonZeroIdEPdlEEPllNS8_6detail34convert_binary_result_type_wrapperINS8_3SumESD_lEEEE10hipError_tPvRmT1_T2_T3_mT4_P12ihipStream_tbEUlT_E0_NS1_11comp_targetILNS1_3genE10ELNS1_11target_archE1200ELNS1_3gpuE4ELNS1_3repE0EEENS1_30default_config_static_selectorELNS0_4arch9wavefront6targetE1EEEvSM_.private_seg_size, 0
	.set _ZN7rocprim17ROCPRIM_400000_NS6detail17trampoline_kernelINS0_14default_configENS1_22reduce_config_selectorIbEEZNS1_11reduce_implILb1ES3_N6hipcub16HIPCUB_304000_NS22TransformInputIteratorIb7NonZeroIdEPdlEEPllNS8_6detail34convert_binary_result_type_wrapperINS8_3SumESD_lEEEE10hipError_tPvRmT1_T2_T3_mT4_P12ihipStream_tbEUlT_E0_NS1_11comp_targetILNS1_3genE10ELNS1_11target_archE1200ELNS1_3gpuE4ELNS1_3repE0EEENS1_30default_config_static_selectorELNS0_4arch9wavefront6targetE1EEEvSM_.uses_vcc, 0
	.set _ZN7rocprim17ROCPRIM_400000_NS6detail17trampoline_kernelINS0_14default_configENS1_22reduce_config_selectorIbEEZNS1_11reduce_implILb1ES3_N6hipcub16HIPCUB_304000_NS22TransformInputIteratorIb7NonZeroIdEPdlEEPllNS8_6detail34convert_binary_result_type_wrapperINS8_3SumESD_lEEEE10hipError_tPvRmT1_T2_T3_mT4_P12ihipStream_tbEUlT_E0_NS1_11comp_targetILNS1_3genE10ELNS1_11target_archE1200ELNS1_3gpuE4ELNS1_3repE0EEENS1_30default_config_static_selectorELNS0_4arch9wavefront6targetE1EEEvSM_.uses_flat_scratch, 0
	.set _ZN7rocprim17ROCPRIM_400000_NS6detail17trampoline_kernelINS0_14default_configENS1_22reduce_config_selectorIbEEZNS1_11reduce_implILb1ES3_N6hipcub16HIPCUB_304000_NS22TransformInputIteratorIb7NonZeroIdEPdlEEPllNS8_6detail34convert_binary_result_type_wrapperINS8_3SumESD_lEEEE10hipError_tPvRmT1_T2_T3_mT4_P12ihipStream_tbEUlT_E0_NS1_11comp_targetILNS1_3genE10ELNS1_11target_archE1200ELNS1_3gpuE4ELNS1_3repE0EEENS1_30default_config_static_selectorELNS0_4arch9wavefront6targetE1EEEvSM_.has_dyn_sized_stack, 0
	.set _ZN7rocprim17ROCPRIM_400000_NS6detail17trampoline_kernelINS0_14default_configENS1_22reduce_config_selectorIbEEZNS1_11reduce_implILb1ES3_N6hipcub16HIPCUB_304000_NS22TransformInputIteratorIb7NonZeroIdEPdlEEPllNS8_6detail34convert_binary_result_type_wrapperINS8_3SumESD_lEEEE10hipError_tPvRmT1_T2_T3_mT4_P12ihipStream_tbEUlT_E0_NS1_11comp_targetILNS1_3genE10ELNS1_11target_archE1200ELNS1_3gpuE4ELNS1_3repE0EEENS1_30default_config_static_selectorELNS0_4arch9wavefront6targetE1EEEvSM_.has_recursion, 0
	.set _ZN7rocprim17ROCPRIM_400000_NS6detail17trampoline_kernelINS0_14default_configENS1_22reduce_config_selectorIbEEZNS1_11reduce_implILb1ES3_N6hipcub16HIPCUB_304000_NS22TransformInputIteratorIb7NonZeroIdEPdlEEPllNS8_6detail34convert_binary_result_type_wrapperINS8_3SumESD_lEEEE10hipError_tPvRmT1_T2_T3_mT4_P12ihipStream_tbEUlT_E0_NS1_11comp_targetILNS1_3genE10ELNS1_11target_archE1200ELNS1_3gpuE4ELNS1_3repE0EEENS1_30default_config_static_selectorELNS0_4arch9wavefront6targetE1EEEvSM_.has_indirect_call, 0
	.section	.AMDGPU.csdata,"",@progbits
; Kernel info:
; codeLenInByte = 0
; TotalNumSgprs: 4
; NumVgprs: 0
; ScratchSize: 0
; MemoryBound: 0
; FloatMode: 240
; IeeeMode: 1
; LDSByteSize: 0 bytes/workgroup (compile time only)
; SGPRBlocks: 0
; VGPRBlocks: 0
; NumSGPRsForWavesPerEU: 4
; NumVGPRsForWavesPerEU: 1
; Occupancy: 10
; WaveLimiterHint : 0
; COMPUTE_PGM_RSRC2:SCRATCH_EN: 0
; COMPUTE_PGM_RSRC2:USER_SGPR: 6
; COMPUTE_PGM_RSRC2:TRAP_HANDLER: 0
; COMPUTE_PGM_RSRC2:TGID_X_EN: 1
; COMPUTE_PGM_RSRC2:TGID_Y_EN: 0
; COMPUTE_PGM_RSRC2:TGID_Z_EN: 0
; COMPUTE_PGM_RSRC2:TIDIG_COMP_CNT: 0
	.section	.text._ZN7rocprim17ROCPRIM_400000_NS6detail17trampoline_kernelINS0_14default_configENS1_22reduce_config_selectorIbEEZNS1_11reduce_implILb1ES3_N6hipcub16HIPCUB_304000_NS22TransformInputIteratorIb7NonZeroIdEPdlEEPllNS8_6detail34convert_binary_result_type_wrapperINS8_3SumESD_lEEEE10hipError_tPvRmT1_T2_T3_mT4_P12ihipStream_tbEUlT_E0_NS1_11comp_targetILNS1_3genE9ELNS1_11target_archE1100ELNS1_3gpuE3ELNS1_3repE0EEENS1_30default_config_static_selectorELNS0_4arch9wavefront6targetE1EEEvSM_,"axG",@progbits,_ZN7rocprim17ROCPRIM_400000_NS6detail17trampoline_kernelINS0_14default_configENS1_22reduce_config_selectorIbEEZNS1_11reduce_implILb1ES3_N6hipcub16HIPCUB_304000_NS22TransformInputIteratorIb7NonZeroIdEPdlEEPllNS8_6detail34convert_binary_result_type_wrapperINS8_3SumESD_lEEEE10hipError_tPvRmT1_T2_T3_mT4_P12ihipStream_tbEUlT_E0_NS1_11comp_targetILNS1_3genE9ELNS1_11target_archE1100ELNS1_3gpuE3ELNS1_3repE0EEENS1_30default_config_static_selectorELNS0_4arch9wavefront6targetE1EEEvSM_,comdat
	.protected	_ZN7rocprim17ROCPRIM_400000_NS6detail17trampoline_kernelINS0_14default_configENS1_22reduce_config_selectorIbEEZNS1_11reduce_implILb1ES3_N6hipcub16HIPCUB_304000_NS22TransformInputIteratorIb7NonZeroIdEPdlEEPllNS8_6detail34convert_binary_result_type_wrapperINS8_3SumESD_lEEEE10hipError_tPvRmT1_T2_T3_mT4_P12ihipStream_tbEUlT_E0_NS1_11comp_targetILNS1_3genE9ELNS1_11target_archE1100ELNS1_3gpuE3ELNS1_3repE0EEENS1_30default_config_static_selectorELNS0_4arch9wavefront6targetE1EEEvSM_ ; -- Begin function _ZN7rocprim17ROCPRIM_400000_NS6detail17trampoline_kernelINS0_14default_configENS1_22reduce_config_selectorIbEEZNS1_11reduce_implILb1ES3_N6hipcub16HIPCUB_304000_NS22TransformInputIteratorIb7NonZeroIdEPdlEEPllNS8_6detail34convert_binary_result_type_wrapperINS8_3SumESD_lEEEE10hipError_tPvRmT1_T2_T3_mT4_P12ihipStream_tbEUlT_E0_NS1_11comp_targetILNS1_3genE9ELNS1_11target_archE1100ELNS1_3gpuE3ELNS1_3repE0EEENS1_30default_config_static_selectorELNS0_4arch9wavefront6targetE1EEEvSM_
	.globl	_ZN7rocprim17ROCPRIM_400000_NS6detail17trampoline_kernelINS0_14default_configENS1_22reduce_config_selectorIbEEZNS1_11reduce_implILb1ES3_N6hipcub16HIPCUB_304000_NS22TransformInputIteratorIb7NonZeroIdEPdlEEPllNS8_6detail34convert_binary_result_type_wrapperINS8_3SumESD_lEEEE10hipError_tPvRmT1_T2_T3_mT4_P12ihipStream_tbEUlT_E0_NS1_11comp_targetILNS1_3genE9ELNS1_11target_archE1100ELNS1_3gpuE3ELNS1_3repE0EEENS1_30default_config_static_selectorELNS0_4arch9wavefront6targetE1EEEvSM_
	.p2align	8
	.type	_ZN7rocprim17ROCPRIM_400000_NS6detail17trampoline_kernelINS0_14default_configENS1_22reduce_config_selectorIbEEZNS1_11reduce_implILb1ES3_N6hipcub16HIPCUB_304000_NS22TransformInputIteratorIb7NonZeroIdEPdlEEPllNS8_6detail34convert_binary_result_type_wrapperINS8_3SumESD_lEEEE10hipError_tPvRmT1_T2_T3_mT4_P12ihipStream_tbEUlT_E0_NS1_11comp_targetILNS1_3genE9ELNS1_11target_archE1100ELNS1_3gpuE3ELNS1_3repE0EEENS1_30default_config_static_selectorELNS0_4arch9wavefront6targetE1EEEvSM_,@function
_ZN7rocprim17ROCPRIM_400000_NS6detail17trampoline_kernelINS0_14default_configENS1_22reduce_config_selectorIbEEZNS1_11reduce_implILb1ES3_N6hipcub16HIPCUB_304000_NS22TransformInputIteratorIb7NonZeroIdEPdlEEPllNS8_6detail34convert_binary_result_type_wrapperINS8_3SumESD_lEEEE10hipError_tPvRmT1_T2_T3_mT4_P12ihipStream_tbEUlT_E0_NS1_11comp_targetILNS1_3genE9ELNS1_11target_archE1100ELNS1_3gpuE3ELNS1_3repE0EEENS1_30default_config_static_selectorELNS0_4arch9wavefront6targetE1EEEvSM_: ; @_ZN7rocprim17ROCPRIM_400000_NS6detail17trampoline_kernelINS0_14default_configENS1_22reduce_config_selectorIbEEZNS1_11reduce_implILb1ES3_N6hipcub16HIPCUB_304000_NS22TransformInputIteratorIb7NonZeroIdEPdlEEPllNS8_6detail34convert_binary_result_type_wrapperINS8_3SumESD_lEEEE10hipError_tPvRmT1_T2_T3_mT4_P12ihipStream_tbEUlT_E0_NS1_11comp_targetILNS1_3genE9ELNS1_11target_archE1100ELNS1_3gpuE3ELNS1_3repE0EEENS1_30default_config_static_selectorELNS0_4arch9wavefront6targetE1EEEvSM_
; %bb.0:
	.section	.rodata,"a",@progbits
	.p2align	6, 0x0
	.amdhsa_kernel _ZN7rocprim17ROCPRIM_400000_NS6detail17trampoline_kernelINS0_14default_configENS1_22reduce_config_selectorIbEEZNS1_11reduce_implILb1ES3_N6hipcub16HIPCUB_304000_NS22TransformInputIteratorIb7NonZeroIdEPdlEEPllNS8_6detail34convert_binary_result_type_wrapperINS8_3SumESD_lEEEE10hipError_tPvRmT1_T2_T3_mT4_P12ihipStream_tbEUlT_E0_NS1_11comp_targetILNS1_3genE9ELNS1_11target_archE1100ELNS1_3gpuE3ELNS1_3repE0EEENS1_30default_config_static_selectorELNS0_4arch9wavefront6targetE1EEEvSM_
		.amdhsa_group_segment_fixed_size 0
		.amdhsa_private_segment_fixed_size 0
		.amdhsa_kernarg_size 72
		.amdhsa_user_sgpr_count 6
		.amdhsa_user_sgpr_private_segment_buffer 1
		.amdhsa_user_sgpr_dispatch_ptr 0
		.amdhsa_user_sgpr_queue_ptr 0
		.amdhsa_user_sgpr_kernarg_segment_ptr 1
		.amdhsa_user_sgpr_dispatch_id 0
		.amdhsa_user_sgpr_flat_scratch_init 0
		.amdhsa_user_sgpr_private_segment_size 0
		.amdhsa_uses_dynamic_stack 0
		.amdhsa_system_sgpr_private_segment_wavefront_offset 0
		.amdhsa_system_sgpr_workgroup_id_x 1
		.amdhsa_system_sgpr_workgroup_id_y 0
		.amdhsa_system_sgpr_workgroup_id_z 0
		.amdhsa_system_sgpr_workgroup_info 0
		.amdhsa_system_vgpr_workitem_id 0
		.amdhsa_next_free_vgpr 1
		.amdhsa_next_free_sgpr 0
		.amdhsa_reserve_vcc 0
		.amdhsa_reserve_flat_scratch 0
		.amdhsa_float_round_mode_32 0
		.amdhsa_float_round_mode_16_64 0
		.amdhsa_float_denorm_mode_32 3
		.amdhsa_float_denorm_mode_16_64 3
		.amdhsa_dx10_clamp 1
		.amdhsa_ieee_mode 1
		.amdhsa_fp16_overflow 0
		.amdhsa_exception_fp_ieee_invalid_op 0
		.amdhsa_exception_fp_denorm_src 0
		.amdhsa_exception_fp_ieee_div_zero 0
		.amdhsa_exception_fp_ieee_overflow 0
		.amdhsa_exception_fp_ieee_underflow 0
		.amdhsa_exception_fp_ieee_inexact 0
		.amdhsa_exception_int_div_zero 0
	.end_amdhsa_kernel
	.section	.text._ZN7rocprim17ROCPRIM_400000_NS6detail17trampoline_kernelINS0_14default_configENS1_22reduce_config_selectorIbEEZNS1_11reduce_implILb1ES3_N6hipcub16HIPCUB_304000_NS22TransformInputIteratorIb7NonZeroIdEPdlEEPllNS8_6detail34convert_binary_result_type_wrapperINS8_3SumESD_lEEEE10hipError_tPvRmT1_T2_T3_mT4_P12ihipStream_tbEUlT_E0_NS1_11comp_targetILNS1_3genE9ELNS1_11target_archE1100ELNS1_3gpuE3ELNS1_3repE0EEENS1_30default_config_static_selectorELNS0_4arch9wavefront6targetE1EEEvSM_,"axG",@progbits,_ZN7rocprim17ROCPRIM_400000_NS6detail17trampoline_kernelINS0_14default_configENS1_22reduce_config_selectorIbEEZNS1_11reduce_implILb1ES3_N6hipcub16HIPCUB_304000_NS22TransformInputIteratorIb7NonZeroIdEPdlEEPllNS8_6detail34convert_binary_result_type_wrapperINS8_3SumESD_lEEEE10hipError_tPvRmT1_T2_T3_mT4_P12ihipStream_tbEUlT_E0_NS1_11comp_targetILNS1_3genE9ELNS1_11target_archE1100ELNS1_3gpuE3ELNS1_3repE0EEENS1_30default_config_static_selectorELNS0_4arch9wavefront6targetE1EEEvSM_,comdat
.Lfunc_end310:
	.size	_ZN7rocprim17ROCPRIM_400000_NS6detail17trampoline_kernelINS0_14default_configENS1_22reduce_config_selectorIbEEZNS1_11reduce_implILb1ES3_N6hipcub16HIPCUB_304000_NS22TransformInputIteratorIb7NonZeroIdEPdlEEPllNS8_6detail34convert_binary_result_type_wrapperINS8_3SumESD_lEEEE10hipError_tPvRmT1_T2_T3_mT4_P12ihipStream_tbEUlT_E0_NS1_11comp_targetILNS1_3genE9ELNS1_11target_archE1100ELNS1_3gpuE3ELNS1_3repE0EEENS1_30default_config_static_selectorELNS0_4arch9wavefront6targetE1EEEvSM_, .Lfunc_end310-_ZN7rocprim17ROCPRIM_400000_NS6detail17trampoline_kernelINS0_14default_configENS1_22reduce_config_selectorIbEEZNS1_11reduce_implILb1ES3_N6hipcub16HIPCUB_304000_NS22TransformInputIteratorIb7NonZeroIdEPdlEEPllNS8_6detail34convert_binary_result_type_wrapperINS8_3SumESD_lEEEE10hipError_tPvRmT1_T2_T3_mT4_P12ihipStream_tbEUlT_E0_NS1_11comp_targetILNS1_3genE9ELNS1_11target_archE1100ELNS1_3gpuE3ELNS1_3repE0EEENS1_30default_config_static_selectorELNS0_4arch9wavefront6targetE1EEEvSM_
                                        ; -- End function
	.set _ZN7rocprim17ROCPRIM_400000_NS6detail17trampoline_kernelINS0_14default_configENS1_22reduce_config_selectorIbEEZNS1_11reduce_implILb1ES3_N6hipcub16HIPCUB_304000_NS22TransformInputIteratorIb7NonZeroIdEPdlEEPllNS8_6detail34convert_binary_result_type_wrapperINS8_3SumESD_lEEEE10hipError_tPvRmT1_T2_T3_mT4_P12ihipStream_tbEUlT_E0_NS1_11comp_targetILNS1_3genE9ELNS1_11target_archE1100ELNS1_3gpuE3ELNS1_3repE0EEENS1_30default_config_static_selectorELNS0_4arch9wavefront6targetE1EEEvSM_.num_vgpr, 0
	.set _ZN7rocprim17ROCPRIM_400000_NS6detail17trampoline_kernelINS0_14default_configENS1_22reduce_config_selectorIbEEZNS1_11reduce_implILb1ES3_N6hipcub16HIPCUB_304000_NS22TransformInputIteratorIb7NonZeroIdEPdlEEPllNS8_6detail34convert_binary_result_type_wrapperINS8_3SumESD_lEEEE10hipError_tPvRmT1_T2_T3_mT4_P12ihipStream_tbEUlT_E0_NS1_11comp_targetILNS1_3genE9ELNS1_11target_archE1100ELNS1_3gpuE3ELNS1_3repE0EEENS1_30default_config_static_selectorELNS0_4arch9wavefront6targetE1EEEvSM_.num_agpr, 0
	.set _ZN7rocprim17ROCPRIM_400000_NS6detail17trampoline_kernelINS0_14default_configENS1_22reduce_config_selectorIbEEZNS1_11reduce_implILb1ES3_N6hipcub16HIPCUB_304000_NS22TransformInputIteratorIb7NonZeroIdEPdlEEPllNS8_6detail34convert_binary_result_type_wrapperINS8_3SumESD_lEEEE10hipError_tPvRmT1_T2_T3_mT4_P12ihipStream_tbEUlT_E0_NS1_11comp_targetILNS1_3genE9ELNS1_11target_archE1100ELNS1_3gpuE3ELNS1_3repE0EEENS1_30default_config_static_selectorELNS0_4arch9wavefront6targetE1EEEvSM_.numbered_sgpr, 0
	.set _ZN7rocprim17ROCPRIM_400000_NS6detail17trampoline_kernelINS0_14default_configENS1_22reduce_config_selectorIbEEZNS1_11reduce_implILb1ES3_N6hipcub16HIPCUB_304000_NS22TransformInputIteratorIb7NonZeroIdEPdlEEPllNS8_6detail34convert_binary_result_type_wrapperINS8_3SumESD_lEEEE10hipError_tPvRmT1_T2_T3_mT4_P12ihipStream_tbEUlT_E0_NS1_11comp_targetILNS1_3genE9ELNS1_11target_archE1100ELNS1_3gpuE3ELNS1_3repE0EEENS1_30default_config_static_selectorELNS0_4arch9wavefront6targetE1EEEvSM_.num_named_barrier, 0
	.set _ZN7rocprim17ROCPRIM_400000_NS6detail17trampoline_kernelINS0_14default_configENS1_22reduce_config_selectorIbEEZNS1_11reduce_implILb1ES3_N6hipcub16HIPCUB_304000_NS22TransformInputIteratorIb7NonZeroIdEPdlEEPllNS8_6detail34convert_binary_result_type_wrapperINS8_3SumESD_lEEEE10hipError_tPvRmT1_T2_T3_mT4_P12ihipStream_tbEUlT_E0_NS1_11comp_targetILNS1_3genE9ELNS1_11target_archE1100ELNS1_3gpuE3ELNS1_3repE0EEENS1_30default_config_static_selectorELNS0_4arch9wavefront6targetE1EEEvSM_.private_seg_size, 0
	.set _ZN7rocprim17ROCPRIM_400000_NS6detail17trampoline_kernelINS0_14default_configENS1_22reduce_config_selectorIbEEZNS1_11reduce_implILb1ES3_N6hipcub16HIPCUB_304000_NS22TransformInputIteratorIb7NonZeroIdEPdlEEPllNS8_6detail34convert_binary_result_type_wrapperINS8_3SumESD_lEEEE10hipError_tPvRmT1_T2_T3_mT4_P12ihipStream_tbEUlT_E0_NS1_11comp_targetILNS1_3genE9ELNS1_11target_archE1100ELNS1_3gpuE3ELNS1_3repE0EEENS1_30default_config_static_selectorELNS0_4arch9wavefront6targetE1EEEvSM_.uses_vcc, 0
	.set _ZN7rocprim17ROCPRIM_400000_NS6detail17trampoline_kernelINS0_14default_configENS1_22reduce_config_selectorIbEEZNS1_11reduce_implILb1ES3_N6hipcub16HIPCUB_304000_NS22TransformInputIteratorIb7NonZeroIdEPdlEEPllNS8_6detail34convert_binary_result_type_wrapperINS8_3SumESD_lEEEE10hipError_tPvRmT1_T2_T3_mT4_P12ihipStream_tbEUlT_E0_NS1_11comp_targetILNS1_3genE9ELNS1_11target_archE1100ELNS1_3gpuE3ELNS1_3repE0EEENS1_30default_config_static_selectorELNS0_4arch9wavefront6targetE1EEEvSM_.uses_flat_scratch, 0
	.set _ZN7rocprim17ROCPRIM_400000_NS6detail17trampoline_kernelINS0_14default_configENS1_22reduce_config_selectorIbEEZNS1_11reduce_implILb1ES3_N6hipcub16HIPCUB_304000_NS22TransformInputIteratorIb7NonZeroIdEPdlEEPllNS8_6detail34convert_binary_result_type_wrapperINS8_3SumESD_lEEEE10hipError_tPvRmT1_T2_T3_mT4_P12ihipStream_tbEUlT_E0_NS1_11comp_targetILNS1_3genE9ELNS1_11target_archE1100ELNS1_3gpuE3ELNS1_3repE0EEENS1_30default_config_static_selectorELNS0_4arch9wavefront6targetE1EEEvSM_.has_dyn_sized_stack, 0
	.set _ZN7rocprim17ROCPRIM_400000_NS6detail17trampoline_kernelINS0_14default_configENS1_22reduce_config_selectorIbEEZNS1_11reduce_implILb1ES3_N6hipcub16HIPCUB_304000_NS22TransformInputIteratorIb7NonZeroIdEPdlEEPllNS8_6detail34convert_binary_result_type_wrapperINS8_3SumESD_lEEEE10hipError_tPvRmT1_T2_T3_mT4_P12ihipStream_tbEUlT_E0_NS1_11comp_targetILNS1_3genE9ELNS1_11target_archE1100ELNS1_3gpuE3ELNS1_3repE0EEENS1_30default_config_static_selectorELNS0_4arch9wavefront6targetE1EEEvSM_.has_recursion, 0
	.set _ZN7rocprim17ROCPRIM_400000_NS6detail17trampoline_kernelINS0_14default_configENS1_22reduce_config_selectorIbEEZNS1_11reduce_implILb1ES3_N6hipcub16HIPCUB_304000_NS22TransformInputIteratorIb7NonZeroIdEPdlEEPllNS8_6detail34convert_binary_result_type_wrapperINS8_3SumESD_lEEEE10hipError_tPvRmT1_T2_T3_mT4_P12ihipStream_tbEUlT_E0_NS1_11comp_targetILNS1_3genE9ELNS1_11target_archE1100ELNS1_3gpuE3ELNS1_3repE0EEENS1_30default_config_static_selectorELNS0_4arch9wavefront6targetE1EEEvSM_.has_indirect_call, 0
	.section	.AMDGPU.csdata,"",@progbits
; Kernel info:
; codeLenInByte = 0
; TotalNumSgprs: 4
; NumVgprs: 0
; ScratchSize: 0
; MemoryBound: 0
; FloatMode: 240
; IeeeMode: 1
; LDSByteSize: 0 bytes/workgroup (compile time only)
; SGPRBlocks: 0
; VGPRBlocks: 0
; NumSGPRsForWavesPerEU: 4
; NumVGPRsForWavesPerEU: 1
; Occupancy: 10
; WaveLimiterHint : 0
; COMPUTE_PGM_RSRC2:SCRATCH_EN: 0
; COMPUTE_PGM_RSRC2:USER_SGPR: 6
; COMPUTE_PGM_RSRC2:TRAP_HANDLER: 0
; COMPUTE_PGM_RSRC2:TGID_X_EN: 1
; COMPUTE_PGM_RSRC2:TGID_Y_EN: 0
; COMPUTE_PGM_RSRC2:TGID_Z_EN: 0
; COMPUTE_PGM_RSRC2:TIDIG_COMP_CNT: 0
	.section	.text._ZN7rocprim17ROCPRIM_400000_NS6detail17trampoline_kernelINS0_14default_configENS1_22reduce_config_selectorIbEEZNS1_11reduce_implILb1ES3_N6hipcub16HIPCUB_304000_NS22TransformInputIteratorIb7NonZeroIdEPdlEEPllNS8_6detail34convert_binary_result_type_wrapperINS8_3SumESD_lEEEE10hipError_tPvRmT1_T2_T3_mT4_P12ihipStream_tbEUlT_E0_NS1_11comp_targetILNS1_3genE8ELNS1_11target_archE1030ELNS1_3gpuE2ELNS1_3repE0EEENS1_30default_config_static_selectorELNS0_4arch9wavefront6targetE1EEEvSM_,"axG",@progbits,_ZN7rocprim17ROCPRIM_400000_NS6detail17trampoline_kernelINS0_14default_configENS1_22reduce_config_selectorIbEEZNS1_11reduce_implILb1ES3_N6hipcub16HIPCUB_304000_NS22TransformInputIteratorIb7NonZeroIdEPdlEEPllNS8_6detail34convert_binary_result_type_wrapperINS8_3SumESD_lEEEE10hipError_tPvRmT1_T2_T3_mT4_P12ihipStream_tbEUlT_E0_NS1_11comp_targetILNS1_3genE8ELNS1_11target_archE1030ELNS1_3gpuE2ELNS1_3repE0EEENS1_30default_config_static_selectorELNS0_4arch9wavefront6targetE1EEEvSM_,comdat
	.protected	_ZN7rocprim17ROCPRIM_400000_NS6detail17trampoline_kernelINS0_14default_configENS1_22reduce_config_selectorIbEEZNS1_11reduce_implILb1ES3_N6hipcub16HIPCUB_304000_NS22TransformInputIteratorIb7NonZeroIdEPdlEEPllNS8_6detail34convert_binary_result_type_wrapperINS8_3SumESD_lEEEE10hipError_tPvRmT1_T2_T3_mT4_P12ihipStream_tbEUlT_E0_NS1_11comp_targetILNS1_3genE8ELNS1_11target_archE1030ELNS1_3gpuE2ELNS1_3repE0EEENS1_30default_config_static_selectorELNS0_4arch9wavefront6targetE1EEEvSM_ ; -- Begin function _ZN7rocprim17ROCPRIM_400000_NS6detail17trampoline_kernelINS0_14default_configENS1_22reduce_config_selectorIbEEZNS1_11reduce_implILb1ES3_N6hipcub16HIPCUB_304000_NS22TransformInputIteratorIb7NonZeroIdEPdlEEPllNS8_6detail34convert_binary_result_type_wrapperINS8_3SumESD_lEEEE10hipError_tPvRmT1_T2_T3_mT4_P12ihipStream_tbEUlT_E0_NS1_11comp_targetILNS1_3genE8ELNS1_11target_archE1030ELNS1_3gpuE2ELNS1_3repE0EEENS1_30default_config_static_selectorELNS0_4arch9wavefront6targetE1EEEvSM_
	.globl	_ZN7rocprim17ROCPRIM_400000_NS6detail17trampoline_kernelINS0_14default_configENS1_22reduce_config_selectorIbEEZNS1_11reduce_implILb1ES3_N6hipcub16HIPCUB_304000_NS22TransformInputIteratorIb7NonZeroIdEPdlEEPllNS8_6detail34convert_binary_result_type_wrapperINS8_3SumESD_lEEEE10hipError_tPvRmT1_T2_T3_mT4_P12ihipStream_tbEUlT_E0_NS1_11comp_targetILNS1_3genE8ELNS1_11target_archE1030ELNS1_3gpuE2ELNS1_3repE0EEENS1_30default_config_static_selectorELNS0_4arch9wavefront6targetE1EEEvSM_
	.p2align	8
	.type	_ZN7rocprim17ROCPRIM_400000_NS6detail17trampoline_kernelINS0_14default_configENS1_22reduce_config_selectorIbEEZNS1_11reduce_implILb1ES3_N6hipcub16HIPCUB_304000_NS22TransformInputIteratorIb7NonZeroIdEPdlEEPllNS8_6detail34convert_binary_result_type_wrapperINS8_3SumESD_lEEEE10hipError_tPvRmT1_T2_T3_mT4_P12ihipStream_tbEUlT_E0_NS1_11comp_targetILNS1_3genE8ELNS1_11target_archE1030ELNS1_3gpuE2ELNS1_3repE0EEENS1_30default_config_static_selectorELNS0_4arch9wavefront6targetE1EEEvSM_,@function
_ZN7rocprim17ROCPRIM_400000_NS6detail17trampoline_kernelINS0_14default_configENS1_22reduce_config_selectorIbEEZNS1_11reduce_implILb1ES3_N6hipcub16HIPCUB_304000_NS22TransformInputIteratorIb7NonZeroIdEPdlEEPllNS8_6detail34convert_binary_result_type_wrapperINS8_3SumESD_lEEEE10hipError_tPvRmT1_T2_T3_mT4_P12ihipStream_tbEUlT_E0_NS1_11comp_targetILNS1_3genE8ELNS1_11target_archE1030ELNS1_3gpuE2ELNS1_3repE0EEENS1_30default_config_static_selectorELNS0_4arch9wavefront6targetE1EEEvSM_: ; @_ZN7rocprim17ROCPRIM_400000_NS6detail17trampoline_kernelINS0_14default_configENS1_22reduce_config_selectorIbEEZNS1_11reduce_implILb1ES3_N6hipcub16HIPCUB_304000_NS22TransformInputIteratorIb7NonZeroIdEPdlEEPllNS8_6detail34convert_binary_result_type_wrapperINS8_3SumESD_lEEEE10hipError_tPvRmT1_T2_T3_mT4_P12ihipStream_tbEUlT_E0_NS1_11comp_targetILNS1_3genE8ELNS1_11target_archE1030ELNS1_3gpuE2ELNS1_3repE0EEENS1_30default_config_static_selectorELNS0_4arch9wavefront6targetE1EEEvSM_
; %bb.0:
	.section	.rodata,"a",@progbits
	.p2align	6, 0x0
	.amdhsa_kernel _ZN7rocprim17ROCPRIM_400000_NS6detail17trampoline_kernelINS0_14default_configENS1_22reduce_config_selectorIbEEZNS1_11reduce_implILb1ES3_N6hipcub16HIPCUB_304000_NS22TransformInputIteratorIb7NonZeroIdEPdlEEPllNS8_6detail34convert_binary_result_type_wrapperINS8_3SumESD_lEEEE10hipError_tPvRmT1_T2_T3_mT4_P12ihipStream_tbEUlT_E0_NS1_11comp_targetILNS1_3genE8ELNS1_11target_archE1030ELNS1_3gpuE2ELNS1_3repE0EEENS1_30default_config_static_selectorELNS0_4arch9wavefront6targetE1EEEvSM_
		.amdhsa_group_segment_fixed_size 0
		.amdhsa_private_segment_fixed_size 0
		.amdhsa_kernarg_size 72
		.amdhsa_user_sgpr_count 6
		.amdhsa_user_sgpr_private_segment_buffer 1
		.amdhsa_user_sgpr_dispatch_ptr 0
		.amdhsa_user_sgpr_queue_ptr 0
		.amdhsa_user_sgpr_kernarg_segment_ptr 1
		.amdhsa_user_sgpr_dispatch_id 0
		.amdhsa_user_sgpr_flat_scratch_init 0
		.amdhsa_user_sgpr_private_segment_size 0
		.amdhsa_uses_dynamic_stack 0
		.amdhsa_system_sgpr_private_segment_wavefront_offset 0
		.amdhsa_system_sgpr_workgroup_id_x 1
		.amdhsa_system_sgpr_workgroup_id_y 0
		.amdhsa_system_sgpr_workgroup_id_z 0
		.amdhsa_system_sgpr_workgroup_info 0
		.amdhsa_system_vgpr_workitem_id 0
		.amdhsa_next_free_vgpr 1
		.amdhsa_next_free_sgpr 0
		.amdhsa_reserve_vcc 0
		.amdhsa_reserve_flat_scratch 0
		.amdhsa_float_round_mode_32 0
		.amdhsa_float_round_mode_16_64 0
		.amdhsa_float_denorm_mode_32 3
		.amdhsa_float_denorm_mode_16_64 3
		.amdhsa_dx10_clamp 1
		.amdhsa_ieee_mode 1
		.amdhsa_fp16_overflow 0
		.amdhsa_exception_fp_ieee_invalid_op 0
		.amdhsa_exception_fp_denorm_src 0
		.amdhsa_exception_fp_ieee_div_zero 0
		.amdhsa_exception_fp_ieee_overflow 0
		.amdhsa_exception_fp_ieee_underflow 0
		.amdhsa_exception_fp_ieee_inexact 0
		.amdhsa_exception_int_div_zero 0
	.end_amdhsa_kernel
	.section	.text._ZN7rocprim17ROCPRIM_400000_NS6detail17trampoline_kernelINS0_14default_configENS1_22reduce_config_selectorIbEEZNS1_11reduce_implILb1ES3_N6hipcub16HIPCUB_304000_NS22TransformInputIteratorIb7NonZeroIdEPdlEEPllNS8_6detail34convert_binary_result_type_wrapperINS8_3SumESD_lEEEE10hipError_tPvRmT1_T2_T3_mT4_P12ihipStream_tbEUlT_E0_NS1_11comp_targetILNS1_3genE8ELNS1_11target_archE1030ELNS1_3gpuE2ELNS1_3repE0EEENS1_30default_config_static_selectorELNS0_4arch9wavefront6targetE1EEEvSM_,"axG",@progbits,_ZN7rocprim17ROCPRIM_400000_NS6detail17trampoline_kernelINS0_14default_configENS1_22reduce_config_selectorIbEEZNS1_11reduce_implILb1ES3_N6hipcub16HIPCUB_304000_NS22TransformInputIteratorIb7NonZeroIdEPdlEEPllNS8_6detail34convert_binary_result_type_wrapperINS8_3SumESD_lEEEE10hipError_tPvRmT1_T2_T3_mT4_P12ihipStream_tbEUlT_E0_NS1_11comp_targetILNS1_3genE8ELNS1_11target_archE1030ELNS1_3gpuE2ELNS1_3repE0EEENS1_30default_config_static_selectorELNS0_4arch9wavefront6targetE1EEEvSM_,comdat
.Lfunc_end311:
	.size	_ZN7rocprim17ROCPRIM_400000_NS6detail17trampoline_kernelINS0_14default_configENS1_22reduce_config_selectorIbEEZNS1_11reduce_implILb1ES3_N6hipcub16HIPCUB_304000_NS22TransformInputIteratorIb7NonZeroIdEPdlEEPllNS8_6detail34convert_binary_result_type_wrapperINS8_3SumESD_lEEEE10hipError_tPvRmT1_T2_T3_mT4_P12ihipStream_tbEUlT_E0_NS1_11comp_targetILNS1_3genE8ELNS1_11target_archE1030ELNS1_3gpuE2ELNS1_3repE0EEENS1_30default_config_static_selectorELNS0_4arch9wavefront6targetE1EEEvSM_, .Lfunc_end311-_ZN7rocprim17ROCPRIM_400000_NS6detail17trampoline_kernelINS0_14default_configENS1_22reduce_config_selectorIbEEZNS1_11reduce_implILb1ES3_N6hipcub16HIPCUB_304000_NS22TransformInputIteratorIb7NonZeroIdEPdlEEPllNS8_6detail34convert_binary_result_type_wrapperINS8_3SumESD_lEEEE10hipError_tPvRmT1_T2_T3_mT4_P12ihipStream_tbEUlT_E0_NS1_11comp_targetILNS1_3genE8ELNS1_11target_archE1030ELNS1_3gpuE2ELNS1_3repE0EEENS1_30default_config_static_selectorELNS0_4arch9wavefront6targetE1EEEvSM_
                                        ; -- End function
	.set _ZN7rocprim17ROCPRIM_400000_NS6detail17trampoline_kernelINS0_14default_configENS1_22reduce_config_selectorIbEEZNS1_11reduce_implILb1ES3_N6hipcub16HIPCUB_304000_NS22TransformInputIteratorIb7NonZeroIdEPdlEEPllNS8_6detail34convert_binary_result_type_wrapperINS8_3SumESD_lEEEE10hipError_tPvRmT1_T2_T3_mT4_P12ihipStream_tbEUlT_E0_NS1_11comp_targetILNS1_3genE8ELNS1_11target_archE1030ELNS1_3gpuE2ELNS1_3repE0EEENS1_30default_config_static_selectorELNS0_4arch9wavefront6targetE1EEEvSM_.num_vgpr, 0
	.set _ZN7rocprim17ROCPRIM_400000_NS6detail17trampoline_kernelINS0_14default_configENS1_22reduce_config_selectorIbEEZNS1_11reduce_implILb1ES3_N6hipcub16HIPCUB_304000_NS22TransformInputIteratorIb7NonZeroIdEPdlEEPllNS8_6detail34convert_binary_result_type_wrapperINS8_3SumESD_lEEEE10hipError_tPvRmT1_T2_T3_mT4_P12ihipStream_tbEUlT_E0_NS1_11comp_targetILNS1_3genE8ELNS1_11target_archE1030ELNS1_3gpuE2ELNS1_3repE0EEENS1_30default_config_static_selectorELNS0_4arch9wavefront6targetE1EEEvSM_.num_agpr, 0
	.set _ZN7rocprim17ROCPRIM_400000_NS6detail17trampoline_kernelINS0_14default_configENS1_22reduce_config_selectorIbEEZNS1_11reduce_implILb1ES3_N6hipcub16HIPCUB_304000_NS22TransformInputIteratorIb7NonZeroIdEPdlEEPllNS8_6detail34convert_binary_result_type_wrapperINS8_3SumESD_lEEEE10hipError_tPvRmT1_T2_T3_mT4_P12ihipStream_tbEUlT_E0_NS1_11comp_targetILNS1_3genE8ELNS1_11target_archE1030ELNS1_3gpuE2ELNS1_3repE0EEENS1_30default_config_static_selectorELNS0_4arch9wavefront6targetE1EEEvSM_.numbered_sgpr, 0
	.set _ZN7rocprim17ROCPRIM_400000_NS6detail17trampoline_kernelINS0_14default_configENS1_22reduce_config_selectorIbEEZNS1_11reduce_implILb1ES3_N6hipcub16HIPCUB_304000_NS22TransformInputIteratorIb7NonZeroIdEPdlEEPllNS8_6detail34convert_binary_result_type_wrapperINS8_3SumESD_lEEEE10hipError_tPvRmT1_T2_T3_mT4_P12ihipStream_tbEUlT_E0_NS1_11comp_targetILNS1_3genE8ELNS1_11target_archE1030ELNS1_3gpuE2ELNS1_3repE0EEENS1_30default_config_static_selectorELNS0_4arch9wavefront6targetE1EEEvSM_.num_named_barrier, 0
	.set _ZN7rocprim17ROCPRIM_400000_NS6detail17trampoline_kernelINS0_14default_configENS1_22reduce_config_selectorIbEEZNS1_11reduce_implILb1ES3_N6hipcub16HIPCUB_304000_NS22TransformInputIteratorIb7NonZeroIdEPdlEEPllNS8_6detail34convert_binary_result_type_wrapperINS8_3SumESD_lEEEE10hipError_tPvRmT1_T2_T3_mT4_P12ihipStream_tbEUlT_E0_NS1_11comp_targetILNS1_3genE8ELNS1_11target_archE1030ELNS1_3gpuE2ELNS1_3repE0EEENS1_30default_config_static_selectorELNS0_4arch9wavefront6targetE1EEEvSM_.private_seg_size, 0
	.set _ZN7rocprim17ROCPRIM_400000_NS6detail17trampoline_kernelINS0_14default_configENS1_22reduce_config_selectorIbEEZNS1_11reduce_implILb1ES3_N6hipcub16HIPCUB_304000_NS22TransformInputIteratorIb7NonZeroIdEPdlEEPllNS8_6detail34convert_binary_result_type_wrapperINS8_3SumESD_lEEEE10hipError_tPvRmT1_T2_T3_mT4_P12ihipStream_tbEUlT_E0_NS1_11comp_targetILNS1_3genE8ELNS1_11target_archE1030ELNS1_3gpuE2ELNS1_3repE0EEENS1_30default_config_static_selectorELNS0_4arch9wavefront6targetE1EEEvSM_.uses_vcc, 0
	.set _ZN7rocprim17ROCPRIM_400000_NS6detail17trampoline_kernelINS0_14default_configENS1_22reduce_config_selectorIbEEZNS1_11reduce_implILb1ES3_N6hipcub16HIPCUB_304000_NS22TransformInputIteratorIb7NonZeroIdEPdlEEPllNS8_6detail34convert_binary_result_type_wrapperINS8_3SumESD_lEEEE10hipError_tPvRmT1_T2_T3_mT4_P12ihipStream_tbEUlT_E0_NS1_11comp_targetILNS1_3genE8ELNS1_11target_archE1030ELNS1_3gpuE2ELNS1_3repE0EEENS1_30default_config_static_selectorELNS0_4arch9wavefront6targetE1EEEvSM_.uses_flat_scratch, 0
	.set _ZN7rocprim17ROCPRIM_400000_NS6detail17trampoline_kernelINS0_14default_configENS1_22reduce_config_selectorIbEEZNS1_11reduce_implILb1ES3_N6hipcub16HIPCUB_304000_NS22TransformInputIteratorIb7NonZeroIdEPdlEEPllNS8_6detail34convert_binary_result_type_wrapperINS8_3SumESD_lEEEE10hipError_tPvRmT1_T2_T3_mT4_P12ihipStream_tbEUlT_E0_NS1_11comp_targetILNS1_3genE8ELNS1_11target_archE1030ELNS1_3gpuE2ELNS1_3repE0EEENS1_30default_config_static_selectorELNS0_4arch9wavefront6targetE1EEEvSM_.has_dyn_sized_stack, 0
	.set _ZN7rocprim17ROCPRIM_400000_NS6detail17trampoline_kernelINS0_14default_configENS1_22reduce_config_selectorIbEEZNS1_11reduce_implILb1ES3_N6hipcub16HIPCUB_304000_NS22TransformInputIteratorIb7NonZeroIdEPdlEEPllNS8_6detail34convert_binary_result_type_wrapperINS8_3SumESD_lEEEE10hipError_tPvRmT1_T2_T3_mT4_P12ihipStream_tbEUlT_E0_NS1_11comp_targetILNS1_3genE8ELNS1_11target_archE1030ELNS1_3gpuE2ELNS1_3repE0EEENS1_30default_config_static_selectorELNS0_4arch9wavefront6targetE1EEEvSM_.has_recursion, 0
	.set _ZN7rocprim17ROCPRIM_400000_NS6detail17trampoline_kernelINS0_14default_configENS1_22reduce_config_selectorIbEEZNS1_11reduce_implILb1ES3_N6hipcub16HIPCUB_304000_NS22TransformInputIteratorIb7NonZeroIdEPdlEEPllNS8_6detail34convert_binary_result_type_wrapperINS8_3SumESD_lEEEE10hipError_tPvRmT1_T2_T3_mT4_P12ihipStream_tbEUlT_E0_NS1_11comp_targetILNS1_3genE8ELNS1_11target_archE1030ELNS1_3gpuE2ELNS1_3repE0EEENS1_30default_config_static_selectorELNS0_4arch9wavefront6targetE1EEEvSM_.has_indirect_call, 0
	.section	.AMDGPU.csdata,"",@progbits
; Kernel info:
; codeLenInByte = 0
; TotalNumSgprs: 4
; NumVgprs: 0
; ScratchSize: 0
; MemoryBound: 0
; FloatMode: 240
; IeeeMode: 1
; LDSByteSize: 0 bytes/workgroup (compile time only)
; SGPRBlocks: 0
; VGPRBlocks: 0
; NumSGPRsForWavesPerEU: 4
; NumVGPRsForWavesPerEU: 1
; Occupancy: 10
; WaveLimiterHint : 0
; COMPUTE_PGM_RSRC2:SCRATCH_EN: 0
; COMPUTE_PGM_RSRC2:USER_SGPR: 6
; COMPUTE_PGM_RSRC2:TRAP_HANDLER: 0
; COMPUTE_PGM_RSRC2:TGID_X_EN: 1
; COMPUTE_PGM_RSRC2:TGID_Y_EN: 0
; COMPUTE_PGM_RSRC2:TGID_Z_EN: 0
; COMPUTE_PGM_RSRC2:TIDIG_COMP_CNT: 0
	.section	.text._ZN7rocprim17ROCPRIM_400000_NS6detail17trampoline_kernelINS0_14default_configENS1_22reduce_config_selectorIbEEZNS1_11reduce_implILb1ES3_N6hipcub16HIPCUB_304000_NS22TransformInputIteratorIb7NonZeroIdEPdlEEPllNS8_6detail34convert_binary_result_type_wrapperINS8_3SumESD_lEEEE10hipError_tPvRmT1_T2_T3_mT4_P12ihipStream_tbEUlT_E1_NS1_11comp_targetILNS1_3genE0ELNS1_11target_archE4294967295ELNS1_3gpuE0ELNS1_3repE0EEENS1_30default_config_static_selectorELNS0_4arch9wavefront6targetE1EEEvSM_,"axG",@progbits,_ZN7rocprim17ROCPRIM_400000_NS6detail17trampoline_kernelINS0_14default_configENS1_22reduce_config_selectorIbEEZNS1_11reduce_implILb1ES3_N6hipcub16HIPCUB_304000_NS22TransformInputIteratorIb7NonZeroIdEPdlEEPllNS8_6detail34convert_binary_result_type_wrapperINS8_3SumESD_lEEEE10hipError_tPvRmT1_T2_T3_mT4_P12ihipStream_tbEUlT_E1_NS1_11comp_targetILNS1_3genE0ELNS1_11target_archE4294967295ELNS1_3gpuE0ELNS1_3repE0EEENS1_30default_config_static_selectorELNS0_4arch9wavefront6targetE1EEEvSM_,comdat
	.protected	_ZN7rocprim17ROCPRIM_400000_NS6detail17trampoline_kernelINS0_14default_configENS1_22reduce_config_selectorIbEEZNS1_11reduce_implILb1ES3_N6hipcub16HIPCUB_304000_NS22TransformInputIteratorIb7NonZeroIdEPdlEEPllNS8_6detail34convert_binary_result_type_wrapperINS8_3SumESD_lEEEE10hipError_tPvRmT1_T2_T3_mT4_P12ihipStream_tbEUlT_E1_NS1_11comp_targetILNS1_3genE0ELNS1_11target_archE4294967295ELNS1_3gpuE0ELNS1_3repE0EEENS1_30default_config_static_selectorELNS0_4arch9wavefront6targetE1EEEvSM_ ; -- Begin function _ZN7rocprim17ROCPRIM_400000_NS6detail17trampoline_kernelINS0_14default_configENS1_22reduce_config_selectorIbEEZNS1_11reduce_implILb1ES3_N6hipcub16HIPCUB_304000_NS22TransformInputIteratorIb7NonZeroIdEPdlEEPllNS8_6detail34convert_binary_result_type_wrapperINS8_3SumESD_lEEEE10hipError_tPvRmT1_T2_T3_mT4_P12ihipStream_tbEUlT_E1_NS1_11comp_targetILNS1_3genE0ELNS1_11target_archE4294967295ELNS1_3gpuE0ELNS1_3repE0EEENS1_30default_config_static_selectorELNS0_4arch9wavefront6targetE1EEEvSM_
	.globl	_ZN7rocprim17ROCPRIM_400000_NS6detail17trampoline_kernelINS0_14default_configENS1_22reduce_config_selectorIbEEZNS1_11reduce_implILb1ES3_N6hipcub16HIPCUB_304000_NS22TransformInputIteratorIb7NonZeroIdEPdlEEPllNS8_6detail34convert_binary_result_type_wrapperINS8_3SumESD_lEEEE10hipError_tPvRmT1_T2_T3_mT4_P12ihipStream_tbEUlT_E1_NS1_11comp_targetILNS1_3genE0ELNS1_11target_archE4294967295ELNS1_3gpuE0ELNS1_3repE0EEENS1_30default_config_static_selectorELNS0_4arch9wavefront6targetE1EEEvSM_
	.p2align	8
	.type	_ZN7rocprim17ROCPRIM_400000_NS6detail17trampoline_kernelINS0_14default_configENS1_22reduce_config_selectorIbEEZNS1_11reduce_implILb1ES3_N6hipcub16HIPCUB_304000_NS22TransformInputIteratorIb7NonZeroIdEPdlEEPllNS8_6detail34convert_binary_result_type_wrapperINS8_3SumESD_lEEEE10hipError_tPvRmT1_T2_T3_mT4_P12ihipStream_tbEUlT_E1_NS1_11comp_targetILNS1_3genE0ELNS1_11target_archE4294967295ELNS1_3gpuE0ELNS1_3repE0EEENS1_30default_config_static_selectorELNS0_4arch9wavefront6targetE1EEEvSM_,@function
_ZN7rocprim17ROCPRIM_400000_NS6detail17trampoline_kernelINS0_14default_configENS1_22reduce_config_selectorIbEEZNS1_11reduce_implILb1ES3_N6hipcub16HIPCUB_304000_NS22TransformInputIteratorIb7NonZeroIdEPdlEEPllNS8_6detail34convert_binary_result_type_wrapperINS8_3SumESD_lEEEE10hipError_tPvRmT1_T2_T3_mT4_P12ihipStream_tbEUlT_E1_NS1_11comp_targetILNS1_3genE0ELNS1_11target_archE4294967295ELNS1_3gpuE0ELNS1_3repE0EEENS1_30default_config_static_selectorELNS0_4arch9wavefront6targetE1EEEvSM_: ; @_ZN7rocprim17ROCPRIM_400000_NS6detail17trampoline_kernelINS0_14default_configENS1_22reduce_config_selectorIbEEZNS1_11reduce_implILb1ES3_N6hipcub16HIPCUB_304000_NS22TransformInputIteratorIb7NonZeroIdEPdlEEPllNS8_6detail34convert_binary_result_type_wrapperINS8_3SumESD_lEEEE10hipError_tPvRmT1_T2_T3_mT4_P12ihipStream_tbEUlT_E1_NS1_11comp_targetILNS1_3genE0ELNS1_11target_archE4294967295ELNS1_3gpuE0ELNS1_3repE0EEENS1_30default_config_static_selectorELNS0_4arch9wavefront6targetE1EEEvSM_
; %bb.0:
	.section	.rodata,"a",@progbits
	.p2align	6, 0x0
	.amdhsa_kernel _ZN7rocprim17ROCPRIM_400000_NS6detail17trampoline_kernelINS0_14default_configENS1_22reduce_config_selectorIbEEZNS1_11reduce_implILb1ES3_N6hipcub16HIPCUB_304000_NS22TransformInputIteratorIb7NonZeroIdEPdlEEPllNS8_6detail34convert_binary_result_type_wrapperINS8_3SumESD_lEEEE10hipError_tPvRmT1_T2_T3_mT4_P12ihipStream_tbEUlT_E1_NS1_11comp_targetILNS1_3genE0ELNS1_11target_archE4294967295ELNS1_3gpuE0ELNS1_3repE0EEENS1_30default_config_static_selectorELNS0_4arch9wavefront6targetE1EEEvSM_
		.amdhsa_group_segment_fixed_size 0
		.amdhsa_private_segment_fixed_size 0
		.amdhsa_kernarg_size 56
		.amdhsa_user_sgpr_count 6
		.amdhsa_user_sgpr_private_segment_buffer 1
		.amdhsa_user_sgpr_dispatch_ptr 0
		.amdhsa_user_sgpr_queue_ptr 0
		.amdhsa_user_sgpr_kernarg_segment_ptr 1
		.amdhsa_user_sgpr_dispatch_id 0
		.amdhsa_user_sgpr_flat_scratch_init 0
		.amdhsa_user_sgpr_private_segment_size 0
		.amdhsa_uses_dynamic_stack 0
		.amdhsa_system_sgpr_private_segment_wavefront_offset 0
		.amdhsa_system_sgpr_workgroup_id_x 1
		.amdhsa_system_sgpr_workgroup_id_y 0
		.amdhsa_system_sgpr_workgroup_id_z 0
		.amdhsa_system_sgpr_workgroup_info 0
		.amdhsa_system_vgpr_workitem_id 0
		.amdhsa_next_free_vgpr 1
		.amdhsa_next_free_sgpr 0
		.amdhsa_reserve_vcc 0
		.amdhsa_reserve_flat_scratch 0
		.amdhsa_float_round_mode_32 0
		.amdhsa_float_round_mode_16_64 0
		.amdhsa_float_denorm_mode_32 3
		.amdhsa_float_denorm_mode_16_64 3
		.amdhsa_dx10_clamp 1
		.amdhsa_ieee_mode 1
		.amdhsa_fp16_overflow 0
		.amdhsa_exception_fp_ieee_invalid_op 0
		.amdhsa_exception_fp_denorm_src 0
		.amdhsa_exception_fp_ieee_div_zero 0
		.amdhsa_exception_fp_ieee_overflow 0
		.amdhsa_exception_fp_ieee_underflow 0
		.amdhsa_exception_fp_ieee_inexact 0
		.amdhsa_exception_int_div_zero 0
	.end_amdhsa_kernel
	.section	.text._ZN7rocprim17ROCPRIM_400000_NS6detail17trampoline_kernelINS0_14default_configENS1_22reduce_config_selectorIbEEZNS1_11reduce_implILb1ES3_N6hipcub16HIPCUB_304000_NS22TransformInputIteratorIb7NonZeroIdEPdlEEPllNS8_6detail34convert_binary_result_type_wrapperINS8_3SumESD_lEEEE10hipError_tPvRmT1_T2_T3_mT4_P12ihipStream_tbEUlT_E1_NS1_11comp_targetILNS1_3genE0ELNS1_11target_archE4294967295ELNS1_3gpuE0ELNS1_3repE0EEENS1_30default_config_static_selectorELNS0_4arch9wavefront6targetE1EEEvSM_,"axG",@progbits,_ZN7rocprim17ROCPRIM_400000_NS6detail17trampoline_kernelINS0_14default_configENS1_22reduce_config_selectorIbEEZNS1_11reduce_implILb1ES3_N6hipcub16HIPCUB_304000_NS22TransformInputIteratorIb7NonZeroIdEPdlEEPllNS8_6detail34convert_binary_result_type_wrapperINS8_3SumESD_lEEEE10hipError_tPvRmT1_T2_T3_mT4_P12ihipStream_tbEUlT_E1_NS1_11comp_targetILNS1_3genE0ELNS1_11target_archE4294967295ELNS1_3gpuE0ELNS1_3repE0EEENS1_30default_config_static_selectorELNS0_4arch9wavefront6targetE1EEEvSM_,comdat
.Lfunc_end312:
	.size	_ZN7rocprim17ROCPRIM_400000_NS6detail17trampoline_kernelINS0_14default_configENS1_22reduce_config_selectorIbEEZNS1_11reduce_implILb1ES3_N6hipcub16HIPCUB_304000_NS22TransformInputIteratorIb7NonZeroIdEPdlEEPllNS8_6detail34convert_binary_result_type_wrapperINS8_3SumESD_lEEEE10hipError_tPvRmT1_T2_T3_mT4_P12ihipStream_tbEUlT_E1_NS1_11comp_targetILNS1_3genE0ELNS1_11target_archE4294967295ELNS1_3gpuE0ELNS1_3repE0EEENS1_30default_config_static_selectorELNS0_4arch9wavefront6targetE1EEEvSM_, .Lfunc_end312-_ZN7rocprim17ROCPRIM_400000_NS6detail17trampoline_kernelINS0_14default_configENS1_22reduce_config_selectorIbEEZNS1_11reduce_implILb1ES3_N6hipcub16HIPCUB_304000_NS22TransformInputIteratorIb7NonZeroIdEPdlEEPllNS8_6detail34convert_binary_result_type_wrapperINS8_3SumESD_lEEEE10hipError_tPvRmT1_T2_T3_mT4_P12ihipStream_tbEUlT_E1_NS1_11comp_targetILNS1_3genE0ELNS1_11target_archE4294967295ELNS1_3gpuE0ELNS1_3repE0EEENS1_30default_config_static_selectorELNS0_4arch9wavefront6targetE1EEEvSM_
                                        ; -- End function
	.set _ZN7rocprim17ROCPRIM_400000_NS6detail17trampoline_kernelINS0_14default_configENS1_22reduce_config_selectorIbEEZNS1_11reduce_implILb1ES3_N6hipcub16HIPCUB_304000_NS22TransformInputIteratorIb7NonZeroIdEPdlEEPllNS8_6detail34convert_binary_result_type_wrapperINS8_3SumESD_lEEEE10hipError_tPvRmT1_T2_T3_mT4_P12ihipStream_tbEUlT_E1_NS1_11comp_targetILNS1_3genE0ELNS1_11target_archE4294967295ELNS1_3gpuE0ELNS1_3repE0EEENS1_30default_config_static_selectorELNS0_4arch9wavefront6targetE1EEEvSM_.num_vgpr, 0
	.set _ZN7rocprim17ROCPRIM_400000_NS6detail17trampoline_kernelINS0_14default_configENS1_22reduce_config_selectorIbEEZNS1_11reduce_implILb1ES3_N6hipcub16HIPCUB_304000_NS22TransformInputIteratorIb7NonZeroIdEPdlEEPllNS8_6detail34convert_binary_result_type_wrapperINS8_3SumESD_lEEEE10hipError_tPvRmT1_T2_T3_mT4_P12ihipStream_tbEUlT_E1_NS1_11comp_targetILNS1_3genE0ELNS1_11target_archE4294967295ELNS1_3gpuE0ELNS1_3repE0EEENS1_30default_config_static_selectorELNS0_4arch9wavefront6targetE1EEEvSM_.num_agpr, 0
	.set _ZN7rocprim17ROCPRIM_400000_NS6detail17trampoline_kernelINS0_14default_configENS1_22reduce_config_selectorIbEEZNS1_11reduce_implILb1ES3_N6hipcub16HIPCUB_304000_NS22TransformInputIteratorIb7NonZeroIdEPdlEEPllNS8_6detail34convert_binary_result_type_wrapperINS8_3SumESD_lEEEE10hipError_tPvRmT1_T2_T3_mT4_P12ihipStream_tbEUlT_E1_NS1_11comp_targetILNS1_3genE0ELNS1_11target_archE4294967295ELNS1_3gpuE0ELNS1_3repE0EEENS1_30default_config_static_selectorELNS0_4arch9wavefront6targetE1EEEvSM_.numbered_sgpr, 0
	.set _ZN7rocprim17ROCPRIM_400000_NS6detail17trampoline_kernelINS0_14default_configENS1_22reduce_config_selectorIbEEZNS1_11reduce_implILb1ES3_N6hipcub16HIPCUB_304000_NS22TransformInputIteratorIb7NonZeroIdEPdlEEPllNS8_6detail34convert_binary_result_type_wrapperINS8_3SumESD_lEEEE10hipError_tPvRmT1_T2_T3_mT4_P12ihipStream_tbEUlT_E1_NS1_11comp_targetILNS1_3genE0ELNS1_11target_archE4294967295ELNS1_3gpuE0ELNS1_3repE0EEENS1_30default_config_static_selectorELNS0_4arch9wavefront6targetE1EEEvSM_.num_named_barrier, 0
	.set _ZN7rocprim17ROCPRIM_400000_NS6detail17trampoline_kernelINS0_14default_configENS1_22reduce_config_selectorIbEEZNS1_11reduce_implILb1ES3_N6hipcub16HIPCUB_304000_NS22TransformInputIteratorIb7NonZeroIdEPdlEEPllNS8_6detail34convert_binary_result_type_wrapperINS8_3SumESD_lEEEE10hipError_tPvRmT1_T2_T3_mT4_P12ihipStream_tbEUlT_E1_NS1_11comp_targetILNS1_3genE0ELNS1_11target_archE4294967295ELNS1_3gpuE0ELNS1_3repE0EEENS1_30default_config_static_selectorELNS0_4arch9wavefront6targetE1EEEvSM_.private_seg_size, 0
	.set _ZN7rocprim17ROCPRIM_400000_NS6detail17trampoline_kernelINS0_14default_configENS1_22reduce_config_selectorIbEEZNS1_11reduce_implILb1ES3_N6hipcub16HIPCUB_304000_NS22TransformInputIteratorIb7NonZeroIdEPdlEEPllNS8_6detail34convert_binary_result_type_wrapperINS8_3SumESD_lEEEE10hipError_tPvRmT1_T2_T3_mT4_P12ihipStream_tbEUlT_E1_NS1_11comp_targetILNS1_3genE0ELNS1_11target_archE4294967295ELNS1_3gpuE0ELNS1_3repE0EEENS1_30default_config_static_selectorELNS0_4arch9wavefront6targetE1EEEvSM_.uses_vcc, 0
	.set _ZN7rocprim17ROCPRIM_400000_NS6detail17trampoline_kernelINS0_14default_configENS1_22reduce_config_selectorIbEEZNS1_11reduce_implILb1ES3_N6hipcub16HIPCUB_304000_NS22TransformInputIteratorIb7NonZeroIdEPdlEEPllNS8_6detail34convert_binary_result_type_wrapperINS8_3SumESD_lEEEE10hipError_tPvRmT1_T2_T3_mT4_P12ihipStream_tbEUlT_E1_NS1_11comp_targetILNS1_3genE0ELNS1_11target_archE4294967295ELNS1_3gpuE0ELNS1_3repE0EEENS1_30default_config_static_selectorELNS0_4arch9wavefront6targetE1EEEvSM_.uses_flat_scratch, 0
	.set _ZN7rocprim17ROCPRIM_400000_NS6detail17trampoline_kernelINS0_14default_configENS1_22reduce_config_selectorIbEEZNS1_11reduce_implILb1ES3_N6hipcub16HIPCUB_304000_NS22TransformInputIteratorIb7NonZeroIdEPdlEEPllNS8_6detail34convert_binary_result_type_wrapperINS8_3SumESD_lEEEE10hipError_tPvRmT1_T2_T3_mT4_P12ihipStream_tbEUlT_E1_NS1_11comp_targetILNS1_3genE0ELNS1_11target_archE4294967295ELNS1_3gpuE0ELNS1_3repE0EEENS1_30default_config_static_selectorELNS0_4arch9wavefront6targetE1EEEvSM_.has_dyn_sized_stack, 0
	.set _ZN7rocprim17ROCPRIM_400000_NS6detail17trampoline_kernelINS0_14default_configENS1_22reduce_config_selectorIbEEZNS1_11reduce_implILb1ES3_N6hipcub16HIPCUB_304000_NS22TransformInputIteratorIb7NonZeroIdEPdlEEPllNS8_6detail34convert_binary_result_type_wrapperINS8_3SumESD_lEEEE10hipError_tPvRmT1_T2_T3_mT4_P12ihipStream_tbEUlT_E1_NS1_11comp_targetILNS1_3genE0ELNS1_11target_archE4294967295ELNS1_3gpuE0ELNS1_3repE0EEENS1_30default_config_static_selectorELNS0_4arch9wavefront6targetE1EEEvSM_.has_recursion, 0
	.set _ZN7rocprim17ROCPRIM_400000_NS6detail17trampoline_kernelINS0_14default_configENS1_22reduce_config_selectorIbEEZNS1_11reduce_implILb1ES3_N6hipcub16HIPCUB_304000_NS22TransformInputIteratorIb7NonZeroIdEPdlEEPllNS8_6detail34convert_binary_result_type_wrapperINS8_3SumESD_lEEEE10hipError_tPvRmT1_T2_T3_mT4_P12ihipStream_tbEUlT_E1_NS1_11comp_targetILNS1_3genE0ELNS1_11target_archE4294967295ELNS1_3gpuE0ELNS1_3repE0EEENS1_30default_config_static_selectorELNS0_4arch9wavefront6targetE1EEEvSM_.has_indirect_call, 0
	.section	.AMDGPU.csdata,"",@progbits
; Kernel info:
; codeLenInByte = 0
; TotalNumSgprs: 4
; NumVgprs: 0
; ScratchSize: 0
; MemoryBound: 0
; FloatMode: 240
; IeeeMode: 1
; LDSByteSize: 0 bytes/workgroup (compile time only)
; SGPRBlocks: 0
; VGPRBlocks: 0
; NumSGPRsForWavesPerEU: 4
; NumVGPRsForWavesPerEU: 1
; Occupancy: 10
; WaveLimiterHint : 0
; COMPUTE_PGM_RSRC2:SCRATCH_EN: 0
; COMPUTE_PGM_RSRC2:USER_SGPR: 6
; COMPUTE_PGM_RSRC2:TRAP_HANDLER: 0
; COMPUTE_PGM_RSRC2:TGID_X_EN: 1
; COMPUTE_PGM_RSRC2:TGID_Y_EN: 0
; COMPUTE_PGM_RSRC2:TGID_Z_EN: 0
; COMPUTE_PGM_RSRC2:TIDIG_COMP_CNT: 0
	.section	.text._ZN7rocprim17ROCPRIM_400000_NS6detail17trampoline_kernelINS0_14default_configENS1_22reduce_config_selectorIbEEZNS1_11reduce_implILb1ES3_N6hipcub16HIPCUB_304000_NS22TransformInputIteratorIb7NonZeroIdEPdlEEPllNS8_6detail34convert_binary_result_type_wrapperINS8_3SumESD_lEEEE10hipError_tPvRmT1_T2_T3_mT4_P12ihipStream_tbEUlT_E1_NS1_11comp_targetILNS1_3genE5ELNS1_11target_archE942ELNS1_3gpuE9ELNS1_3repE0EEENS1_30default_config_static_selectorELNS0_4arch9wavefront6targetE1EEEvSM_,"axG",@progbits,_ZN7rocprim17ROCPRIM_400000_NS6detail17trampoline_kernelINS0_14default_configENS1_22reduce_config_selectorIbEEZNS1_11reduce_implILb1ES3_N6hipcub16HIPCUB_304000_NS22TransformInputIteratorIb7NonZeroIdEPdlEEPllNS8_6detail34convert_binary_result_type_wrapperINS8_3SumESD_lEEEE10hipError_tPvRmT1_T2_T3_mT4_P12ihipStream_tbEUlT_E1_NS1_11comp_targetILNS1_3genE5ELNS1_11target_archE942ELNS1_3gpuE9ELNS1_3repE0EEENS1_30default_config_static_selectorELNS0_4arch9wavefront6targetE1EEEvSM_,comdat
	.protected	_ZN7rocprim17ROCPRIM_400000_NS6detail17trampoline_kernelINS0_14default_configENS1_22reduce_config_selectorIbEEZNS1_11reduce_implILb1ES3_N6hipcub16HIPCUB_304000_NS22TransformInputIteratorIb7NonZeroIdEPdlEEPllNS8_6detail34convert_binary_result_type_wrapperINS8_3SumESD_lEEEE10hipError_tPvRmT1_T2_T3_mT4_P12ihipStream_tbEUlT_E1_NS1_11comp_targetILNS1_3genE5ELNS1_11target_archE942ELNS1_3gpuE9ELNS1_3repE0EEENS1_30default_config_static_selectorELNS0_4arch9wavefront6targetE1EEEvSM_ ; -- Begin function _ZN7rocprim17ROCPRIM_400000_NS6detail17trampoline_kernelINS0_14default_configENS1_22reduce_config_selectorIbEEZNS1_11reduce_implILb1ES3_N6hipcub16HIPCUB_304000_NS22TransformInputIteratorIb7NonZeroIdEPdlEEPllNS8_6detail34convert_binary_result_type_wrapperINS8_3SumESD_lEEEE10hipError_tPvRmT1_T2_T3_mT4_P12ihipStream_tbEUlT_E1_NS1_11comp_targetILNS1_3genE5ELNS1_11target_archE942ELNS1_3gpuE9ELNS1_3repE0EEENS1_30default_config_static_selectorELNS0_4arch9wavefront6targetE1EEEvSM_
	.globl	_ZN7rocprim17ROCPRIM_400000_NS6detail17trampoline_kernelINS0_14default_configENS1_22reduce_config_selectorIbEEZNS1_11reduce_implILb1ES3_N6hipcub16HIPCUB_304000_NS22TransformInputIteratorIb7NonZeroIdEPdlEEPllNS8_6detail34convert_binary_result_type_wrapperINS8_3SumESD_lEEEE10hipError_tPvRmT1_T2_T3_mT4_P12ihipStream_tbEUlT_E1_NS1_11comp_targetILNS1_3genE5ELNS1_11target_archE942ELNS1_3gpuE9ELNS1_3repE0EEENS1_30default_config_static_selectorELNS0_4arch9wavefront6targetE1EEEvSM_
	.p2align	8
	.type	_ZN7rocprim17ROCPRIM_400000_NS6detail17trampoline_kernelINS0_14default_configENS1_22reduce_config_selectorIbEEZNS1_11reduce_implILb1ES3_N6hipcub16HIPCUB_304000_NS22TransformInputIteratorIb7NonZeroIdEPdlEEPllNS8_6detail34convert_binary_result_type_wrapperINS8_3SumESD_lEEEE10hipError_tPvRmT1_T2_T3_mT4_P12ihipStream_tbEUlT_E1_NS1_11comp_targetILNS1_3genE5ELNS1_11target_archE942ELNS1_3gpuE9ELNS1_3repE0EEENS1_30default_config_static_selectorELNS0_4arch9wavefront6targetE1EEEvSM_,@function
_ZN7rocprim17ROCPRIM_400000_NS6detail17trampoline_kernelINS0_14default_configENS1_22reduce_config_selectorIbEEZNS1_11reduce_implILb1ES3_N6hipcub16HIPCUB_304000_NS22TransformInputIteratorIb7NonZeroIdEPdlEEPllNS8_6detail34convert_binary_result_type_wrapperINS8_3SumESD_lEEEE10hipError_tPvRmT1_T2_T3_mT4_P12ihipStream_tbEUlT_E1_NS1_11comp_targetILNS1_3genE5ELNS1_11target_archE942ELNS1_3gpuE9ELNS1_3repE0EEENS1_30default_config_static_selectorELNS0_4arch9wavefront6targetE1EEEvSM_: ; @_ZN7rocprim17ROCPRIM_400000_NS6detail17trampoline_kernelINS0_14default_configENS1_22reduce_config_selectorIbEEZNS1_11reduce_implILb1ES3_N6hipcub16HIPCUB_304000_NS22TransformInputIteratorIb7NonZeroIdEPdlEEPllNS8_6detail34convert_binary_result_type_wrapperINS8_3SumESD_lEEEE10hipError_tPvRmT1_T2_T3_mT4_P12ihipStream_tbEUlT_E1_NS1_11comp_targetILNS1_3genE5ELNS1_11target_archE942ELNS1_3gpuE9ELNS1_3repE0EEENS1_30default_config_static_selectorELNS0_4arch9wavefront6targetE1EEEvSM_
; %bb.0:
	.section	.rodata,"a",@progbits
	.p2align	6, 0x0
	.amdhsa_kernel _ZN7rocprim17ROCPRIM_400000_NS6detail17trampoline_kernelINS0_14default_configENS1_22reduce_config_selectorIbEEZNS1_11reduce_implILb1ES3_N6hipcub16HIPCUB_304000_NS22TransformInputIteratorIb7NonZeroIdEPdlEEPllNS8_6detail34convert_binary_result_type_wrapperINS8_3SumESD_lEEEE10hipError_tPvRmT1_T2_T3_mT4_P12ihipStream_tbEUlT_E1_NS1_11comp_targetILNS1_3genE5ELNS1_11target_archE942ELNS1_3gpuE9ELNS1_3repE0EEENS1_30default_config_static_selectorELNS0_4arch9wavefront6targetE1EEEvSM_
		.amdhsa_group_segment_fixed_size 0
		.amdhsa_private_segment_fixed_size 0
		.amdhsa_kernarg_size 56
		.amdhsa_user_sgpr_count 6
		.amdhsa_user_sgpr_private_segment_buffer 1
		.amdhsa_user_sgpr_dispatch_ptr 0
		.amdhsa_user_sgpr_queue_ptr 0
		.amdhsa_user_sgpr_kernarg_segment_ptr 1
		.amdhsa_user_sgpr_dispatch_id 0
		.amdhsa_user_sgpr_flat_scratch_init 0
		.amdhsa_user_sgpr_private_segment_size 0
		.amdhsa_uses_dynamic_stack 0
		.amdhsa_system_sgpr_private_segment_wavefront_offset 0
		.amdhsa_system_sgpr_workgroup_id_x 1
		.amdhsa_system_sgpr_workgroup_id_y 0
		.amdhsa_system_sgpr_workgroup_id_z 0
		.amdhsa_system_sgpr_workgroup_info 0
		.amdhsa_system_vgpr_workitem_id 0
		.amdhsa_next_free_vgpr 1
		.amdhsa_next_free_sgpr 0
		.amdhsa_reserve_vcc 0
		.amdhsa_reserve_flat_scratch 0
		.amdhsa_float_round_mode_32 0
		.amdhsa_float_round_mode_16_64 0
		.amdhsa_float_denorm_mode_32 3
		.amdhsa_float_denorm_mode_16_64 3
		.amdhsa_dx10_clamp 1
		.amdhsa_ieee_mode 1
		.amdhsa_fp16_overflow 0
		.amdhsa_exception_fp_ieee_invalid_op 0
		.amdhsa_exception_fp_denorm_src 0
		.amdhsa_exception_fp_ieee_div_zero 0
		.amdhsa_exception_fp_ieee_overflow 0
		.amdhsa_exception_fp_ieee_underflow 0
		.amdhsa_exception_fp_ieee_inexact 0
		.amdhsa_exception_int_div_zero 0
	.end_amdhsa_kernel
	.section	.text._ZN7rocprim17ROCPRIM_400000_NS6detail17trampoline_kernelINS0_14default_configENS1_22reduce_config_selectorIbEEZNS1_11reduce_implILb1ES3_N6hipcub16HIPCUB_304000_NS22TransformInputIteratorIb7NonZeroIdEPdlEEPllNS8_6detail34convert_binary_result_type_wrapperINS8_3SumESD_lEEEE10hipError_tPvRmT1_T2_T3_mT4_P12ihipStream_tbEUlT_E1_NS1_11comp_targetILNS1_3genE5ELNS1_11target_archE942ELNS1_3gpuE9ELNS1_3repE0EEENS1_30default_config_static_selectorELNS0_4arch9wavefront6targetE1EEEvSM_,"axG",@progbits,_ZN7rocprim17ROCPRIM_400000_NS6detail17trampoline_kernelINS0_14default_configENS1_22reduce_config_selectorIbEEZNS1_11reduce_implILb1ES3_N6hipcub16HIPCUB_304000_NS22TransformInputIteratorIb7NonZeroIdEPdlEEPllNS8_6detail34convert_binary_result_type_wrapperINS8_3SumESD_lEEEE10hipError_tPvRmT1_T2_T3_mT4_P12ihipStream_tbEUlT_E1_NS1_11comp_targetILNS1_3genE5ELNS1_11target_archE942ELNS1_3gpuE9ELNS1_3repE0EEENS1_30default_config_static_selectorELNS0_4arch9wavefront6targetE1EEEvSM_,comdat
.Lfunc_end313:
	.size	_ZN7rocprim17ROCPRIM_400000_NS6detail17trampoline_kernelINS0_14default_configENS1_22reduce_config_selectorIbEEZNS1_11reduce_implILb1ES3_N6hipcub16HIPCUB_304000_NS22TransformInputIteratorIb7NonZeroIdEPdlEEPllNS8_6detail34convert_binary_result_type_wrapperINS8_3SumESD_lEEEE10hipError_tPvRmT1_T2_T3_mT4_P12ihipStream_tbEUlT_E1_NS1_11comp_targetILNS1_3genE5ELNS1_11target_archE942ELNS1_3gpuE9ELNS1_3repE0EEENS1_30default_config_static_selectorELNS0_4arch9wavefront6targetE1EEEvSM_, .Lfunc_end313-_ZN7rocprim17ROCPRIM_400000_NS6detail17trampoline_kernelINS0_14default_configENS1_22reduce_config_selectorIbEEZNS1_11reduce_implILb1ES3_N6hipcub16HIPCUB_304000_NS22TransformInputIteratorIb7NonZeroIdEPdlEEPllNS8_6detail34convert_binary_result_type_wrapperINS8_3SumESD_lEEEE10hipError_tPvRmT1_T2_T3_mT4_P12ihipStream_tbEUlT_E1_NS1_11comp_targetILNS1_3genE5ELNS1_11target_archE942ELNS1_3gpuE9ELNS1_3repE0EEENS1_30default_config_static_selectorELNS0_4arch9wavefront6targetE1EEEvSM_
                                        ; -- End function
	.set _ZN7rocprim17ROCPRIM_400000_NS6detail17trampoline_kernelINS0_14default_configENS1_22reduce_config_selectorIbEEZNS1_11reduce_implILb1ES3_N6hipcub16HIPCUB_304000_NS22TransformInputIteratorIb7NonZeroIdEPdlEEPllNS8_6detail34convert_binary_result_type_wrapperINS8_3SumESD_lEEEE10hipError_tPvRmT1_T2_T3_mT4_P12ihipStream_tbEUlT_E1_NS1_11comp_targetILNS1_3genE5ELNS1_11target_archE942ELNS1_3gpuE9ELNS1_3repE0EEENS1_30default_config_static_selectorELNS0_4arch9wavefront6targetE1EEEvSM_.num_vgpr, 0
	.set _ZN7rocprim17ROCPRIM_400000_NS6detail17trampoline_kernelINS0_14default_configENS1_22reduce_config_selectorIbEEZNS1_11reduce_implILb1ES3_N6hipcub16HIPCUB_304000_NS22TransformInputIteratorIb7NonZeroIdEPdlEEPllNS8_6detail34convert_binary_result_type_wrapperINS8_3SumESD_lEEEE10hipError_tPvRmT1_T2_T3_mT4_P12ihipStream_tbEUlT_E1_NS1_11comp_targetILNS1_3genE5ELNS1_11target_archE942ELNS1_3gpuE9ELNS1_3repE0EEENS1_30default_config_static_selectorELNS0_4arch9wavefront6targetE1EEEvSM_.num_agpr, 0
	.set _ZN7rocprim17ROCPRIM_400000_NS6detail17trampoline_kernelINS0_14default_configENS1_22reduce_config_selectorIbEEZNS1_11reduce_implILb1ES3_N6hipcub16HIPCUB_304000_NS22TransformInputIteratorIb7NonZeroIdEPdlEEPllNS8_6detail34convert_binary_result_type_wrapperINS8_3SumESD_lEEEE10hipError_tPvRmT1_T2_T3_mT4_P12ihipStream_tbEUlT_E1_NS1_11comp_targetILNS1_3genE5ELNS1_11target_archE942ELNS1_3gpuE9ELNS1_3repE0EEENS1_30default_config_static_selectorELNS0_4arch9wavefront6targetE1EEEvSM_.numbered_sgpr, 0
	.set _ZN7rocprim17ROCPRIM_400000_NS6detail17trampoline_kernelINS0_14default_configENS1_22reduce_config_selectorIbEEZNS1_11reduce_implILb1ES3_N6hipcub16HIPCUB_304000_NS22TransformInputIteratorIb7NonZeroIdEPdlEEPllNS8_6detail34convert_binary_result_type_wrapperINS8_3SumESD_lEEEE10hipError_tPvRmT1_T2_T3_mT4_P12ihipStream_tbEUlT_E1_NS1_11comp_targetILNS1_3genE5ELNS1_11target_archE942ELNS1_3gpuE9ELNS1_3repE0EEENS1_30default_config_static_selectorELNS0_4arch9wavefront6targetE1EEEvSM_.num_named_barrier, 0
	.set _ZN7rocprim17ROCPRIM_400000_NS6detail17trampoline_kernelINS0_14default_configENS1_22reduce_config_selectorIbEEZNS1_11reduce_implILb1ES3_N6hipcub16HIPCUB_304000_NS22TransformInputIteratorIb7NonZeroIdEPdlEEPllNS8_6detail34convert_binary_result_type_wrapperINS8_3SumESD_lEEEE10hipError_tPvRmT1_T2_T3_mT4_P12ihipStream_tbEUlT_E1_NS1_11comp_targetILNS1_3genE5ELNS1_11target_archE942ELNS1_3gpuE9ELNS1_3repE0EEENS1_30default_config_static_selectorELNS0_4arch9wavefront6targetE1EEEvSM_.private_seg_size, 0
	.set _ZN7rocprim17ROCPRIM_400000_NS6detail17trampoline_kernelINS0_14default_configENS1_22reduce_config_selectorIbEEZNS1_11reduce_implILb1ES3_N6hipcub16HIPCUB_304000_NS22TransformInputIteratorIb7NonZeroIdEPdlEEPllNS8_6detail34convert_binary_result_type_wrapperINS8_3SumESD_lEEEE10hipError_tPvRmT1_T2_T3_mT4_P12ihipStream_tbEUlT_E1_NS1_11comp_targetILNS1_3genE5ELNS1_11target_archE942ELNS1_3gpuE9ELNS1_3repE0EEENS1_30default_config_static_selectorELNS0_4arch9wavefront6targetE1EEEvSM_.uses_vcc, 0
	.set _ZN7rocprim17ROCPRIM_400000_NS6detail17trampoline_kernelINS0_14default_configENS1_22reduce_config_selectorIbEEZNS1_11reduce_implILb1ES3_N6hipcub16HIPCUB_304000_NS22TransformInputIteratorIb7NonZeroIdEPdlEEPllNS8_6detail34convert_binary_result_type_wrapperINS8_3SumESD_lEEEE10hipError_tPvRmT1_T2_T3_mT4_P12ihipStream_tbEUlT_E1_NS1_11comp_targetILNS1_3genE5ELNS1_11target_archE942ELNS1_3gpuE9ELNS1_3repE0EEENS1_30default_config_static_selectorELNS0_4arch9wavefront6targetE1EEEvSM_.uses_flat_scratch, 0
	.set _ZN7rocprim17ROCPRIM_400000_NS6detail17trampoline_kernelINS0_14default_configENS1_22reduce_config_selectorIbEEZNS1_11reduce_implILb1ES3_N6hipcub16HIPCUB_304000_NS22TransformInputIteratorIb7NonZeroIdEPdlEEPllNS8_6detail34convert_binary_result_type_wrapperINS8_3SumESD_lEEEE10hipError_tPvRmT1_T2_T3_mT4_P12ihipStream_tbEUlT_E1_NS1_11comp_targetILNS1_3genE5ELNS1_11target_archE942ELNS1_3gpuE9ELNS1_3repE0EEENS1_30default_config_static_selectorELNS0_4arch9wavefront6targetE1EEEvSM_.has_dyn_sized_stack, 0
	.set _ZN7rocprim17ROCPRIM_400000_NS6detail17trampoline_kernelINS0_14default_configENS1_22reduce_config_selectorIbEEZNS1_11reduce_implILb1ES3_N6hipcub16HIPCUB_304000_NS22TransformInputIteratorIb7NonZeroIdEPdlEEPllNS8_6detail34convert_binary_result_type_wrapperINS8_3SumESD_lEEEE10hipError_tPvRmT1_T2_T3_mT4_P12ihipStream_tbEUlT_E1_NS1_11comp_targetILNS1_3genE5ELNS1_11target_archE942ELNS1_3gpuE9ELNS1_3repE0EEENS1_30default_config_static_selectorELNS0_4arch9wavefront6targetE1EEEvSM_.has_recursion, 0
	.set _ZN7rocprim17ROCPRIM_400000_NS6detail17trampoline_kernelINS0_14default_configENS1_22reduce_config_selectorIbEEZNS1_11reduce_implILb1ES3_N6hipcub16HIPCUB_304000_NS22TransformInputIteratorIb7NonZeroIdEPdlEEPllNS8_6detail34convert_binary_result_type_wrapperINS8_3SumESD_lEEEE10hipError_tPvRmT1_T2_T3_mT4_P12ihipStream_tbEUlT_E1_NS1_11comp_targetILNS1_3genE5ELNS1_11target_archE942ELNS1_3gpuE9ELNS1_3repE0EEENS1_30default_config_static_selectorELNS0_4arch9wavefront6targetE1EEEvSM_.has_indirect_call, 0
	.section	.AMDGPU.csdata,"",@progbits
; Kernel info:
; codeLenInByte = 0
; TotalNumSgprs: 4
; NumVgprs: 0
; ScratchSize: 0
; MemoryBound: 0
; FloatMode: 240
; IeeeMode: 1
; LDSByteSize: 0 bytes/workgroup (compile time only)
; SGPRBlocks: 0
; VGPRBlocks: 0
; NumSGPRsForWavesPerEU: 4
; NumVGPRsForWavesPerEU: 1
; Occupancy: 10
; WaveLimiterHint : 0
; COMPUTE_PGM_RSRC2:SCRATCH_EN: 0
; COMPUTE_PGM_RSRC2:USER_SGPR: 6
; COMPUTE_PGM_RSRC2:TRAP_HANDLER: 0
; COMPUTE_PGM_RSRC2:TGID_X_EN: 1
; COMPUTE_PGM_RSRC2:TGID_Y_EN: 0
; COMPUTE_PGM_RSRC2:TGID_Z_EN: 0
; COMPUTE_PGM_RSRC2:TIDIG_COMP_CNT: 0
	.section	.text._ZN7rocprim17ROCPRIM_400000_NS6detail17trampoline_kernelINS0_14default_configENS1_22reduce_config_selectorIbEEZNS1_11reduce_implILb1ES3_N6hipcub16HIPCUB_304000_NS22TransformInputIteratorIb7NonZeroIdEPdlEEPllNS8_6detail34convert_binary_result_type_wrapperINS8_3SumESD_lEEEE10hipError_tPvRmT1_T2_T3_mT4_P12ihipStream_tbEUlT_E1_NS1_11comp_targetILNS1_3genE4ELNS1_11target_archE910ELNS1_3gpuE8ELNS1_3repE0EEENS1_30default_config_static_selectorELNS0_4arch9wavefront6targetE1EEEvSM_,"axG",@progbits,_ZN7rocprim17ROCPRIM_400000_NS6detail17trampoline_kernelINS0_14default_configENS1_22reduce_config_selectorIbEEZNS1_11reduce_implILb1ES3_N6hipcub16HIPCUB_304000_NS22TransformInputIteratorIb7NonZeroIdEPdlEEPllNS8_6detail34convert_binary_result_type_wrapperINS8_3SumESD_lEEEE10hipError_tPvRmT1_T2_T3_mT4_P12ihipStream_tbEUlT_E1_NS1_11comp_targetILNS1_3genE4ELNS1_11target_archE910ELNS1_3gpuE8ELNS1_3repE0EEENS1_30default_config_static_selectorELNS0_4arch9wavefront6targetE1EEEvSM_,comdat
	.protected	_ZN7rocprim17ROCPRIM_400000_NS6detail17trampoline_kernelINS0_14default_configENS1_22reduce_config_selectorIbEEZNS1_11reduce_implILb1ES3_N6hipcub16HIPCUB_304000_NS22TransformInputIteratorIb7NonZeroIdEPdlEEPllNS8_6detail34convert_binary_result_type_wrapperINS8_3SumESD_lEEEE10hipError_tPvRmT1_T2_T3_mT4_P12ihipStream_tbEUlT_E1_NS1_11comp_targetILNS1_3genE4ELNS1_11target_archE910ELNS1_3gpuE8ELNS1_3repE0EEENS1_30default_config_static_selectorELNS0_4arch9wavefront6targetE1EEEvSM_ ; -- Begin function _ZN7rocprim17ROCPRIM_400000_NS6detail17trampoline_kernelINS0_14default_configENS1_22reduce_config_selectorIbEEZNS1_11reduce_implILb1ES3_N6hipcub16HIPCUB_304000_NS22TransformInputIteratorIb7NonZeroIdEPdlEEPllNS8_6detail34convert_binary_result_type_wrapperINS8_3SumESD_lEEEE10hipError_tPvRmT1_T2_T3_mT4_P12ihipStream_tbEUlT_E1_NS1_11comp_targetILNS1_3genE4ELNS1_11target_archE910ELNS1_3gpuE8ELNS1_3repE0EEENS1_30default_config_static_selectorELNS0_4arch9wavefront6targetE1EEEvSM_
	.globl	_ZN7rocprim17ROCPRIM_400000_NS6detail17trampoline_kernelINS0_14default_configENS1_22reduce_config_selectorIbEEZNS1_11reduce_implILb1ES3_N6hipcub16HIPCUB_304000_NS22TransformInputIteratorIb7NonZeroIdEPdlEEPllNS8_6detail34convert_binary_result_type_wrapperINS8_3SumESD_lEEEE10hipError_tPvRmT1_T2_T3_mT4_P12ihipStream_tbEUlT_E1_NS1_11comp_targetILNS1_3genE4ELNS1_11target_archE910ELNS1_3gpuE8ELNS1_3repE0EEENS1_30default_config_static_selectorELNS0_4arch9wavefront6targetE1EEEvSM_
	.p2align	8
	.type	_ZN7rocprim17ROCPRIM_400000_NS6detail17trampoline_kernelINS0_14default_configENS1_22reduce_config_selectorIbEEZNS1_11reduce_implILb1ES3_N6hipcub16HIPCUB_304000_NS22TransformInputIteratorIb7NonZeroIdEPdlEEPllNS8_6detail34convert_binary_result_type_wrapperINS8_3SumESD_lEEEE10hipError_tPvRmT1_T2_T3_mT4_P12ihipStream_tbEUlT_E1_NS1_11comp_targetILNS1_3genE4ELNS1_11target_archE910ELNS1_3gpuE8ELNS1_3repE0EEENS1_30default_config_static_selectorELNS0_4arch9wavefront6targetE1EEEvSM_,@function
_ZN7rocprim17ROCPRIM_400000_NS6detail17trampoline_kernelINS0_14default_configENS1_22reduce_config_selectorIbEEZNS1_11reduce_implILb1ES3_N6hipcub16HIPCUB_304000_NS22TransformInputIteratorIb7NonZeroIdEPdlEEPllNS8_6detail34convert_binary_result_type_wrapperINS8_3SumESD_lEEEE10hipError_tPvRmT1_T2_T3_mT4_P12ihipStream_tbEUlT_E1_NS1_11comp_targetILNS1_3genE4ELNS1_11target_archE910ELNS1_3gpuE8ELNS1_3repE0EEENS1_30default_config_static_selectorELNS0_4arch9wavefront6targetE1EEEvSM_: ; @_ZN7rocprim17ROCPRIM_400000_NS6detail17trampoline_kernelINS0_14default_configENS1_22reduce_config_selectorIbEEZNS1_11reduce_implILb1ES3_N6hipcub16HIPCUB_304000_NS22TransformInputIteratorIb7NonZeroIdEPdlEEPllNS8_6detail34convert_binary_result_type_wrapperINS8_3SumESD_lEEEE10hipError_tPvRmT1_T2_T3_mT4_P12ihipStream_tbEUlT_E1_NS1_11comp_targetILNS1_3genE4ELNS1_11target_archE910ELNS1_3gpuE8ELNS1_3repE0EEENS1_30default_config_static_selectorELNS0_4arch9wavefront6targetE1EEEvSM_
; %bb.0:
	.section	.rodata,"a",@progbits
	.p2align	6, 0x0
	.amdhsa_kernel _ZN7rocprim17ROCPRIM_400000_NS6detail17trampoline_kernelINS0_14default_configENS1_22reduce_config_selectorIbEEZNS1_11reduce_implILb1ES3_N6hipcub16HIPCUB_304000_NS22TransformInputIteratorIb7NonZeroIdEPdlEEPllNS8_6detail34convert_binary_result_type_wrapperINS8_3SumESD_lEEEE10hipError_tPvRmT1_T2_T3_mT4_P12ihipStream_tbEUlT_E1_NS1_11comp_targetILNS1_3genE4ELNS1_11target_archE910ELNS1_3gpuE8ELNS1_3repE0EEENS1_30default_config_static_selectorELNS0_4arch9wavefront6targetE1EEEvSM_
		.amdhsa_group_segment_fixed_size 0
		.amdhsa_private_segment_fixed_size 0
		.amdhsa_kernarg_size 56
		.amdhsa_user_sgpr_count 6
		.amdhsa_user_sgpr_private_segment_buffer 1
		.amdhsa_user_sgpr_dispatch_ptr 0
		.amdhsa_user_sgpr_queue_ptr 0
		.amdhsa_user_sgpr_kernarg_segment_ptr 1
		.amdhsa_user_sgpr_dispatch_id 0
		.amdhsa_user_sgpr_flat_scratch_init 0
		.amdhsa_user_sgpr_private_segment_size 0
		.amdhsa_uses_dynamic_stack 0
		.amdhsa_system_sgpr_private_segment_wavefront_offset 0
		.amdhsa_system_sgpr_workgroup_id_x 1
		.amdhsa_system_sgpr_workgroup_id_y 0
		.amdhsa_system_sgpr_workgroup_id_z 0
		.amdhsa_system_sgpr_workgroup_info 0
		.amdhsa_system_vgpr_workitem_id 0
		.amdhsa_next_free_vgpr 1
		.amdhsa_next_free_sgpr 0
		.amdhsa_reserve_vcc 0
		.amdhsa_reserve_flat_scratch 0
		.amdhsa_float_round_mode_32 0
		.amdhsa_float_round_mode_16_64 0
		.amdhsa_float_denorm_mode_32 3
		.amdhsa_float_denorm_mode_16_64 3
		.amdhsa_dx10_clamp 1
		.amdhsa_ieee_mode 1
		.amdhsa_fp16_overflow 0
		.amdhsa_exception_fp_ieee_invalid_op 0
		.amdhsa_exception_fp_denorm_src 0
		.amdhsa_exception_fp_ieee_div_zero 0
		.amdhsa_exception_fp_ieee_overflow 0
		.amdhsa_exception_fp_ieee_underflow 0
		.amdhsa_exception_fp_ieee_inexact 0
		.amdhsa_exception_int_div_zero 0
	.end_amdhsa_kernel
	.section	.text._ZN7rocprim17ROCPRIM_400000_NS6detail17trampoline_kernelINS0_14default_configENS1_22reduce_config_selectorIbEEZNS1_11reduce_implILb1ES3_N6hipcub16HIPCUB_304000_NS22TransformInputIteratorIb7NonZeroIdEPdlEEPllNS8_6detail34convert_binary_result_type_wrapperINS8_3SumESD_lEEEE10hipError_tPvRmT1_T2_T3_mT4_P12ihipStream_tbEUlT_E1_NS1_11comp_targetILNS1_3genE4ELNS1_11target_archE910ELNS1_3gpuE8ELNS1_3repE0EEENS1_30default_config_static_selectorELNS0_4arch9wavefront6targetE1EEEvSM_,"axG",@progbits,_ZN7rocprim17ROCPRIM_400000_NS6detail17trampoline_kernelINS0_14default_configENS1_22reduce_config_selectorIbEEZNS1_11reduce_implILb1ES3_N6hipcub16HIPCUB_304000_NS22TransformInputIteratorIb7NonZeroIdEPdlEEPllNS8_6detail34convert_binary_result_type_wrapperINS8_3SumESD_lEEEE10hipError_tPvRmT1_T2_T3_mT4_P12ihipStream_tbEUlT_E1_NS1_11comp_targetILNS1_3genE4ELNS1_11target_archE910ELNS1_3gpuE8ELNS1_3repE0EEENS1_30default_config_static_selectorELNS0_4arch9wavefront6targetE1EEEvSM_,comdat
.Lfunc_end314:
	.size	_ZN7rocprim17ROCPRIM_400000_NS6detail17trampoline_kernelINS0_14default_configENS1_22reduce_config_selectorIbEEZNS1_11reduce_implILb1ES3_N6hipcub16HIPCUB_304000_NS22TransformInputIteratorIb7NonZeroIdEPdlEEPllNS8_6detail34convert_binary_result_type_wrapperINS8_3SumESD_lEEEE10hipError_tPvRmT1_T2_T3_mT4_P12ihipStream_tbEUlT_E1_NS1_11comp_targetILNS1_3genE4ELNS1_11target_archE910ELNS1_3gpuE8ELNS1_3repE0EEENS1_30default_config_static_selectorELNS0_4arch9wavefront6targetE1EEEvSM_, .Lfunc_end314-_ZN7rocprim17ROCPRIM_400000_NS6detail17trampoline_kernelINS0_14default_configENS1_22reduce_config_selectorIbEEZNS1_11reduce_implILb1ES3_N6hipcub16HIPCUB_304000_NS22TransformInputIteratorIb7NonZeroIdEPdlEEPllNS8_6detail34convert_binary_result_type_wrapperINS8_3SumESD_lEEEE10hipError_tPvRmT1_T2_T3_mT4_P12ihipStream_tbEUlT_E1_NS1_11comp_targetILNS1_3genE4ELNS1_11target_archE910ELNS1_3gpuE8ELNS1_3repE0EEENS1_30default_config_static_selectorELNS0_4arch9wavefront6targetE1EEEvSM_
                                        ; -- End function
	.set _ZN7rocprim17ROCPRIM_400000_NS6detail17trampoline_kernelINS0_14default_configENS1_22reduce_config_selectorIbEEZNS1_11reduce_implILb1ES3_N6hipcub16HIPCUB_304000_NS22TransformInputIteratorIb7NonZeroIdEPdlEEPllNS8_6detail34convert_binary_result_type_wrapperINS8_3SumESD_lEEEE10hipError_tPvRmT1_T2_T3_mT4_P12ihipStream_tbEUlT_E1_NS1_11comp_targetILNS1_3genE4ELNS1_11target_archE910ELNS1_3gpuE8ELNS1_3repE0EEENS1_30default_config_static_selectorELNS0_4arch9wavefront6targetE1EEEvSM_.num_vgpr, 0
	.set _ZN7rocprim17ROCPRIM_400000_NS6detail17trampoline_kernelINS0_14default_configENS1_22reduce_config_selectorIbEEZNS1_11reduce_implILb1ES3_N6hipcub16HIPCUB_304000_NS22TransformInputIteratorIb7NonZeroIdEPdlEEPllNS8_6detail34convert_binary_result_type_wrapperINS8_3SumESD_lEEEE10hipError_tPvRmT1_T2_T3_mT4_P12ihipStream_tbEUlT_E1_NS1_11comp_targetILNS1_3genE4ELNS1_11target_archE910ELNS1_3gpuE8ELNS1_3repE0EEENS1_30default_config_static_selectorELNS0_4arch9wavefront6targetE1EEEvSM_.num_agpr, 0
	.set _ZN7rocprim17ROCPRIM_400000_NS6detail17trampoline_kernelINS0_14default_configENS1_22reduce_config_selectorIbEEZNS1_11reduce_implILb1ES3_N6hipcub16HIPCUB_304000_NS22TransformInputIteratorIb7NonZeroIdEPdlEEPllNS8_6detail34convert_binary_result_type_wrapperINS8_3SumESD_lEEEE10hipError_tPvRmT1_T2_T3_mT4_P12ihipStream_tbEUlT_E1_NS1_11comp_targetILNS1_3genE4ELNS1_11target_archE910ELNS1_3gpuE8ELNS1_3repE0EEENS1_30default_config_static_selectorELNS0_4arch9wavefront6targetE1EEEvSM_.numbered_sgpr, 0
	.set _ZN7rocprim17ROCPRIM_400000_NS6detail17trampoline_kernelINS0_14default_configENS1_22reduce_config_selectorIbEEZNS1_11reduce_implILb1ES3_N6hipcub16HIPCUB_304000_NS22TransformInputIteratorIb7NonZeroIdEPdlEEPllNS8_6detail34convert_binary_result_type_wrapperINS8_3SumESD_lEEEE10hipError_tPvRmT1_T2_T3_mT4_P12ihipStream_tbEUlT_E1_NS1_11comp_targetILNS1_3genE4ELNS1_11target_archE910ELNS1_3gpuE8ELNS1_3repE0EEENS1_30default_config_static_selectorELNS0_4arch9wavefront6targetE1EEEvSM_.num_named_barrier, 0
	.set _ZN7rocprim17ROCPRIM_400000_NS6detail17trampoline_kernelINS0_14default_configENS1_22reduce_config_selectorIbEEZNS1_11reduce_implILb1ES3_N6hipcub16HIPCUB_304000_NS22TransformInputIteratorIb7NonZeroIdEPdlEEPllNS8_6detail34convert_binary_result_type_wrapperINS8_3SumESD_lEEEE10hipError_tPvRmT1_T2_T3_mT4_P12ihipStream_tbEUlT_E1_NS1_11comp_targetILNS1_3genE4ELNS1_11target_archE910ELNS1_3gpuE8ELNS1_3repE0EEENS1_30default_config_static_selectorELNS0_4arch9wavefront6targetE1EEEvSM_.private_seg_size, 0
	.set _ZN7rocprim17ROCPRIM_400000_NS6detail17trampoline_kernelINS0_14default_configENS1_22reduce_config_selectorIbEEZNS1_11reduce_implILb1ES3_N6hipcub16HIPCUB_304000_NS22TransformInputIteratorIb7NonZeroIdEPdlEEPllNS8_6detail34convert_binary_result_type_wrapperINS8_3SumESD_lEEEE10hipError_tPvRmT1_T2_T3_mT4_P12ihipStream_tbEUlT_E1_NS1_11comp_targetILNS1_3genE4ELNS1_11target_archE910ELNS1_3gpuE8ELNS1_3repE0EEENS1_30default_config_static_selectorELNS0_4arch9wavefront6targetE1EEEvSM_.uses_vcc, 0
	.set _ZN7rocprim17ROCPRIM_400000_NS6detail17trampoline_kernelINS0_14default_configENS1_22reduce_config_selectorIbEEZNS1_11reduce_implILb1ES3_N6hipcub16HIPCUB_304000_NS22TransformInputIteratorIb7NonZeroIdEPdlEEPllNS8_6detail34convert_binary_result_type_wrapperINS8_3SumESD_lEEEE10hipError_tPvRmT1_T2_T3_mT4_P12ihipStream_tbEUlT_E1_NS1_11comp_targetILNS1_3genE4ELNS1_11target_archE910ELNS1_3gpuE8ELNS1_3repE0EEENS1_30default_config_static_selectorELNS0_4arch9wavefront6targetE1EEEvSM_.uses_flat_scratch, 0
	.set _ZN7rocprim17ROCPRIM_400000_NS6detail17trampoline_kernelINS0_14default_configENS1_22reduce_config_selectorIbEEZNS1_11reduce_implILb1ES3_N6hipcub16HIPCUB_304000_NS22TransformInputIteratorIb7NonZeroIdEPdlEEPllNS8_6detail34convert_binary_result_type_wrapperINS8_3SumESD_lEEEE10hipError_tPvRmT1_T2_T3_mT4_P12ihipStream_tbEUlT_E1_NS1_11comp_targetILNS1_3genE4ELNS1_11target_archE910ELNS1_3gpuE8ELNS1_3repE0EEENS1_30default_config_static_selectorELNS0_4arch9wavefront6targetE1EEEvSM_.has_dyn_sized_stack, 0
	.set _ZN7rocprim17ROCPRIM_400000_NS6detail17trampoline_kernelINS0_14default_configENS1_22reduce_config_selectorIbEEZNS1_11reduce_implILb1ES3_N6hipcub16HIPCUB_304000_NS22TransformInputIteratorIb7NonZeroIdEPdlEEPllNS8_6detail34convert_binary_result_type_wrapperINS8_3SumESD_lEEEE10hipError_tPvRmT1_T2_T3_mT4_P12ihipStream_tbEUlT_E1_NS1_11comp_targetILNS1_3genE4ELNS1_11target_archE910ELNS1_3gpuE8ELNS1_3repE0EEENS1_30default_config_static_selectorELNS0_4arch9wavefront6targetE1EEEvSM_.has_recursion, 0
	.set _ZN7rocprim17ROCPRIM_400000_NS6detail17trampoline_kernelINS0_14default_configENS1_22reduce_config_selectorIbEEZNS1_11reduce_implILb1ES3_N6hipcub16HIPCUB_304000_NS22TransformInputIteratorIb7NonZeroIdEPdlEEPllNS8_6detail34convert_binary_result_type_wrapperINS8_3SumESD_lEEEE10hipError_tPvRmT1_T2_T3_mT4_P12ihipStream_tbEUlT_E1_NS1_11comp_targetILNS1_3genE4ELNS1_11target_archE910ELNS1_3gpuE8ELNS1_3repE0EEENS1_30default_config_static_selectorELNS0_4arch9wavefront6targetE1EEEvSM_.has_indirect_call, 0
	.section	.AMDGPU.csdata,"",@progbits
; Kernel info:
; codeLenInByte = 0
; TotalNumSgprs: 4
; NumVgprs: 0
; ScratchSize: 0
; MemoryBound: 0
; FloatMode: 240
; IeeeMode: 1
; LDSByteSize: 0 bytes/workgroup (compile time only)
; SGPRBlocks: 0
; VGPRBlocks: 0
; NumSGPRsForWavesPerEU: 4
; NumVGPRsForWavesPerEU: 1
; Occupancy: 10
; WaveLimiterHint : 0
; COMPUTE_PGM_RSRC2:SCRATCH_EN: 0
; COMPUTE_PGM_RSRC2:USER_SGPR: 6
; COMPUTE_PGM_RSRC2:TRAP_HANDLER: 0
; COMPUTE_PGM_RSRC2:TGID_X_EN: 1
; COMPUTE_PGM_RSRC2:TGID_Y_EN: 0
; COMPUTE_PGM_RSRC2:TGID_Z_EN: 0
; COMPUTE_PGM_RSRC2:TIDIG_COMP_CNT: 0
	.section	.text._ZN7rocprim17ROCPRIM_400000_NS6detail17trampoline_kernelINS0_14default_configENS1_22reduce_config_selectorIbEEZNS1_11reduce_implILb1ES3_N6hipcub16HIPCUB_304000_NS22TransformInputIteratorIb7NonZeroIdEPdlEEPllNS8_6detail34convert_binary_result_type_wrapperINS8_3SumESD_lEEEE10hipError_tPvRmT1_T2_T3_mT4_P12ihipStream_tbEUlT_E1_NS1_11comp_targetILNS1_3genE3ELNS1_11target_archE908ELNS1_3gpuE7ELNS1_3repE0EEENS1_30default_config_static_selectorELNS0_4arch9wavefront6targetE1EEEvSM_,"axG",@progbits,_ZN7rocprim17ROCPRIM_400000_NS6detail17trampoline_kernelINS0_14default_configENS1_22reduce_config_selectorIbEEZNS1_11reduce_implILb1ES3_N6hipcub16HIPCUB_304000_NS22TransformInputIteratorIb7NonZeroIdEPdlEEPllNS8_6detail34convert_binary_result_type_wrapperINS8_3SumESD_lEEEE10hipError_tPvRmT1_T2_T3_mT4_P12ihipStream_tbEUlT_E1_NS1_11comp_targetILNS1_3genE3ELNS1_11target_archE908ELNS1_3gpuE7ELNS1_3repE0EEENS1_30default_config_static_selectorELNS0_4arch9wavefront6targetE1EEEvSM_,comdat
	.protected	_ZN7rocprim17ROCPRIM_400000_NS6detail17trampoline_kernelINS0_14default_configENS1_22reduce_config_selectorIbEEZNS1_11reduce_implILb1ES3_N6hipcub16HIPCUB_304000_NS22TransformInputIteratorIb7NonZeroIdEPdlEEPllNS8_6detail34convert_binary_result_type_wrapperINS8_3SumESD_lEEEE10hipError_tPvRmT1_T2_T3_mT4_P12ihipStream_tbEUlT_E1_NS1_11comp_targetILNS1_3genE3ELNS1_11target_archE908ELNS1_3gpuE7ELNS1_3repE0EEENS1_30default_config_static_selectorELNS0_4arch9wavefront6targetE1EEEvSM_ ; -- Begin function _ZN7rocprim17ROCPRIM_400000_NS6detail17trampoline_kernelINS0_14default_configENS1_22reduce_config_selectorIbEEZNS1_11reduce_implILb1ES3_N6hipcub16HIPCUB_304000_NS22TransformInputIteratorIb7NonZeroIdEPdlEEPllNS8_6detail34convert_binary_result_type_wrapperINS8_3SumESD_lEEEE10hipError_tPvRmT1_T2_T3_mT4_P12ihipStream_tbEUlT_E1_NS1_11comp_targetILNS1_3genE3ELNS1_11target_archE908ELNS1_3gpuE7ELNS1_3repE0EEENS1_30default_config_static_selectorELNS0_4arch9wavefront6targetE1EEEvSM_
	.globl	_ZN7rocprim17ROCPRIM_400000_NS6detail17trampoline_kernelINS0_14default_configENS1_22reduce_config_selectorIbEEZNS1_11reduce_implILb1ES3_N6hipcub16HIPCUB_304000_NS22TransformInputIteratorIb7NonZeroIdEPdlEEPllNS8_6detail34convert_binary_result_type_wrapperINS8_3SumESD_lEEEE10hipError_tPvRmT1_T2_T3_mT4_P12ihipStream_tbEUlT_E1_NS1_11comp_targetILNS1_3genE3ELNS1_11target_archE908ELNS1_3gpuE7ELNS1_3repE0EEENS1_30default_config_static_selectorELNS0_4arch9wavefront6targetE1EEEvSM_
	.p2align	8
	.type	_ZN7rocprim17ROCPRIM_400000_NS6detail17trampoline_kernelINS0_14default_configENS1_22reduce_config_selectorIbEEZNS1_11reduce_implILb1ES3_N6hipcub16HIPCUB_304000_NS22TransformInputIteratorIb7NonZeroIdEPdlEEPllNS8_6detail34convert_binary_result_type_wrapperINS8_3SumESD_lEEEE10hipError_tPvRmT1_T2_T3_mT4_P12ihipStream_tbEUlT_E1_NS1_11comp_targetILNS1_3genE3ELNS1_11target_archE908ELNS1_3gpuE7ELNS1_3repE0EEENS1_30default_config_static_selectorELNS0_4arch9wavefront6targetE1EEEvSM_,@function
_ZN7rocprim17ROCPRIM_400000_NS6detail17trampoline_kernelINS0_14default_configENS1_22reduce_config_selectorIbEEZNS1_11reduce_implILb1ES3_N6hipcub16HIPCUB_304000_NS22TransformInputIteratorIb7NonZeroIdEPdlEEPllNS8_6detail34convert_binary_result_type_wrapperINS8_3SumESD_lEEEE10hipError_tPvRmT1_T2_T3_mT4_P12ihipStream_tbEUlT_E1_NS1_11comp_targetILNS1_3genE3ELNS1_11target_archE908ELNS1_3gpuE7ELNS1_3repE0EEENS1_30default_config_static_selectorELNS0_4arch9wavefront6targetE1EEEvSM_: ; @_ZN7rocprim17ROCPRIM_400000_NS6detail17trampoline_kernelINS0_14default_configENS1_22reduce_config_selectorIbEEZNS1_11reduce_implILb1ES3_N6hipcub16HIPCUB_304000_NS22TransformInputIteratorIb7NonZeroIdEPdlEEPllNS8_6detail34convert_binary_result_type_wrapperINS8_3SumESD_lEEEE10hipError_tPvRmT1_T2_T3_mT4_P12ihipStream_tbEUlT_E1_NS1_11comp_targetILNS1_3genE3ELNS1_11target_archE908ELNS1_3gpuE7ELNS1_3repE0EEENS1_30default_config_static_selectorELNS0_4arch9wavefront6targetE1EEEvSM_
; %bb.0:
	.section	.rodata,"a",@progbits
	.p2align	6, 0x0
	.amdhsa_kernel _ZN7rocprim17ROCPRIM_400000_NS6detail17trampoline_kernelINS0_14default_configENS1_22reduce_config_selectorIbEEZNS1_11reduce_implILb1ES3_N6hipcub16HIPCUB_304000_NS22TransformInputIteratorIb7NonZeroIdEPdlEEPllNS8_6detail34convert_binary_result_type_wrapperINS8_3SumESD_lEEEE10hipError_tPvRmT1_T2_T3_mT4_P12ihipStream_tbEUlT_E1_NS1_11comp_targetILNS1_3genE3ELNS1_11target_archE908ELNS1_3gpuE7ELNS1_3repE0EEENS1_30default_config_static_selectorELNS0_4arch9wavefront6targetE1EEEvSM_
		.amdhsa_group_segment_fixed_size 0
		.amdhsa_private_segment_fixed_size 0
		.amdhsa_kernarg_size 56
		.amdhsa_user_sgpr_count 6
		.amdhsa_user_sgpr_private_segment_buffer 1
		.amdhsa_user_sgpr_dispatch_ptr 0
		.amdhsa_user_sgpr_queue_ptr 0
		.amdhsa_user_sgpr_kernarg_segment_ptr 1
		.amdhsa_user_sgpr_dispatch_id 0
		.amdhsa_user_sgpr_flat_scratch_init 0
		.amdhsa_user_sgpr_private_segment_size 0
		.amdhsa_uses_dynamic_stack 0
		.amdhsa_system_sgpr_private_segment_wavefront_offset 0
		.amdhsa_system_sgpr_workgroup_id_x 1
		.amdhsa_system_sgpr_workgroup_id_y 0
		.amdhsa_system_sgpr_workgroup_id_z 0
		.amdhsa_system_sgpr_workgroup_info 0
		.amdhsa_system_vgpr_workitem_id 0
		.amdhsa_next_free_vgpr 1
		.amdhsa_next_free_sgpr 0
		.amdhsa_reserve_vcc 0
		.amdhsa_reserve_flat_scratch 0
		.amdhsa_float_round_mode_32 0
		.amdhsa_float_round_mode_16_64 0
		.amdhsa_float_denorm_mode_32 3
		.amdhsa_float_denorm_mode_16_64 3
		.amdhsa_dx10_clamp 1
		.amdhsa_ieee_mode 1
		.amdhsa_fp16_overflow 0
		.amdhsa_exception_fp_ieee_invalid_op 0
		.amdhsa_exception_fp_denorm_src 0
		.amdhsa_exception_fp_ieee_div_zero 0
		.amdhsa_exception_fp_ieee_overflow 0
		.amdhsa_exception_fp_ieee_underflow 0
		.amdhsa_exception_fp_ieee_inexact 0
		.amdhsa_exception_int_div_zero 0
	.end_amdhsa_kernel
	.section	.text._ZN7rocprim17ROCPRIM_400000_NS6detail17trampoline_kernelINS0_14default_configENS1_22reduce_config_selectorIbEEZNS1_11reduce_implILb1ES3_N6hipcub16HIPCUB_304000_NS22TransformInputIteratorIb7NonZeroIdEPdlEEPllNS8_6detail34convert_binary_result_type_wrapperINS8_3SumESD_lEEEE10hipError_tPvRmT1_T2_T3_mT4_P12ihipStream_tbEUlT_E1_NS1_11comp_targetILNS1_3genE3ELNS1_11target_archE908ELNS1_3gpuE7ELNS1_3repE0EEENS1_30default_config_static_selectorELNS0_4arch9wavefront6targetE1EEEvSM_,"axG",@progbits,_ZN7rocprim17ROCPRIM_400000_NS6detail17trampoline_kernelINS0_14default_configENS1_22reduce_config_selectorIbEEZNS1_11reduce_implILb1ES3_N6hipcub16HIPCUB_304000_NS22TransformInputIteratorIb7NonZeroIdEPdlEEPllNS8_6detail34convert_binary_result_type_wrapperINS8_3SumESD_lEEEE10hipError_tPvRmT1_T2_T3_mT4_P12ihipStream_tbEUlT_E1_NS1_11comp_targetILNS1_3genE3ELNS1_11target_archE908ELNS1_3gpuE7ELNS1_3repE0EEENS1_30default_config_static_selectorELNS0_4arch9wavefront6targetE1EEEvSM_,comdat
.Lfunc_end315:
	.size	_ZN7rocprim17ROCPRIM_400000_NS6detail17trampoline_kernelINS0_14default_configENS1_22reduce_config_selectorIbEEZNS1_11reduce_implILb1ES3_N6hipcub16HIPCUB_304000_NS22TransformInputIteratorIb7NonZeroIdEPdlEEPllNS8_6detail34convert_binary_result_type_wrapperINS8_3SumESD_lEEEE10hipError_tPvRmT1_T2_T3_mT4_P12ihipStream_tbEUlT_E1_NS1_11comp_targetILNS1_3genE3ELNS1_11target_archE908ELNS1_3gpuE7ELNS1_3repE0EEENS1_30default_config_static_selectorELNS0_4arch9wavefront6targetE1EEEvSM_, .Lfunc_end315-_ZN7rocprim17ROCPRIM_400000_NS6detail17trampoline_kernelINS0_14default_configENS1_22reduce_config_selectorIbEEZNS1_11reduce_implILb1ES3_N6hipcub16HIPCUB_304000_NS22TransformInputIteratorIb7NonZeroIdEPdlEEPllNS8_6detail34convert_binary_result_type_wrapperINS8_3SumESD_lEEEE10hipError_tPvRmT1_T2_T3_mT4_P12ihipStream_tbEUlT_E1_NS1_11comp_targetILNS1_3genE3ELNS1_11target_archE908ELNS1_3gpuE7ELNS1_3repE0EEENS1_30default_config_static_selectorELNS0_4arch9wavefront6targetE1EEEvSM_
                                        ; -- End function
	.set _ZN7rocprim17ROCPRIM_400000_NS6detail17trampoline_kernelINS0_14default_configENS1_22reduce_config_selectorIbEEZNS1_11reduce_implILb1ES3_N6hipcub16HIPCUB_304000_NS22TransformInputIteratorIb7NonZeroIdEPdlEEPllNS8_6detail34convert_binary_result_type_wrapperINS8_3SumESD_lEEEE10hipError_tPvRmT1_T2_T3_mT4_P12ihipStream_tbEUlT_E1_NS1_11comp_targetILNS1_3genE3ELNS1_11target_archE908ELNS1_3gpuE7ELNS1_3repE0EEENS1_30default_config_static_selectorELNS0_4arch9wavefront6targetE1EEEvSM_.num_vgpr, 0
	.set _ZN7rocprim17ROCPRIM_400000_NS6detail17trampoline_kernelINS0_14default_configENS1_22reduce_config_selectorIbEEZNS1_11reduce_implILb1ES3_N6hipcub16HIPCUB_304000_NS22TransformInputIteratorIb7NonZeroIdEPdlEEPllNS8_6detail34convert_binary_result_type_wrapperINS8_3SumESD_lEEEE10hipError_tPvRmT1_T2_T3_mT4_P12ihipStream_tbEUlT_E1_NS1_11comp_targetILNS1_3genE3ELNS1_11target_archE908ELNS1_3gpuE7ELNS1_3repE0EEENS1_30default_config_static_selectorELNS0_4arch9wavefront6targetE1EEEvSM_.num_agpr, 0
	.set _ZN7rocprim17ROCPRIM_400000_NS6detail17trampoline_kernelINS0_14default_configENS1_22reduce_config_selectorIbEEZNS1_11reduce_implILb1ES3_N6hipcub16HIPCUB_304000_NS22TransformInputIteratorIb7NonZeroIdEPdlEEPllNS8_6detail34convert_binary_result_type_wrapperINS8_3SumESD_lEEEE10hipError_tPvRmT1_T2_T3_mT4_P12ihipStream_tbEUlT_E1_NS1_11comp_targetILNS1_3genE3ELNS1_11target_archE908ELNS1_3gpuE7ELNS1_3repE0EEENS1_30default_config_static_selectorELNS0_4arch9wavefront6targetE1EEEvSM_.numbered_sgpr, 0
	.set _ZN7rocprim17ROCPRIM_400000_NS6detail17trampoline_kernelINS0_14default_configENS1_22reduce_config_selectorIbEEZNS1_11reduce_implILb1ES3_N6hipcub16HIPCUB_304000_NS22TransformInputIteratorIb7NonZeroIdEPdlEEPllNS8_6detail34convert_binary_result_type_wrapperINS8_3SumESD_lEEEE10hipError_tPvRmT1_T2_T3_mT4_P12ihipStream_tbEUlT_E1_NS1_11comp_targetILNS1_3genE3ELNS1_11target_archE908ELNS1_3gpuE7ELNS1_3repE0EEENS1_30default_config_static_selectorELNS0_4arch9wavefront6targetE1EEEvSM_.num_named_barrier, 0
	.set _ZN7rocprim17ROCPRIM_400000_NS6detail17trampoline_kernelINS0_14default_configENS1_22reduce_config_selectorIbEEZNS1_11reduce_implILb1ES3_N6hipcub16HIPCUB_304000_NS22TransformInputIteratorIb7NonZeroIdEPdlEEPllNS8_6detail34convert_binary_result_type_wrapperINS8_3SumESD_lEEEE10hipError_tPvRmT1_T2_T3_mT4_P12ihipStream_tbEUlT_E1_NS1_11comp_targetILNS1_3genE3ELNS1_11target_archE908ELNS1_3gpuE7ELNS1_3repE0EEENS1_30default_config_static_selectorELNS0_4arch9wavefront6targetE1EEEvSM_.private_seg_size, 0
	.set _ZN7rocprim17ROCPRIM_400000_NS6detail17trampoline_kernelINS0_14default_configENS1_22reduce_config_selectorIbEEZNS1_11reduce_implILb1ES3_N6hipcub16HIPCUB_304000_NS22TransformInputIteratorIb7NonZeroIdEPdlEEPllNS8_6detail34convert_binary_result_type_wrapperINS8_3SumESD_lEEEE10hipError_tPvRmT1_T2_T3_mT4_P12ihipStream_tbEUlT_E1_NS1_11comp_targetILNS1_3genE3ELNS1_11target_archE908ELNS1_3gpuE7ELNS1_3repE0EEENS1_30default_config_static_selectorELNS0_4arch9wavefront6targetE1EEEvSM_.uses_vcc, 0
	.set _ZN7rocprim17ROCPRIM_400000_NS6detail17trampoline_kernelINS0_14default_configENS1_22reduce_config_selectorIbEEZNS1_11reduce_implILb1ES3_N6hipcub16HIPCUB_304000_NS22TransformInputIteratorIb7NonZeroIdEPdlEEPllNS8_6detail34convert_binary_result_type_wrapperINS8_3SumESD_lEEEE10hipError_tPvRmT1_T2_T3_mT4_P12ihipStream_tbEUlT_E1_NS1_11comp_targetILNS1_3genE3ELNS1_11target_archE908ELNS1_3gpuE7ELNS1_3repE0EEENS1_30default_config_static_selectorELNS0_4arch9wavefront6targetE1EEEvSM_.uses_flat_scratch, 0
	.set _ZN7rocprim17ROCPRIM_400000_NS6detail17trampoline_kernelINS0_14default_configENS1_22reduce_config_selectorIbEEZNS1_11reduce_implILb1ES3_N6hipcub16HIPCUB_304000_NS22TransformInputIteratorIb7NonZeroIdEPdlEEPllNS8_6detail34convert_binary_result_type_wrapperINS8_3SumESD_lEEEE10hipError_tPvRmT1_T2_T3_mT4_P12ihipStream_tbEUlT_E1_NS1_11comp_targetILNS1_3genE3ELNS1_11target_archE908ELNS1_3gpuE7ELNS1_3repE0EEENS1_30default_config_static_selectorELNS0_4arch9wavefront6targetE1EEEvSM_.has_dyn_sized_stack, 0
	.set _ZN7rocprim17ROCPRIM_400000_NS6detail17trampoline_kernelINS0_14default_configENS1_22reduce_config_selectorIbEEZNS1_11reduce_implILb1ES3_N6hipcub16HIPCUB_304000_NS22TransformInputIteratorIb7NonZeroIdEPdlEEPllNS8_6detail34convert_binary_result_type_wrapperINS8_3SumESD_lEEEE10hipError_tPvRmT1_T2_T3_mT4_P12ihipStream_tbEUlT_E1_NS1_11comp_targetILNS1_3genE3ELNS1_11target_archE908ELNS1_3gpuE7ELNS1_3repE0EEENS1_30default_config_static_selectorELNS0_4arch9wavefront6targetE1EEEvSM_.has_recursion, 0
	.set _ZN7rocprim17ROCPRIM_400000_NS6detail17trampoline_kernelINS0_14default_configENS1_22reduce_config_selectorIbEEZNS1_11reduce_implILb1ES3_N6hipcub16HIPCUB_304000_NS22TransformInputIteratorIb7NonZeroIdEPdlEEPllNS8_6detail34convert_binary_result_type_wrapperINS8_3SumESD_lEEEE10hipError_tPvRmT1_T2_T3_mT4_P12ihipStream_tbEUlT_E1_NS1_11comp_targetILNS1_3genE3ELNS1_11target_archE908ELNS1_3gpuE7ELNS1_3repE0EEENS1_30default_config_static_selectorELNS0_4arch9wavefront6targetE1EEEvSM_.has_indirect_call, 0
	.section	.AMDGPU.csdata,"",@progbits
; Kernel info:
; codeLenInByte = 0
; TotalNumSgprs: 4
; NumVgprs: 0
; ScratchSize: 0
; MemoryBound: 0
; FloatMode: 240
; IeeeMode: 1
; LDSByteSize: 0 bytes/workgroup (compile time only)
; SGPRBlocks: 0
; VGPRBlocks: 0
; NumSGPRsForWavesPerEU: 4
; NumVGPRsForWavesPerEU: 1
; Occupancy: 10
; WaveLimiterHint : 0
; COMPUTE_PGM_RSRC2:SCRATCH_EN: 0
; COMPUTE_PGM_RSRC2:USER_SGPR: 6
; COMPUTE_PGM_RSRC2:TRAP_HANDLER: 0
; COMPUTE_PGM_RSRC2:TGID_X_EN: 1
; COMPUTE_PGM_RSRC2:TGID_Y_EN: 0
; COMPUTE_PGM_RSRC2:TGID_Z_EN: 0
; COMPUTE_PGM_RSRC2:TIDIG_COMP_CNT: 0
	.section	.text._ZN7rocprim17ROCPRIM_400000_NS6detail17trampoline_kernelINS0_14default_configENS1_22reduce_config_selectorIbEEZNS1_11reduce_implILb1ES3_N6hipcub16HIPCUB_304000_NS22TransformInputIteratorIb7NonZeroIdEPdlEEPllNS8_6detail34convert_binary_result_type_wrapperINS8_3SumESD_lEEEE10hipError_tPvRmT1_T2_T3_mT4_P12ihipStream_tbEUlT_E1_NS1_11comp_targetILNS1_3genE2ELNS1_11target_archE906ELNS1_3gpuE6ELNS1_3repE0EEENS1_30default_config_static_selectorELNS0_4arch9wavefront6targetE1EEEvSM_,"axG",@progbits,_ZN7rocprim17ROCPRIM_400000_NS6detail17trampoline_kernelINS0_14default_configENS1_22reduce_config_selectorIbEEZNS1_11reduce_implILb1ES3_N6hipcub16HIPCUB_304000_NS22TransformInputIteratorIb7NonZeroIdEPdlEEPllNS8_6detail34convert_binary_result_type_wrapperINS8_3SumESD_lEEEE10hipError_tPvRmT1_T2_T3_mT4_P12ihipStream_tbEUlT_E1_NS1_11comp_targetILNS1_3genE2ELNS1_11target_archE906ELNS1_3gpuE6ELNS1_3repE0EEENS1_30default_config_static_selectorELNS0_4arch9wavefront6targetE1EEEvSM_,comdat
	.protected	_ZN7rocprim17ROCPRIM_400000_NS6detail17trampoline_kernelINS0_14default_configENS1_22reduce_config_selectorIbEEZNS1_11reduce_implILb1ES3_N6hipcub16HIPCUB_304000_NS22TransformInputIteratorIb7NonZeroIdEPdlEEPllNS8_6detail34convert_binary_result_type_wrapperINS8_3SumESD_lEEEE10hipError_tPvRmT1_T2_T3_mT4_P12ihipStream_tbEUlT_E1_NS1_11comp_targetILNS1_3genE2ELNS1_11target_archE906ELNS1_3gpuE6ELNS1_3repE0EEENS1_30default_config_static_selectorELNS0_4arch9wavefront6targetE1EEEvSM_ ; -- Begin function _ZN7rocprim17ROCPRIM_400000_NS6detail17trampoline_kernelINS0_14default_configENS1_22reduce_config_selectorIbEEZNS1_11reduce_implILb1ES3_N6hipcub16HIPCUB_304000_NS22TransformInputIteratorIb7NonZeroIdEPdlEEPllNS8_6detail34convert_binary_result_type_wrapperINS8_3SumESD_lEEEE10hipError_tPvRmT1_T2_T3_mT4_P12ihipStream_tbEUlT_E1_NS1_11comp_targetILNS1_3genE2ELNS1_11target_archE906ELNS1_3gpuE6ELNS1_3repE0EEENS1_30default_config_static_selectorELNS0_4arch9wavefront6targetE1EEEvSM_
	.globl	_ZN7rocprim17ROCPRIM_400000_NS6detail17trampoline_kernelINS0_14default_configENS1_22reduce_config_selectorIbEEZNS1_11reduce_implILb1ES3_N6hipcub16HIPCUB_304000_NS22TransformInputIteratorIb7NonZeroIdEPdlEEPllNS8_6detail34convert_binary_result_type_wrapperINS8_3SumESD_lEEEE10hipError_tPvRmT1_T2_T3_mT4_P12ihipStream_tbEUlT_E1_NS1_11comp_targetILNS1_3genE2ELNS1_11target_archE906ELNS1_3gpuE6ELNS1_3repE0EEENS1_30default_config_static_selectorELNS0_4arch9wavefront6targetE1EEEvSM_
	.p2align	8
	.type	_ZN7rocprim17ROCPRIM_400000_NS6detail17trampoline_kernelINS0_14default_configENS1_22reduce_config_selectorIbEEZNS1_11reduce_implILb1ES3_N6hipcub16HIPCUB_304000_NS22TransformInputIteratorIb7NonZeroIdEPdlEEPllNS8_6detail34convert_binary_result_type_wrapperINS8_3SumESD_lEEEE10hipError_tPvRmT1_T2_T3_mT4_P12ihipStream_tbEUlT_E1_NS1_11comp_targetILNS1_3genE2ELNS1_11target_archE906ELNS1_3gpuE6ELNS1_3repE0EEENS1_30default_config_static_selectorELNS0_4arch9wavefront6targetE1EEEvSM_,@function
_ZN7rocprim17ROCPRIM_400000_NS6detail17trampoline_kernelINS0_14default_configENS1_22reduce_config_selectorIbEEZNS1_11reduce_implILb1ES3_N6hipcub16HIPCUB_304000_NS22TransformInputIteratorIb7NonZeroIdEPdlEEPllNS8_6detail34convert_binary_result_type_wrapperINS8_3SumESD_lEEEE10hipError_tPvRmT1_T2_T3_mT4_P12ihipStream_tbEUlT_E1_NS1_11comp_targetILNS1_3genE2ELNS1_11target_archE906ELNS1_3gpuE6ELNS1_3repE0EEENS1_30default_config_static_selectorELNS0_4arch9wavefront6targetE1EEEvSM_: ; @_ZN7rocprim17ROCPRIM_400000_NS6detail17trampoline_kernelINS0_14default_configENS1_22reduce_config_selectorIbEEZNS1_11reduce_implILb1ES3_N6hipcub16HIPCUB_304000_NS22TransformInputIteratorIb7NonZeroIdEPdlEEPllNS8_6detail34convert_binary_result_type_wrapperINS8_3SumESD_lEEEE10hipError_tPvRmT1_T2_T3_mT4_P12ihipStream_tbEUlT_E1_NS1_11comp_targetILNS1_3genE2ELNS1_11target_archE906ELNS1_3gpuE6ELNS1_3repE0EEENS1_30default_config_static_selectorELNS0_4arch9wavefront6targetE1EEEvSM_
; %bb.0:
	s_mov_b64 s[38:39], s[2:3]
	s_mov_b64 s[36:37], s[0:1]
	s_load_dword s26, s[4:5], 0x4
	s_load_dwordx2 s[18:19], s[4:5], 0x8
	s_load_dwordx4 s[20:23], s[4:5], 0x18
	s_add_u32 s36, s36, s7
	s_addc_u32 s37, s37, 0
	s_waitcnt lgkmcnt(0)
	s_cmp_lt_i32 s26, 16
	s_cbranch_scc1 .LBB316_10
; %bb.1:
	s_cmp_gt_i32 s26, 63
	s_cbranch_scc0 .LBB316_11
; %bb.2:
	s_cmpk_gt_i32 s26, 0x7f
	s_cbranch_scc0 .LBB316_12
; %bb.3:
	s_mov_b64 s[0:1], 0
	s_cmpk_eq_i32 s26, 0x80
	s_mov_b64 s[2:3], 0
                                        ; implicit-def: $vgpr1_vgpr2
                                        ; implicit-def: $vgpr3_vgpr4
	s_cbranch_scc0 .LBB316_13
; %bb.4:
	s_mov_b32 s7, 0
	s_lshl_b32 s8, s6, 14
	s_mov_b32 s9, s7
	s_lshr_b64 s[10:11], s[20:21], 14
	s_lshl_b64 s[2:3], s[8:9], 3
	s_add_u32 s2, s18, s2
	s_addc_u32 s3, s19, s3
	s_cmp_lg_u64 s[10:11], s[6:7]
	s_cbranch_scc0 .LBB316_21
; %bb.5:
	v_lshlrev_b32_e32 v7, 3, v0
	global_load_dwordx2 v[10:11], v7, s[2:3] offset:3072
	v_mov_b32_e32 v1, s3
	v_add_co_u32_e32 v8, vcc, s2, v7
	v_addc_co_u32_e32 v9, vcc, 0, v1, vcc
	v_add_co_u32_e32 v12, vcc, 0x1000, v8
	v_addc_co_u32_e32 v13, vcc, 0, v9, vcc
	global_load_dwordx2 v[14:15], v[12:13], off
	global_load_dwordx2 v[16:17], v[12:13], off offset:1024
	global_load_dwordx2 v[18:19], v[12:13], off offset:2048
	global_load_dwordx2 v[1:2], v7, s[2:3]
	global_load_dwordx2 v[5:6], v7, s[2:3] offset:1024
	global_load_dwordx2 v[3:4], v7, s[2:3] offset:2048
	global_load_dwordx2 v[20:21], v[12:13], off offset:3072
	s_movk_i32 s9, 0x2000
	v_add_co_u32_e32 v12, vcc, s9, v8
	s_movk_i32 s10, 0x3000
	v_addc_co_u32_e32 v13, vcc, 0, v9, vcc
	v_add_co_u32_e32 v22, vcc, s10, v8
	v_addc_co_u32_e32 v23, vcc, 0, v9, vcc
	global_load_dwordx2 v[26:27], v[22:23], off offset:-4096
	global_load_dwordx2 v[28:29], v[12:13], off offset:1024
	global_load_dwordx2 v[30:31], v[12:13], off offset:2048
	;; [unrolled: 1-line block ×3, first 2 shown]
	s_movk_i32 s11, 0x4000
	v_add_co_u32_e32 v24, vcc, s11, v8
	s_movk_i32 s12, 0x5000
	v_addc_co_u32_e32 v25, vcc, 0, v9, vcc
	v_add_co_u32_e32 v12, vcc, s12, v8
	s_movk_i32 s13, 0x6000
	v_addc_co_u32_e32 v13, vcc, 0, v9, vcc
	global_load_dwordx2 v[34:35], v[22:23], off
	global_load_dwordx2 v[36:37], v[22:23], off offset:1024
	global_load_dwordx2 v[38:39], v[22:23], off offset:2048
	;; [unrolled: 1-line block ×3, first 2 shown]
	v_add_co_u32_e32 v22, vcc, s13, v8
	s_movk_i32 s14, 0x7000
	v_addc_co_u32_e32 v23, vcc, 0, v9, vcc
	global_load_dwordx2 v[42:43], v[12:13], off offset:-4096
	global_load_dwordx2 v[44:45], v[24:25], off offset:1024
	global_load_dwordx2 v[46:47], v[24:25], off offset:2048
	;; [unrolled: 1-line block ×3, first 2 shown]
	v_add_co_u32_e32 v24, vcc, s14, v8
	s_mov_b32 s15, 0x8000
	v_addc_co_u32_e32 v25, vcc, 0, v9, vcc
	v_add_co_u32_e32 v58, vcc, s15, v8
	v_addc_co_u32_e32 v59, vcc, 0, v9, vcc
	s_mov_b32 s16, 0x9000
	global_load_dwordx2 v[50:51], v[12:13], off
	global_load_dwordx2 v[52:53], v[12:13], off offset:1024
	global_load_dwordx2 v[54:55], v[12:13], off offset:2048
	;; [unrolled: 1-line block ×3, first 2 shown]
	s_mov_b32 s9, 0xb000
	global_load_dwordx2 v[60:61], v[24:25], off offset:-4096
	global_load_dwordx2 v[62:63], v[22:23], off offset:1024
	global_load_dwordx2 v[64:65], v[22:23], off offset:2048
	;; [unrolled: 1-line block ×3, first 2 shown]
	global_load_dwordx2 v[68:69], v[24:25], off
	global_load_dwordx2 v[70:71], v[24:25], off offset:1024
	global_load_dwordx2 v[72:73], v[24:25], off offset:2048
	;; [unrolled: 1-line block ×3, first 2 shown]
	v_mov_b32_e32 v7, 0
	s_waitcnt vmcnt(31)
	v_cmp_neq_f64_e32 vcc, 0, v[10:11]
	v_cndmask_b32_e64 v10, 0, 1, vcc
	s_waitcnt vmcnt(30)
	v_cmp_neq_f64_e32 vcc, 0, v[14:15]
	v_cndmask_b32_e64 v11, 0, 1, vcc
	v_add_co_u32_e32 v14, vcc, s16, v8
	v_addc_co_u32_e32 v15, vcc, 0, v9, vcc
	s_waitcnt vmcnt(29)
	v_cmp_neq_f64_e32 vcc, 0, v[16:17]
	global_load_dwordx2 v[22:23], v[14:15], off offset:-4096
	global_load_dwordx2 v[24:25], v[58:59], off offset:1024
	global_load_dwordx2 v[16:17], v[58:59], off offset:2048
	;; [unrolled: 1-line block ×3, first 2 shown]
	v_cndmask_b32_e64 v12, 0, 1, vcc
	s_waitcnt vmcnt(32)
	v_cmp_neq_f64_e32 vcc, 0, v[18:19]
	global_load_dwordx2 v[18:19], v[14:15], off
	global_load_dwordx2 v[58:59], v[14:15], off offset:1024
	global_load_dwordx2 v[78:79], v[14:15], off offset:2048
	v_cndmask_b32_e64 v13, 0, 1, vcc
	v_add_co_u32_e32 v80, vcc, s9, v8
	v_addc_co_u32_e32 v81, vcc, 0, v9, vcc
	s_waitcnt vmcnt(31)
	v_cmp_neq_f64_e32 vcc, 0, v[20:21]
	s_mov_b32 s9, 0xa000
	global_load_dwordx2 v[82:83], v[14:15], off offset:3072
	global_load_dwordx2 v[84:85], v[80:81], off offset:-4096
	v_cndmask_b32_e64 v14, 0, 1, vcc
	v_add_co_u32_e32 v20, vcc, s9, v8
	v_addc_co_u32_e32 v21, vcc, 0, v9, vcc
	s_mov_b32 s9, 0x1e000
	v_add_co_u32_e32 v88, vcc, s9, v8
	v_addc_co_u32_e32 v89, vcc, 0, v9, vcc
	s_waitcnt vmcnt(32)
	v_cmp_neq_f64_e32 vcc, 0, v[26:27]
	global_load_dwordx2 v[86:87], v[20:21], off offset:1024
	global_load_dwordx2 v[90:91], v[88:89], off offset:3072
	s_mov_b32 s9, 0xc000
	v_cndmask_b32_e64 v104, 0, 1, vcc
	s_waitcnt vmcnt(33)
	v_cmp_neq_f64_e32 vcc, 0, v[28:29]
	v_cndmask_b32_e64 v105, 0, 1, vcc
	s_waitcnt vmcnt(32)
	v_cmp_neq_f64_e32 vcc, 0, v[30:31]
	;; [unrolled: 3-line block ×28, first 2 shown]
	global_load_dwordx2 v[15:16], v[80:81], off
	global_load_dwordx2 v[17:18], v[80:81], off offset:1024
	v_cndmask_b32_e64 v132, 0, 1, vcc
	s_waitcnt vmcnt(7)
	v_cmp_neq_f64_e32 vcc, 0, v[58:59]
	v_cndmask_b32_e64 v133, 0, 1, vcc
	s_waitcnt vmcnt(6)
	v_cmp_neq_f64_e32 vcc, 0, v[78:79]
	;; [unrolled: 3-line block ×4, first 2 shown]
	v_cndmask_b32_e64 v136, 0, 1, vcc
	v_add_co_u32_e32 v22, vcc, s9, v8
	v_addc_co_u32_e32 v23, vcc, 0, v9, vcc
	global_load_dwordx2 v[24:25], v[20:21], off offset:2048
	global_load_dwordx2 v[26:27], v[20:21], off offset:3072
	;; [unrolled: 1-line block ×3, first 2 shown]
	s_waitcnt vmcnt(6)
	v_cmp_neq_f64_e32 vcc, 0, v[86:87]
	s_mov_b32 s9, 0xd000
	v_cndmask_b32_e64 v137, 0, 1, vcc
	v_add_co_u32_e32 v19, vcc, s9, v8
	v_addc_co_u32_e32 v20, vcc, 0, v9, vcc
	global_load_dwordx2 v[30:31], v[22:23], off offset:2048
	global_load_dwordx2 v[32:33], v[22:23], off offset:3072
	;; [unrolled: 1-line block ×4, first 2 shown]
	global_load_dwordx2 v[38:39], v[19:20], off offset:-4096
	global_load_dwordx2 v[40:41], v[19:20], off
	s_mov_b32 s9, 0xe000
	v_add_co_u32_e32 v21, vcc, s9, v8
	v_addc_co_u32_e32 v22, vcc, 0, v9, vcc
	s_mov_b32 s9, 0xf000
	v_add_co_u32_e32 v42, vcc, s9, v8
	v_addc_co_u32_e32 v43, vcc, 0, v9, vcc
	s_mov_b32 s9, 0x10000
	global_load_dwordx2 v[44:45], v[19:20], off offset:1024
	global_load_dwordx2 v[46:47], v[19:20], off offset:2048
	;; [unrolled: 1-line block ×3, first 2 shown]
	global_load_dwordx2 v[50:51], v[42:43], off offset:-4096
	global_load_dwordx2 v[52:53], v[21:22], off offset:1024
	global_load_dwordx2 v[54:55], v[21:22], off offset:2048
	global_load_dwordx2 v[56:57], v[21:22], off offset:3072
	global_load_dwordx2 v[58:59], v[42:43], off
	global_load_dwordx2 v[60:61], v[42:43], off offset:1024
	global_load_dwordx2 v[62:63], v[42:43], off offset:2048
	;; [unrolled: 1-line block ×3, first 2 shown]
	v_add_co_u32_e32 v19, vcc, s9, v8
	v_addc_co_u32_e32 v20, vcc, 0, v9, vcc
	s_mov_b32 s9, 0x11000
	v_add_co_u32_e32 v21, vcc, s9, v8
	v_addc_co_u32_e32 v22, vcc, 0, v9, vcc
	s_mov_b32 s9, 0x12000
	global_load_dwordx2 v[42:43], v[21:22], off offset:-4096
	global_load_dwordx2 v[66:67], v[19:20], off offset:1024
	global_load_dwordx2 v[68:69], v[19:20], off offset:2048
	;; [unrolled: 1-line block ×3, first 2 shown]
	global_load_dwordx2 v[72:73], v[21:22], off
	global_load_dwordx2 v[74:75], v[21:22], off offset:1024
	global_load_dwordx2 v[76:77], v[21:22], off offset:2048
	;; [unrolled: 1-line block ×3, first 2 shown]
	v_add_co_u32_e32 v19, vcc, s9, v8
	v_addc_co_u32_e32 v20, vcc, 0, v9, vcc
	s_mov_b32 s9, 0x13000
	v_add_co_u32_e32 v21, vcc, s9, v8
	v_addc_co_u32_e32 v22, vcc, 0, v9, vcc
	s_mov_b32 s9, 0x14000
	;; [unrolled: 3-line block ×3, first 2 shown]
	v_add_co_u32_e32 v98, vcc, s9, v8
	v_addc_co_u32_e32 v99, vcc, 0, v9, vcc
	global_load_dwordx2 v[80:81], v[21:22], off offset:-4096
	global_load_dwordx2 v[82:83], v[19:20], off offset:1024
	global_load_dwordx2 v[84:85], v[19:20], off offset:2048
	;; [unrolled: 1-line block ×3, first 2 shown]
	global_load_dwordx2 v[92:93], v[21:22], off
                                        ; kill: killed $vgpr19 killed $vgpr20
	s_nop 0
	global_load_dwordx2 v[19:20], v[21:22], off offset:1024
	global_load_dwordx2 v[94:95], v[21:22], off offset:2048
	s_nop 0
	global_load_dwordx2 v[21:22], v[21:22], off offset:3072
	s_nop 0
	global_load_dwordx2 v[100:101], v[98:99], off offset:-4096
	global_load_dwordx2 v[102:103], v[96:97], off offset:1024
	s_mov_b32 s9, 0x16000
	s_waitcnt vmcnt(37)
	v_cmp_neq_f64_e32 vcc, 0, v[24:25]
	v_cndmask_b32_e64 v138, 0, 1, vcc
	s_waitcnt vmcnt(36)
	v_cmp_neq_f64_e32 vcc, 0, v[26:27]
	v_cndmask_b32_e64 v139, 0, 1, vcc
	v_cmp_neq_f64_e32 vcc, 0, v[15:16]
	v_cndmask_b32_e64 v140, 0, 1, vcc
	v_cmp_neq_f64_e32 vcc, 0, v[17:18]
	global_load_dwordx2 v[15:16], v[96:97], off offset:2048
	global_load_dwordx2 v[17:18], v[98:99], off
	v_cndmask_b32_e64 v141, 0, 1, vcc
	s_waitcnt vmcnt(34)
	v_cmp_neq_f64_e32 vcc, 0, v[34:35]
	v_cndmask_b32_e64 v142, 0, 1, vcc
	s_waitcnt vmcnt(33)
	v_cmp_neq_f64_e32 vcc, 0, v[36:37]
	;; [unrolled: 3-line block ×3, first 2 shown]
	v_cndmask_b32_e64 v144, 0, 1, vcc
	v_cmp_neq_f64_e32 vcc, 0, v[28:29]
	v_cndmask_b32_e64 v145, 0, 1, vcc
	v_cmp_neq_f64_e32 vcc, 0, v[30:31]
	;; [unrolled: 2-line block ×3, first 2 shown]
	v_cndmask_b32_e64 v147, 0, 1, vcc
	s_waitcnt vmcnt(31)
	v_cmp_neq_f64_e32 vcc, 0, v[40:41]
	v_cndmask_b32_e64 v148, 0, 1, vcc
	s_waitcnt vmcnt(30)
	v_cmp_neq_f64_e32 vcc, 0, v[44:45]
	;; [unrolled: 3-line block ×28, first 2 shown]
	global_load_dwordx2 v[19:20], v[96:97], off offset:3072
	global_load_dwordx2 v[21:22], v[98:99], off offset:1024
	v_cndmask_b32_e64 v175, 0, 1, vcc
	s_waitcnt vmcnt(5)
	v_cmp_neq_f64_e32 vcc, 0, v[100:101]
	v_cndmask_b32_e64 v100, 0, 1, vcc
	s_waitcnt vmcnt(4)
	v_cmp_neq_f64_e32 vcc, 0, v[102:103]
	v_cndmask_b32_e64 v101, 0, 1, vcc
	v_add_co_u32_e32 v23, vcc, s9, v8
	v_addc_co_u32_e32 v24, vcc, 0, v9, vcc
	s_mov_b32 s9, 0x17000
	v_add_co_u32_e32 v25, vcc, s9, v8
	v_addc_co_u32_e32 v26, vcc, 0, v9, vcc
	global_load_dwordx2 v[27:28], v[98:99], off offset:2048
	global_load_dwordx2 v[29:30], v[98:99], off offset:3072
	global_load_dwordx2 v[31:32], v[25:26], off offset:-4096
	global_load_dwordx2 v[33:34], v[23:24], off offset:1024
	global_load_dwordx2 v[35:36], v[23:24], off offset:2048
	;; [unrolled: 1-line block ×3, first 2 shown]
	global_load_dwordx2 v[39:40], v[25:26], off
	global_load_dwordx2 v[41:42], v[25:26], off offset:1024
	global_load_dwordx2 v[43:44], v[25:26], off offset:2048
	;; [unrolled: 1-line block ×3, first 2 shown]
	s_mov_b32 s9, 0x18000
	v_add_co_u32_e32 v23, vcc, s9, v8
	v_addc_co_u32_e32 v24, vcc, 0, v9, vcc
	s_mov_b32 s9, 0x19000
	v_add_co_u32_e32 v25, vcc, s9, v8
	v_addc_co_u32_e32 v26, vcc, 0, v9, vcc
	;; [unrolled: 3-line block ×6, first 2 shown]
	s_waitcnt vmcnt(13)
	v_cmp_neq_f64_e32 vcc, 0, v[15:16]
	s_mov_b32 s9, 0x1f000
	global_load_dwordx2 v[47:48], v[23:24], off offset:1024
	global_load_dwordx2 v[49:50], v[23:24], off offset:2048
	s_nop 0
	global_load_dwordx2 v[23:24], v[23:24], off offset:3072
	s_nop 0
	global_load_dwordx2 v[51:52], v[25:26], off offset:-4096
	global_load_dwordx2 v[53:54], v[25:26], off
	global_load_dwordx2 v[55:56], v[25:26], off offset:1024
	global_load_dwordx2 v[57:58], v[25:26], off offset:2048
	s_nop 0
	global_load_dwordx2 v[25:26], v[25:26], off offset:3072
	s_nop 0
	global_load_dwordx2 v[63:64], v[61:62], off offset:-4096
	global_load_dwordx2 v[65:66], v[59:60], off offset:1024
	global_load_dwordx2 v[67:68], v[59:60], off offset:2048
	s_nop 0
	global_load_dwordx2 v[59:60], v[59:60], off offset:3072
	s_nop 0
	global_load_dwordx2 v[69:70], v[61:62], off
	global_load_dwordx2 v[71:72], v[61:62], off offset:1024
	global_load_dwordx2 v[73:74], v[61:62], off offset:2048
	s_nop 0
	global_load_dwordx2 v[61:62], v[61:62], off offset:3072
	s_nop 0
	global_load_dwordx2 v[79:80], v[77:78], off offset:-4096
	global_load_dwordx2 v[81:82], v[75:76], off offset:1024
	global_load_dwordx2 v[15:16], v[75:76], off offset:2048
	s_nop 0
	global_load_dwordx2 v[75:76], v[75:76], off offset:3072
	s_nop 0
	global_load_dwordx2 v[83:84], v[77:78], off
	global_load_dwordx2 v[85:86], v[77:78], off offset:1024
	global_load_dwordx2 v[92:93], v[77:78], off offset:2048
	v_cndmask_b32_e64 v96, 0, 1, vcc
	v_add_co_u32_e32 v8, vcc, s9, v8
	v_addc_co_u32_e32 v9, vcc, 0, v9, vcc
	s_waitcnt vmcnt(34)
	v_cmp_neq_f64_e32 vcc, 0, v[19:20]
	global_load_dwordx2 v[77:78], v[77:78], off offset:3072
	s_nop 0
	global_load_dwordx2 v[94:95], v[8:9], off offset:-4096
	global_load_dwordx2 v[19:20], v[88:89], off offset:1024
	s_nop 0
	global_load_dwordx2 v[87:88], v[88:89], off offset:2048
	v_cndmask_b32_e64 v97, 0, 1, vcc
	v_cmp_neq_f64_e32 vcc, 0, v[17:18]
	v_cndmask_b32_e64 v89, 0, 1, vcc
	s_waitcnt vmcnt(37)
	v_cmp_neq_f64_e32 vcc, 0, v[21:22]
	global_load_dwordx2 v[17:18], v[8:9], off
	global_load_dwordx2 v[21:22], v[8:9], off offset:1024
	v_cndmask_b32_e64 v98, 0, 1, vcc
	s_waitcnt vmcnt(38)
	v_cmp_neq_f64_e32 vcc, 0, v[27:28]
	global_load_dwordx2 v[27:28], v[8:9], off offset:2048
	s_nop 0
	global_load_dwordx2 v[8:9], v[8:9], off offset:3072
	v_cndmask_b32_e64 v99, 0, 1, vcc
	s_waitcnt vmcnt(39)
	v_cmp_neq_f64_e32 vcc, 0, v[29:30]
	v_cndmask_b32_e64 v29, 0, 1, vcc
	s_waitcnt vmcnt(38)
	v_cmp_neq_f64_e32 vcc, 0, v[31:32]
	;; [unrolled: 3-line block ×10, first 2 shown]
	v_cndmask_b32_e64 v38, 0, 1, vcc
	v_cmp_neq_f64_e32 vcc, 0, v[47:48]
	v_cndmask_b32_e64 v39, 0, 1, vcc
	v_cmp_neq_f64_e32 vcc, 0, v[49:50]
	;; [unrolled: 2-line block ×3, first 2 shown]
	v_cndmask_b32_e64 v23, 0, 1, vcc
	s_waitcnt vmcnt(26)
	v_cmp_neq_f64_e32 vcc, 0, v[53:54]
	v_cndmask_b32_e64 v24, 0, 1, vcc
	s_waitcnt vmcnt(25)
	v_cmp_neq_f64_e32 vcc, 0, v[55:56]
	;; [unrolled: 3-line block ×23, first 2 shown]
	v_cndmask_b32_e64 v20, 0, 1, vcc
	v_cmp_neq_f64_e32 vcc, 0, v[90:91]
	v_cndmask_b32_e64 v57, 0, 1, vcc
	s_waitcnt vmcnt(3)
	v_cmp_neq_f64_e32 vcc, 0, v[17:18]
	v_cndmask_b32_e64 v17, 0, 1, vcc
	s_waitcnt vmcnt(2)
	;; [unrolled: 3-line block ×4, first 2 shown]
	v_cmp_neq_f64_e32 vcc, 0, v[8:9]
	v_cndmask_b32_e64 v8, 0, 1, vcc
	v_cmp_neq_f64_e32 vcc, 0, v[5:6]
	v_cndmask_b32_e64 v5, 0, 1, vcc
	;; [unrolled: 2-line block ×3, first 2 shown]
	v_cmp_neq_f64_e32 vcc, 0, v[3:4]
	v_mbcnt_lo_u32_b32 v3, -1, 0
	v_mbcnt_hi_u32_b32 v3, -1, v3
	v_addc_co_u32_e32 v1, vcc, v5, v1, vcc
	v_add_co_u32_e32 v1, vcc, v1, v10
	v_addc_co_u32_e64 v2, s[10:11], 0, 0, vcc
	v_add_co_u32_e32 v1, vcc, v1, v11
	v_addc_co_u32_e32 v2, vcc, 0, v2, vcc
	v_add_co_u32_e32 v1, vcc, v1, v12
	v_addc_co_u32_e32 v2, vcc, 0, v2, vcc
	;; [unrolled: 2-line block ×124, first 2 shown]
	s_nop 0
	v_mov_b32_dpp v4, v1 quad_perm:[1,0,3,2] row_mask:0xf bank_mask:0xf bound_ctrl:1
	v_add_co_u32_e32 v1, vcc, v1, v4
	v_addc_co_u32_e32 v2, vcc, 0, v2, vcc
	v_mov_b32_dpp v5, v7 quad_perm:[1,0,3,2] row_mask:0xf bank_mask:0xf bound_ctrl:1
	v_add_co_u32_e32 v4, vcc, 0, v1
	v_addc_co_u32_e32 v2, vcc, v5, v2, vcc
	v_mov_b32_dpp v1, v1 quad_perm:[2,3,0,1] row_mask:0xf bank_mask:0xf bound_ctrl:1
	v_add_co_u32_e32 v1, vcc, v4, v1
	v_mov_b32_dpp v5, v2 quad_perm:[2,3,0,1] row_mask:0xf bank_mask:0xf bound_ctrl:1
	v_addc_co_u32_e32 v2, vcc, 0, v2, vcc
	v_add_co_u32_e32 v4, vcc, 0, v1
	v_addc_co_u32_e32 v2, vcc, v2, v5, vcc
	v_mov_b32_dpp v1, v1 row_ror:4 row_mask:0xf bank_mask:0xf bound_ctrl:1
	v_add_co_u32_e32 v1, vcc, v4, v1
	v_mov_b32_dpp v5, v2 row_ror:4 row_mask:0xf bank_mask:0xf bound_ctrl:1
	v_addc_co_u32_e32 v2, vcc, 0, v2, vcc
	v_add_co_u32_e32 v4, vcc, 0, v1
	v_addc_co_u32_e32 v2, vcc, v2, v5, vcc
	v_mov_b32_dpp v1, v1 row_ror:8 row_mask:0xf bank_mask:0xf bound_ctrl:1
	v_add_co_u32_e32 v1, vcc, v4, v1
	v_mov_b32_dpp v5, v2 row_ror:8 row_mask:0xf bank_mask:0xf bound_ctrl:1
	v_addc_co_u32_e32 v2, vcc, 0, v2, vcc
	v_add_co_u32_e32 v4, vcc, 0, v1
	v_addc_co_u32_e32 v2, vcc, v2, v5, vcc
	v_mov_b32_dpp v1, v1 row_bcast:15 row_mask:0xf bank_mask:0xf bound_ctrl:1
	v_add_co_u32_e32 v1, vcc, v4, v1
	v_mov_b32_dpp v5, v2 row_bcast:15 row_mask:0xf bank_mask:0xf bound_ctrl:1
	v_addc_co_u32_e32 v2, vcc, 0, v2, vcc
	v_add_co_u32_e32 v4, vcc, 0, v1
	v_addc_co_u32_e32 v2, vcc, v2, v5, vcc
	v_mov_b32_dpp v1, v1 row_bcast:31 row_mask:0xf bank_mask:0xf bound_ctrl:1
	v_add_co_u32_e32 v1, vcc, v4, v1
	v_addc_co_u32_e32 v4, vcc, 0, v2, vcc
	v_cmp_eq_u32_e32 vcc, 0, v3
	s_nop 0
	v_add_u32_dpp v2, v2, v4 row_bcast:31 row_mask:0xf bank_mask:0xf bound_ctrl:1
	v_lshlrev_b32_e32 v4, 2, v3
	v_or_b32_e32 v5, 0xfc, v4
	ds_bpermute_b32 v1, v5, v1
	ds_bpermute_b32 v2, v5, v2
	s_and_saveexec_b64 s[10:11], vcc
	s_cbranch_execz .LBB316_7
; %bb.6:
	v_lshrrev_b32_e32 v5, 3, v0
	v_and_b32_e32 v5, 8, v5
	s_waitcnt lgkmcnt(0)
	ds_write_b64 v5, v[1:2]
.LBB316_7:
	s_or_b64 exec, exec, s[10:11]
	v_cmp_gt_u32_e32 vcc, 64, v0
	s_waitcnt lgkmcnt(0)
	s_barrier
	s_and_saveexec_b64 s[10:11], vcc
	s_cbranch_execz .LBB316_9
; %bb.8:
	v_and_b32_e32 v1, 1, v3
	v_lshlrev_b32_e32 v1, 3, v1
	ds_read_b64 v[1:2], v1
	v_or_b32_e32 v3, 4, v4
	s_waitcnt lgkmcnt(0)
	ds_bpermute_b32 v4, v3, v1
	ds_bpermute_b32 v3, v3, v2
	s_waitcnt lgkmcnt(1)
	v_add_co_u32_e32 v1, vcc, v1, v4
	v_addc_co_u32_e32 v2, vcc, 0, v2, vcc
	v_add_co_u32_e32 v1, vcc, 0, v1
	s_waitcnt lgkmcnt(0)
	v_addc_co_u32_e32 v2, vcc, v2, v3, vcc
.LBB316_9:
	s_or_b64 exec, exec, s[10:11]
	s_mov_b64 s[10:11], 0
	s_branch .LBB316_22
.LBB316_10:
	s_mov_b64 s[2:3], 0
                                        ; implicit-def: $vgpr1_vgpr2
                                        ; implicit-def: $vgpr3_vgpr4
	s_cbranch_execnz .LBB316_592
	s_branch .LBB316_731
.LBB316_11:
	s_mov_b64 s[2:3], 0
                                        ; implicit-def: $vgpr1_vgpr2
                                        ; implicit-def: $vgpr3_vgpr4
	s_cbranch_execnz .LBB316_442
	s_branch .LBB316_591
.LBB316_12:
	s_mov_b64 s[0:1], -1
	s_mov_b64 s[2:3], 0
                                        ; implicit-def: $vgpr1_vgpr2
                                        ; implicit-def: $vgpr3_vgpr4
.LBB316_13:
	s_and_b64 vcc, exec, s[0:1]
	s_cbranch_vccz .LBB316_441
.LBB316_14:
	s_cmp_eq_u32 s26, 64
                                        ; implicit-def: $vgpr1_vgpr2
                                        ; implicit-def: $vgpr3_vgpr4
	s_cbranch_scc0 .LBB316_441
; %bb.15:
	s_mov_b32 s7, 0
	s_lshl_b32 s8, s6, 13
	s_mov_b32 s9, s7
	s_lshr_b64 s[0:1], s[20:21], 13
	s_lshl_b64 s[2:3], s[8:9], 3
	s_add_u32 s2, s18, s2
	s_addc_u32 s3, s19, s3
	s_cmp_lg_u64 s[0:1], s[6:7]
	s_cbranch_scc0 .LBB316_295
; %bb.16:
	v_lshlrev_b32_e32 v1, 3, v0
	v_mov_b32_e32 v2, s3
	v_add_co_u32_e32 v88, vcc, s2, v1
	v_addc_co_u32_e32 v89, vcc, 0, v2, vcc
	global_load_dwordx2 v[2:3], v1, s[2:3] offset:3072
	s_movk_i32 s0, 0x2000
	v_add_co_u32_e64 v6, s[0:1], s0, v88
	v_addc_co_u32_e64 v7, s[0:1], 0, v89, s[0:1]
	s_movk_i32 s0, 0x3000
	v_add_co_u32_e64 v8, s[0:1], s0, v88
	v_addc_co_u32_e64 v9, s[0:1], 0, v89, s[0:1]
	global_load_dwordx2 v[10:11], v[8:9], off offset:-4096
	global_load_dwordx2 v[12:13], v[6:7], off offset:1024
	global_load_dwordx2 v[14:15], v[6:7], off offset:2048
	v_add_co_u32_e32 v4, vcc, 0x1000, v88
	v_addc_co_u32_e32 v5, vcc, 0, v89, vcc
	global_load_dwordx2 v[16:17], v[6:7], off offset:3072
	global_load_dwordx2 v[18:19], v[8:9], off
	global_load_dwordx2 v[20:21], v[8:9], off offset:1024
	global_load_dwordx2 v[22:23], v[8:9], off offset:2048
	global_load_dwordx2 v[24:25], v[4:5], off
	global_load_dwordx2 v[26:27], v[4:5], off offset:1024
	global_load_dwordx2 v[28:29], v[4:5], off offset:2048
	;; [unrolled: 1-line block ×4, first 2 shown]
	s_movk_i32 s1, 0x5000
	v_add_co_u32_e32 v4, vcc, s1, v88
	s_movk_i32 s0, 0x4000
	v_addc_co_u32_e32 v5, vcc, 0, v89, vcc
	v_add_co_u32_e32 v8, vcc, s0, v88
	v_addc_co_u32_e32 v9, vcc, 0, v89, vcc
	s_mov_b32 s0, 0xe000
	v_add_co_u32_e32 v42, vcc, s0, v88
	v_addc_co_u32_e32 v43, vcc, 0, v89, vcc
	global_load_dwordx2 v[6:7], v[4:5], off offset:-4096
	global_load_dwordx2 v[34:35], v[8:9], off offset:1024
	global_load_dwordx2 v[36:37], v1, s[2:3]
	global_load_dwordx2 v[38:39], v1, s[2:3] offset:1024
	global_load_dwordx2 v[40:41], v1, s[2:3] offset:2048
	global_load_dwordx2 v[44:45], v[8:9], off offset:2048
	global_load_dwordx2 v[46:47], v[4:5], off
	global_load_dwordx2 v[48:49], v[42:43], off offset:3072
	s_movk_i32 s0, 0x6000
	v_mov_b32_e32 v1, 0
	s_waitcnt vmcnt(20)
	v_cmp_neq_f64_e32 vcc, 0, v[2:3]
	v_mov_b32_dpp v1, v1 quad_perm:[1,0,3,2] row_mask:0xf bank_mask:0xf bound_ctrl:1
	v_cndmask_b32_e64 v92, 0, 1, vcc
	s_waitcnt vmcnt(19)
	v_cmp_neq_f64_e32 vcc, 0, v[10:11]
	v_cndmask_b32_e64 v93, 0, 1, vcc
	s_waitcnt vmcnt(18)
	v_cmp_neq_f64_e32 vcc, 0, v[12:13]
	;; [unrolled: 3-line block ×8, first 2 shown]
	v_cndmask_b32_e64 v100, 0, 1, vcc
	v_cmp_neq_f64_e32 vcc, 0, v[24:25]
	v_cndmask_b32_e64 v101, 0, 1, vcc
	v_cmp_neq_f64_e32 vcc, 0, v[26:27]
	;; [unrolled: 2-line block ×4, first 2 shown]
	v_cndmask_b32_e64 v104, 0, 1, vcc
	s_waitcnt vmcnt(7)
	v_cmp_neq_f64_e32 vcc, 0, v[6:7]
	global_load_dwordx2 v[2:3], v[8:9], off offset:3072
	global_load_dwordx2 v[6:7], v[4:5], off offset:1024
	v_cndmask_b32_e64 v105, 0, 1, vcc
	s_waitcnt vmcnt(8)
	v_cmp_neq_f64_e32 vcc, 0, v[34:35]
	v_cndmask_b32_e64 v106, 0, 1, vcc
	v_add_co_u32_e32 v8, vcc, s0, v88
	v_addc_co_u32_e32 v9, vcc, 0, v89, vcc
	s_movk_i32 s0, 0x7000
	v_add_co_u32_e32 v10, vcc, s0, v88
	v_addc_co_u32_e32 v11, vcc, 0, v89, vcc
	global_load_dwordx2 v[12:13], v[4:5], off offset:2048
	global_load_dwordx2 v[14:15], v[4:5], off offset:3072
	global_load_dwordx2 v[16:17], v[10:11], off offset:-4096
	global_load_dwordx2 v[18:19], v[8:9], off offset:1024
	global_load_dwordx2 v[20:21], v[8:9], off offset:2048
	;; [unrolled: 1-line block ×3, first 2 shown]
	global_load_dwordx2 v[24:25], v[10:11], off
	global_load_dwordx2 v[26:27], v[10:11], off offset:1024
	global_load_dwordx2 v[28:29], v[10:11], off offset:2048
	;; [unrolled: 1-line block ×3, first 2 shown]
	s_mov_b32 s0, 0x8000
	v_add_co_u32_e32 v4, vcc, s0, v88
	v_addc_co_u32_e32 v5, vcc, 0, v89, vcc
	s_mov_b32 s0, 0x9000
	v_add_co_u32_e32 v8, vcc, s0, v88
	v_addc_co_u32_e32 v9, vcc, 0, v89, vcc
	s_mov_b32 s0, 0xa000
	global_load_dwordx2 v[10:11], v[4:5], off offset:1024
	global_load_dwordx2 v[32:33], v[4:5], off offset:2048
	;; [unrolled: 1-line block ×3, first 2 shown]
	global_load_dwordx2 v[50:51], v[8:9], off offset:-4096
	global_load_dwordx2 v[52:53], v[8:9], off
	global_load_dwordx2 v[54:55], v[8:9], off offset:1024
	global_load_dwordx2 v[56:57], v[8:9], off offset:2048
	v_add_co_u32_e32 v4, vcc, s0, v88
	v_addc_co_u32_e32 v5, vcc, 0, v89, vcc
	s_mov_b32 s0, 0xb000
	v_add_co_u32_e32 v58, vcc, s0, v88
	v_addc_co_u32_e32 v59, vcc, 0, v89, vcc
	s_mov_b32 s0, 0xc000
	global_load_dwordx2 v[60:61], v[8:9], off offset:3072
	global_load_dwordx2 v[62:63], v[58:59], off offset:-4096
	global_load_dwordx2 v[64:65], v[4:5], off offset:1024
	global_load_dwordx2 v[66:67], v[4:5], off offset:2048
	;; [unrolled: 1-line block ×3, first 2 shown]
	global_load_dwordx2 v[70:71], v[58:59], off
	global_load_dwordx2 v[72:73], v[58:59], off offset:1024
	global_load_dwordx2 v[74:75], v[58:59], off offset:2048
	;; [unrolled: 1-line block ×3, first 2 shown]
	v_add_co_u32_e32 v4, vcc, s0, v88
	v_addc_co_u32_e32 v5, vcc, 0, v89, vcc
	s_mov_b32 s0, 0xd000
	v_add_co_u32_e32 v8, vcc, s0, v88
	v_addc_co_u32_e32 v9, vcc, 0, v89, vcc
	s_waitcnt vmcnt(30)
	v_cmp_neq_f64_e32 vcc, 0, v[44:45]
	s_mov_b32 s0, 0xf000
	global_load_dwordx2 v[58:59], v[8:9], off offset:-4096
	global_load_dwordx2 v[78:79], v[4:5], off offset:1024
	global_load_dwordx2 v[44:45], v[4:5], off offset:2048
	;; [unrolled: 1-line block ×3, first 2 shown]
	global_load_dwordx2 v[82:83], v[8:9], off
	global_load_dwordx2 v[84:85], v[8:9], off offset:1024
	global_load_dwordx2 v[86:87], v[8:9], off offset:2048
	v_cndmask_b32_e64 v107, 0, 1, vcc
	v_add_co_u32_e32 v4, vcc, s0, v88
	v_addc_co_u32_e32 v5, vcc, 0, v89, vcc
	global_load_dwordx2 v[88:89], v[8:9], off offset:3072
	global_load_dwordx2 v[90:91], v[4:5], off offset:-4096
	s_waitcnt vmcnt(36)
	v_cmp_neq_f64_e32 vcc, 0, v[2:3]
	global_load_dwordx2 v[2:3], v[42:43], off offset:1024
	global_load_dwordx2 v[8:9], v[42:43], off offset:2048
	v_cndmask_b32_e64 v108, 0, 1, vcc
	v_cmp_neq_f64_e32 vcc, 0, v[46:47]
	v_cndmask_b32_e64 v109, 0, 1, vcc
	s_waitcnt vmcnt(37)
	v_cmp_neq_f64_e32 vcc, 0, v[6:7]
	global_load_dwordx2 v[6:7], v[4:5], off
	global_load_dwordx2 v[42:43], v[4:5], off offset:1024
	v_cndmask_b32_e64 v110, 0, 1, vcc
	s_waitcnt vmcnt(38)
	v_cmp_neq_f64_e32 vcc, 0, v[12:13]
	global_load_dwordx2 v[12:13], v[4:5], off offset:2048
	global_load_dwordx2 v[46:47], v[4:5], off offset:3072
	v_cndmask_b32_e64 v111, 0, 1, vcc
	s_waitcnt vmcnt(39)
	v_cmp_neq_f64_e32 vcc, 0, v[14:15]
	v_cndmask_b32_e64 v4, 0, 1, vcc
	s_waitcnt vmcnt(38)
	v_cmp_neq_f64_e32 vcc, 0, v[16:17]
	;; [unrolled: 3-line block ×10, first 2 shown]
	v_cndmask_b32_e64 v21, 0, 1, vcc
	v_cmp_neq_f64_e32 vcc, 0, v[10:11]
	v_cndmask_b32_e64 v10, 0, 1, vcc
	v_cmp_neq_f64_e32 vcc, 0, v[32:33]
	;; [unrolled: 2-line block ×3, first 2 shown]
	v_cndmask_b32_e64 v22, 0, 1, vcc
	s_waitcnt vmcnt(26)
	v_cmp_neq_f64_e32 vcc, 0, v[52:53]
	v_cndmask_b32_e64 v23, 0, 1, vcc
	s_waitcnt vmcnt(25)
	v_cmp_neq_f64_e32 vcc, 0, v[54:55]
	;; [unrolled: 3-line block ×23, first 2 shown]
	v_cndmask_b32_e64 v3, 0, 1, vcc
	v_cmp_neq_f64_e32 vcc, 0, v[48:49]
	v_cndmask_b32_e64 v8, 0, 1, vcc
	s_waitcnt vmcnt(3)
	v_cmp_neq_f64_e32 vcc, 0, v[6:7]
	v_cndmask_b32_e64 v6, 0, 1, vcc
	s_waitcnt vmcnt(2)
	;; [unrolled: 3-line block ×4, first 2 shown]
	v_cmp_neq_f64_e32 vcc, 0, v[46:47]
	v_cndmask_b32_e64 v12, 0, 1, vcc
	v_cmp_neq_f64_e32 vcc, 0, v[38:39]
	v_cndmask_b32_e64 v13, 0, 1, vcc
	;; [unrolled: 2-line block ×3, first 2 shown]
	v_cmp_neq_f64_e32 vcc, 0, v[40:41]
	v_addc_co_u32_e32 v13, vcc, v13, v36, vcc
	v_add_co_u32_e32 v13, vcc, v13, v92
	v_addc_co_u32_e64 v36, s[0:1], 0, 0, vcc
	v_add_co_u32_e32 v13, vcc, v13, v101
	v_addc_co_u32_e32 v36, vcc, 0, v36, vcc
	v_add_co_u32_e32 v13, vcc, v13, v102
	v_addc_co_u32_e32 v36, vcc, 0, v36, vcc
	;; [unrolled: 2-line block ×60, first 2 shown]
	s_nop 0
	v_mov_b32_dpp v5, v2 quad_perm:[1,0,3,2] row_mask:0xf bank_mask:0xf bound_ctrl:1
	v_add_co_u32_e32 v2, vcc, v2, v5
	v_addc_co_u32_e32 v4, vcc, 0, v4, vcc
	v_add_co_u32_e32 v5, vcc, 0, v2
	v_addc_co_u32_e32 v1, vcc, v1, v4, vcc
	v_mov_b32_dpp v2, v2 quad_perm:[2,3,0,1] row_mask:0xf bank_mask:0xf bound_ctrl:1
	v_add_co_u32_e32 v2, vcc, v5, v2
	v_mov_b32_dpp v4, v1 quad_perm:[2,3,0,1] row_mask:0xf bank_mask:0xf bound_ctrl:1
	v_addc_co_u32_e32 v1, vcc, 0, v1, vcc
	v_add_co_u32_e32 v5, vcc, 0, v2
	v_addc_co_u32_e32 v1, vcc, v1, v4, vcc
	v_mov_b32_dpp v2, v2 row_ror:4 row_mask:0xf bank_mask:0xf bound_ctrl:1
	v_add_co_u32_e32 v2, vcc, v5, v2
	v_mov_b32_dpp v4, v1 row_ror:4 row_mask:0xf bank_mask:0xf bound_ctrl:1
	v_addc_co_u32_e32 v1, vcc, 0, v1, vcc
	v_add_co_u32_e32 v5, vcc, 0, v2
	v_addc_co_u32_e32 v1, vcc, v1, v4, vcc
	v_mov_b32_dpp v2, v2 row_ror:8 row_mask:0xf bank_mask:0xf bound_ctrl:1
	v_add_co_u32_e32 v2, vcc, v5, v2
	v_mov_b32_dpp v4, v1 row_ror:8 row_mask:0xf bank_mask:0xf bound_ctrl:1
	v_addc_co_u32_e32 v1, vcc, 0, v1, vcc
	v_add_co_u32_e32 v5, vcc, 0, v2
	v_addc_co_u32_e32 v1, vcc, v1, v4, vcc
	v_mov_b32_dpp v2, v2 row_bcast:15 row_mask:0xf bank_mask:0xf bound_ctrl:1
	v_add_co_u32_e32 v2, vcc, v5, v2
	v_mov_b32_dpp v4, v1 row_bcast:15 row_mask:0xf bank_mask:0xf bound_ctrl:1
	v_addc_co_u32_e32 v1, vcc, 0, v1, vcc
	v_add_co_u32_e32 v5, vcc, 0, v2
	v_addc_co_u32_e32 v1, vcc, v1, v4, vcc
	v_mov_b32_dpp v2, v2 row_bcast:31 row_mask:0xf bank_mask:0xf bound_ctrl:1
	v_mbcnt_lo_u32_b32 v3, -1, 0
	v_add_co_u32_e32 v2, vcc, v5, v2
	v_mbcnt_hi_u32_b32 v3, -1, v3
	v_addc_co_u32_e32 v4, vcc, 0, v1, vcc
	v_cmp_eq_u32_e32 vcc, 0, v3
	s_nop 0
	v_add_u32_dpp v5, v1, v4 row_bcast:31 row_mask:0xf bank_mask:0xf bound_ctrl:1
	v_lshlrev_b32_e32 v4, 2, v3
	v_or_b32_e32 v6, 0xfc, v4
	ds_bpermute_b32 v1, v6, v2
	ds_bpermute_b32 v2, v6, v5
	s_and_saveexec_b64 s[0:1], vcc
	s_cbranch_execz .LBB316_18
; %bb.17:
	v_lshrrev_b32_e32 v5, 3, v0
	v_and_b32_e32 v5, 8, v5
	s_waitcnt lgkmcnt(0)
	ds_write_b64 v5, v[1:2] offset:96
.LBB316_18:
	s_or_b64 exec, exec, s[0:1]
	v_cmp_gt_u32_e32 vcc, 64, v0
	s_waitcnt lgkmcnt(0)
	s_barrier
	s_and_saveexec_b64 s[0:1], vcc
	s_cbranch_execz .LBB316_20
; %bb.19:
	v_and_b32_e32 v1, 1, v3
	v_lshlrev_b32_e32 v1, 3, v1
	ds_read_b64 v[1:2], v1 offset:96
	v_or_b32_e32 v3, 4, v4
	s_waitcnt lgkmcnt(0)
	ds_bpermute_b32 v4, v3, v1
	ds_bpermute_b32 v3, v3, v2
	s_waitcnt lgkmcnt(1)
	v_add_co_u32_e32 v1, vcc, v1, v4
	v_addc_co_u32_e32 v2, vcc, 0, v2, vcc
	v_add_co_u32_e32 v1, vcc, 0, v1
	s_waitcnt lgkmcnt(0)
	v_addc_co_u32_e32 v2, vcc, v2, v3, vcc
.LBB316_20:
	s_or_b64 exec, exec, s[0:1]
	s_mov_b64 s[0:1], 0
	s_branch .LBB316_296
.LBB316_21:
	s_mov_b64 s[10:11], -1
                                        ; implicit-def: $vgpr1_vgpr2
.LBB316_22:
	s_and_b64 vcc, exec, s[10:11]
	s_cbranch_vccz .LBB316_294
; %bb.23:
	s_sub_i32 s10, s20, s8
	v_cmp_gt_u32_e32 vcc, s10, v0
                                        ; implicit-def: $vgpr1_vgpr2
                                        ; kill: killed $vgpr1_vgpr2
	s_and_saveexec_b64 s[8:9], vcc
	s_cbranch_execz .LBB316_25
; %bb.24:
	v_lshlrev_b32_e32 v1, 3, v0
	global_load_dwordx2 v[1:2], v1, s[2:3]
	s_mov_b32 s11, 0
	s_waitcnt vmcnt(0)
	v_cmp_neq_f64_e32 vcc, 0, v[1:2]
	v_mov_b32_e32 v2, s11
	v_cndmask_b32_e64 v1, 0, 1, vcc
	buffer_store_dword v1, off, s[36:39], 0 offset:8 ; 4-byte Folded Spill
	s_nop 0
	buffer_store_dword v2, off, s[36:39], 0 offset:12 ; 4-byte Folded Spill
.LBB316_25:
	s_or_b64 exec, exec, s[8:9]
	v_or_b32_e32 v1, 0x80, v0
	v_mov_b32_e32 v3, 0
	v_mov_b32_e32 v5, 0
	;; [unrolled: 1-line block ×4, first 2 shown]
	v_cmp_gt_u32_e32 vcc, s10, v1
	s_and_saveexec_b64 s[8:9], vcc
	s_cbranch_execz .LBB316_27
; %bb.26:
	v_lshlrev_b32_e32 v1, 3, v0
	global_load_dwordx2 v[1:2], v1, s[2:3] offset:1024
	s_mov_b32 s11, 0
	v_mov_b32_e32 v6, s11
	s_waitcnt vmcnt(0)
	v_cmp_neq_f64_e32 vcc, 0, v[1:2]
	v_cndmask_b32_e64 v5, 0, 1, vcc
.LBB316_27:
	s_or_b64 exec, exec, s[8:9]
	v_or_b32_e32 v1, 0x100, v0
	v_cmp_gt_u32_e32 vcc, s10, v1
	s_and_saveexec_b64 s[8:9], vcc
	s_cbranch_execz .LBB316_29
; %bb.28:
	v_lshlrev_b32_e32 v1, 3, v0
	global_load_dwordx2 v[1:2], v1, s[2:3] offset:2048
	s_mov_b32 s11, 0
	v_mov_b32_e32 v4, s11
	s_waitcnt vmcnt(0)
	v_cmp_neq_f64_e32 vcc, 0, v[1:2]
	v_cndmask_b32_e64 v3, 0, 1, vcc
.LBB316_29:
	s_or_b64 exec, exec, s[8:9]
	v_or_b32_e32 v1, 0x180, v0
	v_mov_b32_e32 v7, 0
	v_mov_b32_e32 v9, 0
	;; [unrolled: 1-line block ×4, first 2 shown]
	v_cmp_gt_u32_e32 vcc, s10, v1
	buffer_store_dword v7, off, s[36:39], 0 ; 4-byte Folded Spill
	s_nop 0
	buffer_store_dword v8, off, s[36:39], 0 offset:4 ; 4-byte Folded Spill
	s_and_saveexec_b64 s[8:9], vcc
	s_cbranch_execz .LBB316_31
; %bb.30:
	v_lshlrev_b32_e32 v1, 3, v0
	global_load_dwordx2 v[1:2], v1, s[2:3] offset:3072
	s_mov_b32 s11, 0
	v_mov_b32_e32 v10, s11
	s_waitcnt vmcnt(0)
	v_cmp_neq_f64_e32 vcc, 0, v[1:2]
	v_cndmask_b32_e64 v9, 0, 1, vcc
.LBB316_31:
	s_or_b64 exec, exec, s[8:9]
	v_or_b32_e32 v1, 0x200, v0
	v_cmp_gt_u32_e32 vcc, s10, v1
	s_and_saveexec_b64 s[8:9], vcc
	s_cbranch_execz .LBB316_33
; %bb.32:
	v_lshlrev_b32_e32 v1, 3, v1
	global_load_dwordx2 v[1:2], v1, s[2:3]
	s_mov_b32 s11, 0
	s_waitcnt vmcnt(0)
	v_cmp_neq_f64_e32 vcc, 0, v[1:2]
	v_mov_b32_e32 v2, s11
	v_cndmask_b32_e64 v1, 0, 1, vcc
	buffer_store_dword v1, off, s[36:39], 0 ; 4-byte Folded Spill
	s_nop 0
	buffer_store_dword v2, off, s[36:39], 0 offset:4 ; 4-byte Folded Spill
.LBB316_33:
	s_or_b64 exec, exec, s[8:9]
	v_or_b32_e32 v1, 0x280, v0
	v_mov_b32_e32 v11, 0
	v_mov_b32_e32 v13, 0
	v_mov_b32_e32 v12, 0
	v_mov_b32_e32 v14, 0
	v_cmp_gt_u32_e32 vcc, s10, v1
	s_and_saveexec_b64 s[8:9], vcc
	s_cbranch_execz .LBB316_35
; %bb.34:
	v_lshlrev_b32_e32 v1, 3, v1
	global_load_dwordx2 v[1:2], v1, s[2:3]
	s_mov_b32 s11, 0
	v_mov_b32_e32 v14, s11
	s_waitcnt vmcnt(0)
	v_cmp_neq_f64_e32 vcc, 0, v[1:2]
	v_cndmask_b32_e64 v13, 0, 1, vcc
.LBB316_35:
	s_or_b64 exec, exec, s[8:9]
	v_or_b32_e32 v1, 0x300, v0
	v_cmp_gt_u32_e32 vcc, s10, v1
	s_and_saveexec_b64 s[8:9], vcc
	s_cbranch_execz .LBB316_37
; %bb.36:
	v_lshlrev_b32_e32 v1, 3, v1
	global_load_dwordx2 v[1:2], v1, s[2:3]
	s_mov_b32 s11, 0
	v_mov_b32_e32 v12, s11
	s_waitcnt vmcnt(0)
	v_cmp_neq_f64_e32 vcc, 0, v[1:2]
	v_cndmask_b32_e64 v11, 0, 1, vcc
.LBB316_37:
	s_or_b64 exec, exec, s[8:9]
	v_or_b32_e32 v1, 0x380, v0
	v_mov_b32_e32 v15, 0
	v_mov_b32_e32 v17, 0
	v_mov_b32_e32 v16, 0
	v_mov_b32_e32 v18, 0
	v_cmp_gt_u32_e32 vcc, s10, v1
	s_and_saveexec_b64 s[8:9], vcc
	s_cbranch_execz .LBB316_39
; %bb.38:
	v_lshlrev_b32_e32 v1, 3, v1
	global_load_dwordx2 v[1:2], v1, s[2:3]
	s_mov_b32 s11, 0
	v_mov_b32_e32 v18, s11
	s_waitcnt vmcnt(0)
	v_cmp_neq_f64_e32 vcc, 0, v[1:2]
	v_cndmask_b32_e64 v17, 0, 1, vcc
.LBB316_39:
	s_or_b64 exec, exec, s[8:9]
	v_or_b32_e32 v1, 0x400, v0
	v_cmp_gt_u32_e32 vcc, s10, v1
	s_and_saveexec_b64 s[8:9], vcc
	s_cbranch_execz .LBB316_41
; %bb.40:
	v_lshlrev_b32_e32 v1, 3, v1
	global_load_dwordx2 v[1:2], v1, s[2:3]
	s_mov_b32 s11, 0
	v_mov_b32_e32 v16, s11
	s_waitcnt vmcnt(0)
	v_cmp_neq_f64_e32 vcc, 0, v[1:2]
	v_cndmask_b32_e64 v15, 0, 1, vcc
.LBB316_41:
	;; [unrolled: 32-line block ×61, first 2 shown]
	s_or_b64 exec, exec, s[8:9]
	v_mov_b32_e32 v8, v4
	v_or_b32_e32 v255, 0x3f80, v0
	v_mov_b32_e32 v1, 0
	v_mov_b32_e32 v7, v3
	;; [unrolled: 1-line block ×3, first 2 shown]
	v_cmp_gt_u32_e32 vcc, s10, v255
	s_and_saveexec_b64 s[8:9], vcc
	s_cbranch_execz .LBB316_279
; %bb.278:
	v_lshlrev_b32_e32 v1, 3, v255
	global_load_dwordx2 v[1:2], v1, s[2:3]
	s_mov_b32 s2, 0
	s_waitcnt vmcnt(0)
	v_cmp_neq_f64_e32 vcc, 0, v[1:2]
	v_mov_b32_e32 v2, s2
	v_cndmask_b32_e64 v1, 0, 1, vcc
.LBB316_279:
	s_or_b64 exec, exec, s[8:9]
	buffer_load_dword v3, off, s[36:39], 0 offset:8 ; 4-byte Folded Reload
	buffer_load_dword v4, off, s[36:39], 0 offset:12 ; 4-byte Folded Reload
	s_min_u32 s8, s10, 0x80
	s_waitcnt vmcnt(1)
	v_add_co_u32_e32 v5, vcc, v5, v3
	s_waitcnt vmcnt(0)
	v_addc_co_u32_e32 v6, vcc, v6, v4, vcc
	v_add_co_u32_e32 v3, vcc, v5, v7
	v_addc_co_u32_e32 v4, vcc, v6, v8, vcc
	buffer_load_dword v5, off, s[36:39], 0  ; 4-byte Folded Reload
	buffer_load_dword v6, off, s[36:39], 0 offset:4 ; 4-byte Folded Reload
	v_add_co_u32_e32 v3, vcc, v3, v9
	v_addc_co_u32_e32 v4, vcc, v4, v10, vcc
	s_waitcnt vmcnt(1)
	v_add_co_u32_e32 v3, vcc, v3, v5
	s_waitcnt vmcnt(0)
	v_addc_co_u32_e32 v4, vcc, v4, v6, vcc
	v_add_co_u32_e32 v3, vcc, v3, v13
	v_addc_co_u32_e32 v4, vcc, v4, v14, vcc
	v_add_co_u32_e32 v3, vcc, v3, v11
	;; [unrolled: 2-line block ×123, first 2 shown]
	v_mbcnt_lo_u32_b32 v3, -1, 0
	v_mbcnt_hi_u32_b32 v3, -1, v3
	v_addc_co_u32_e32 v2, vcc, v4, v2, vcc
	v_and_b32_e32 v4, 63, v3
	v_cmp_ne_u32_e32 vcc, 63, v4
	v_addc_co_u32_e32 v6, vcc, 0, v3, vcc
	v_lshlrev_b32_e32 v6, 2, v6
	ds_bpermute_b32 v8, v6, v1
	ds_bpermute_b32 v7, v6, v2
	v_and_b32_e32 v5, 64, v0
	v_sub_u32_e64 v5, s8, v5 clamp
	v_add_u32_e32 v6, 1, v4
	v_cmp_lt_u32_e32 vcc, v6, v5
	v_mov_b32_e32 v6, v1
	s_and_saveexec_b64 s[2:3], vcc
	s_cbranch_execz .LBB316_281
; %bb.280:
	s_waitcnt lgkmcnt(1)
	v_add_co_u32_e32 v6, vcc, v1, v8
	v_addc_co_u32_e32 v2, vcc, 0, v2, vcc
	v_add_co_u32_e32 v1, vcc, 0, v6
	s_waitcnt lgkmcnt(0)
	v_addc_co_u32_e32 v2, vcc, v7, v2, vcc
.LBB316_281:
	s_or_b64 exec, exec, s[2:3]
	v_cmp_gt_u32_e32 vcc, 62, v4
	s_waitcnt lgkmcnt(0)
	v_cndmask_b32_e64 v7, 0, 2, vcc
	v_add_lshl_u32 v7, v7, v3, 2
	ds_bpermute_b32 v8, v7, v6
	ds_bpermute_b32 v7, v7, v2
	v_add_u32_e32 v9, 2, v4
	v_cmp_lt_u32_e32 vcc, v9, v5
	s_and_saveexec_b64 s[2:3], vcc
	s_cbranch_execz .LBB316_283
; %bb.282:
	s_waitcnt lgkmcnt(1)
	v_add_co_u32_e32 v6, vcc, v1, v8
	v_addc_co_u32_e32 v2, vcc, 0, v2, vcc
	v_add_co_u32_e32 v1, vcc, 0, v6
	s_waitcnt lgkmcnt(0)
	v_addc_co_u32_e32 v2, vcc, v7, v2, vcc
.LBB316_283:
	s_or_b64 exec, exec, s[2:3]
	v_cmp_gt_u32_e32 vcc, 60, v4
	s_waitcnt lgkmcnt(0)
	v_cndmask_b32_e64 v7, 0, 4, vcc
	v_add_lshl_u32 v7, v7, v3, 2
	ds_bpermute_b32 v8, v7, v6
	ds_bpermute_b32 v7, v7, v2
	v_add_u32_e32 v9, 4, v4
	v_cmp_lt_u32_e32 vcc, v9, v5
	;; [unrolled: 19-line block ×4, first 2 shown]
	s_and_saveexec_b64 s[2:3], vcc
	s_cbranch_execz .LBB316_289
; %bb.288:
	s_waitcnt lgkmcnt(1)
	v_add_co_u32_e32 v6, vcc, v1, v8
	v_addc_co_u32_e32 v2, vcc, 0, v2, vcc
	v_add_co_u32_e32 v1, vcc, 0, v6
	s_waitcnt lgkmcnt(0)
	v_addc_co_u32_e32 v2, vcc, v7, v2, vcc
.LBB316_289:
	s_or_b64 exec, exec, s[2:3]
	s_waitcnt lgkmcnt(0)
	v_lshlrev_b32_e32 v7, 2, v3
	v_or_b32_e32 v8, 0x80, v7
	ds_bpermute_b32 v6, v8, v6
	ds_bpermute_b32 v8, v8, v2
	v_add_u32_e32 v4, 32, v4
	s_waitcnt lgkmcnt(1)
	v_add_co_u32_e32 v6, vcc, v1, v6
	v_addc_co_u32_e32 v9, vcc, 0, v2, vcc
	v_add_co_u32_e32 v6, vcc, 0, v6
	s_waitcnt lgkmcnt(0)
	v_addc_co_u32_e32 v8, vcc, v9, v8, vcc
	v_cmp_lt_u32_e32 vcc, v4, v5
	v_cndmask_b32_e32 v2, v2, v8, vcc
	v_cndmask_b32_e32 v1, v1, v6, vcc
	v_cmp_eq_u32_e32 vcc, 0, v3
	s_and_saveexec_b64 s[2:3], vcc
; %bb.290:
	v_lshrrev_b32_e32 v4, 3, v0
	v_and_b32_e32 v4, 8, v4
	ds_write_b64 v4, v[1:2] offset:128
; %bb.291:
	s_or_b64 exec, exec, s[2:3]
	v_cmp_gt_u32_e32 vcc, 2, v0
	s_waitcnt lgkmcnt(0)
	s_barrier
	s_and_saveexec_b64 s[2:3], vcc
	s_cbranch_execz .LBB316_293
; %bb.292:
	v_lshlrev_b32_e32 v1, 3, v3
	ds_read_b64 v[1:2], v1 offset:128
	v_or_b32_e32 v4, 4, v7
	s_add_i32 s8, s8, 63
	v_and_b32_e32 v3, 1, v3
	s_lshr_b32 s8, s8, 6
	s_waitcnt lgkmcnt(0)
	ds_bpermute_b32 v5, v4, v2
	ds_bpermute_b32 v4, v4, v1
	v_add_u32_e32 v3, 1, v3
	v_cmp_gt_u32_e32 vcc, s8, v3
	s_waitcnt lgkmcnt(1)
	v_cndmask_b32_e32 v3, 0, v5, vcc
	s_waitcnt lgkmcnt(0)
	v_cndmask_b32_e32 v4, 0, v4, vcc
	v_add_co_u32_e32 v1, vcc, v4, v1
	v_addc_co_u32_e32 v2, vcc, v3, v2, vcc
.LBB316_293:
	s_or_b64 exec, exec, s[2:3]
.LBB316_294:
	v_mov_b32_e32 v3, s6
	v_cmp_eq_u32_e64 s[2:3], 0, v0
	v_mov_b32_e32 v4, s7
	s_and_b64 vcc, exec, s[0:1]
	s_cbranch_vccnz .LBB316_14
	s_branch .LBB316_441
.LBB316_295:
	s_mov_b64 s[0:1], -1
                                        ; implicit-def: $vgpr1_vgpr2
.LBB316_296:
	s_and_b64 vcc, exec, s[0:1]
	s_cbranch_vccz .LBB316_440
; %bb.297:
	s_sub_i32 s8, s20, s8
	v_cmp_gt_u32_e32 vcc, s8, v0
                                        ; implicit-def: $vgpr1_vgpr2
	s_and_saveexec_b64 s[0:1], vcc
	s_cbranch_execz .LBB316_299
; %bb.298:
	v_lshlrev_b32_e32 v1, 3, v0
	global_load_dwordx2 v[1:2], v1, s[2:3]
	s_mov_b32 s9, 0
	s_waitcnt vmcnt(0)
	v_cmp_neq_f64_e32 vcc, 0, v[1:2]
	v_mov_b32_e32 v2, s9
	v_cndmask_b32_e64 v1, 0, 1, vcc
.LBB316_299:
	s_or_b64 exec, exec, s[0:1]
	v_or_b32_e32 v7, 0x80, v0
	v_mov_b32_e32 v3, 0
	v_mov_b32_e32 v5, 0
	v_mov_b32_e32 v4, 0
	v_mov_b32_e32 v6, 0
	v_cmp_gt_u32_e32 vcc, s8, v7
	s_and_saveexec_b64 s[0:1], vcc
	s_cbranch_execz .LBB316_301
; %bb.300:
	v_lshlrev_b32_e32 v5, 3, v0
	global_load_dwordx2 v[5:6], v5, s[2:3] offset:1024
	s_mov_b32 s9, 0
	s_waitcnt vmcnt(0)
	v_cmp_neq_f64_e32 vcc, 0, v[5:6]
	v_mov_b32_e32 v6, s9
	v_cndmask_b32_e64 v5, 0, 1, vcc
.LBB316_301:
	s_or_b64 exec, exec, s[0:1]
	v_or_b32_e32 v7, 0x100, v0
	v_cmp_gt_u32_e32 vcc, s8, v7
	s_and_saveexec_b64 s[0:1], vcc
	s_cbranch_execz .LBB316_303
; %bb.302:
	v_lshlrev_b32_e32 v3, 3, v0
	global_load_dwordx2 v[3:4], v3, s[2:3] offset:2048
	s_mov_b32 s9, 0
	s_waitcnt vmcnt(0)
	v_cmp_neq_f64_e32 vcc, 0, v[3:4]
	v_mov_b32_e32 v4, s9
	v_cndmask_b32_e64 v3, 0, 1, vcc
.LBB316_303:
	s_or_b64 exec, exec, s[0:1]
	v_or_b32_e32 v11, 0x180, v0
	v_mov_b32_e32 v7, 0
	v_mov_b32_e32 v9, 0
	v_mov_b32_e32 v8, 0
	v_mov_b32_e32 v10, 0
	v_cmp_gt_u32_e32 vcc, s8, v11
	s_and_saveexec_b64 s[0:1], vcc
	s_cbranch_execz .LBB316_305
; %bb.304:
	v_lshlrev_b32_e32 v9, 3, v0
	global_load_dwordx2 v[9:10], v9, s[2:3] offset:3072
	s_mov_b32 s9, 0
	s_waitcnt vmcnt(0)
	v_cmp_neq_f64_e32 vcc, 0, v[9:10]
	v_mov_b32_e32 v10, s9
	v_cndmask_b32_e64 v9, 0, 1, vcc
.LBB316_305:
	s_or_b64 exec, exec, s[0:1]
	v_or_b32_e32 v11, 0x200, v0
	v_cmp_gt_u32_e32 vcc, s8, v11
	s_and_saveexec_b64 s[0:1], vcc
	s_cbranch_execz .LBB316_307
; %bb.306:
	v_lshlrev_b32_e32 v7, 3, v11
	global_load_dwordx2 v[7:8], v7, s[2:3]
	s_mov_b32 s9, 0
	s_waitcnt vmcnt(0)
	v_cmp_neq_f64_e32 vcc, 0, v[7:8]
	v_mov_b32_e32 v8, s9
	v_cndmask_b32_e64 v7, 0, 1, vcc
.LBB316_307:
	s_or_b64 exec, exec, s[0:1]
	v_or_b32_e32 v15, 0x280, v0
	v_mov_b32_e32 v11, 0
	v_mov_b32_e32 v13, 0
	v_mov_b32_e32 v12, 0
	v_mov_b32_e32 v14, 0
	v_cmp_gt_u32_e32 vcc, s8, v15
	s_and_saveexec_b64 s[0:1], vcc
	s_cbranch_execz .LBB316_309
; %bb.308:
	v_lshlrev_b32_e32 v13, 3, v15
	global_load_dwordx2 v[13:14], v13, s[2:3]
	s_mov_b32 s9, 0
	s_waitcnt vmcnt(0)
	v_cmp_neq_f64_e32 vcc, 0, v[13:14]
	v_mov_b32_e32 v14, s9
	v_cndmask_b32_e64 v13, 0, 1, vcc
.LBB316_309:
	s_or_b64 exec, exec, s[0:1]
	v_or_b32_e32 v15, 0x300, v0
	v_cmp_gt_u32_e32 vcc, s8, v15
	s_and_saveexec_b64 s[0:1], vcc
	s_cbranch_execz .LBB316_311
; %bb.310:
	v_lshlrev_b32_e32 v11, 3, v15
	global_load_dwordx2 v[11:12], v11, s[2:3]
	s_mov_b32 s9, 0
	s_waitcnt vmcnt(0)
	v_cmp_neq_f64_e32 vcc, 0, v[11:12]
	v_mov_b32_e32 v12, s9
	v_cndmask_b32_e64 v11, 0, 1, vcc
.LBB316_311:
	s_or_b64 exec, exec, s[0:1]
	v_or_b32_e32 v19, 0x380, v0
	v_mov_b32_e32 v15, 0
	v_mov_b32_e32 v17, 0
	v_mov_b32_e32 v16, 0
	v_mov_b32_e32 v18, 0
	v_cmp_gt_u32_e32 vcc, s8, v19
	s_and_saveexec_b64 s[0:1], vcc
	s_cbranch_execz .LBB316_313
; %bb.312:
	v_lshlrev_b32_e32 v17, 3, v19
	global_load_dwordx2 v[17:18], v17, s[2:3]
	s_mov_b32 s9, 0
	s_waitcnt vmcnt(0)
	v_cmp_neq_f64_e32 vcc, 0, v[17:18]
	v_mov_b32_e32 v18, s9
	v_cndmask_b32_e64 v17, 0, 1, vcc
.LBB316_313:
	;; [unrolled: 32-line block ×29, first 2 shown]
	s_or_b64 exec, exec, s[0:1]
	v_or_b32_e32 v127, 0x1f00, v0
	v_cmp_gt_u32_e32 vcc, s8, v127
	s_and_saveexec_b64 s[0:1], vcc
	s_cbranch_execz .LBB316_423
; %bb.422:
	v_lshlrev_b32_e32 v123, 3, v127
	global_load_dwordx2 v[123:124], v123, s[2:3]
	s_mov_b32 s9, 0
	s_waitcnt vmcnt(0)
	v_cmp_neq_f64_e32 vcc, 0, v[123:124]
	v_mov_b32_e32 v124, s9
	v_cndmask_b32_e64 v123, 0, 1, vcc
.LBB316_423:
	s_or_b64 exec, exec, s[0:1]
	v_or_b32_e32 v129, 0x1f80, v0
	v_mov_b32_e32 v127, 0
	v_mov_b32_e32 v128, 0
	v_cmp_gt_u32_e32 vcc, s8, v129
	s_and_saveexec_b64 s[0:1], vcc
	s_cbranch_execz .LBB316_425
; %bb.424:
	v_lshlrev_b32_e32 v127, 3, v129
	global_load_dwordx2 v[127:128], v127, s[2:3]
	s_mov_b32 s2, 0
	s_waitcnt vmcnt(0)
	v_cmp_neq_f64_e32 vcc, 0, v[127:128]
	v_mov_b32_e32 v128, s2
	v_cndmask_b32_e64 v127, 0, 1, vcc
.LBB316_425:
	s_or_b64 exec, exec, s[0:1]
	v_add_co_u32_e32 v1, vcc, v5, v1
	v_addc_co_u32_e32 v2, vcc, v6, v2, vcc
	v_add_co_u32_e32 v1, vcc, v1, v3
	v_addc_co_u32_e32 v2, vcc, v2, v4, vcc
	;; [unrolled: 2-line block ×62, first 2 shown]
	v_mbcnt_lo_u32_b32 v3, -1, 0
	v_add_co_u32_e32 v1, vcc, v1, v127
	v_mbcnt_hi_u32_b32 v3, -1, v3
	v_addc_co_u32_e32 v2, vcc, v2, v128, vcc
	v_and_b32_e32 v4, 63, v3
	v_cmp_ne_u32_e32 vcc, 63, v4
	v_addc_co_u32_e32 v6, vcc, 0, v3, vcc
	v_lshlrev_b32_e32 v6, 2, v6
	ds_bpermute_b32 v8, v6, v1
	ds_bpermute_b32 v7, v6, v2
	s_min_u32 s2, s8, 0x80
	v_and_b32_e32 v5, 64, v0
	v_sub_u32_e64 v5, s2, v5 clamp
	v_add_u32_e32 v6, 1, v4
	v_cmp_lt_u32_e32 vcc, v6, v5
	v_mov_b32_e32 v6, v1
	s_and_saveexec_b64 s[0:1], vcc
	s_cbranch_execz .LBB316_427
; %bb.426:
	s_waitcnt lgkmcnt(1)
	v_add_co_u32_e32 v6, vcc, v1, v8
	v_addc_co_u32_e32 v2, vcc, 0, v2, vcc
	v_add_co_u32_e32 v1, vcc, 0, v6
	s_waitcnt lgkmcnt(0)
	v_addc_co_u32_e32 v2, vcc, v7, v2, vcc
.LBB316_427:
	s_or_b64 exec, exec, s[0:1]
	v_cmp_gt_u32_e32 vcc, 62, v4
	s_waitcnt lgkmcnt(0)
	v_cndmask_b32_e64 v7, 0, 2, vcc
	v_add_lshl_u32 v7, v7, v3, 2
	ds_bpermute_b32 v8, v7, v6
	ds_bpermute_b32 v7, v7, v2
	v_add_u32_e32 v9, 2, v4
	v_cmp_lt_u32_e32 vcc, v9, v5
	s_and_saveexec_b64 s[0:1], vcc
	s_cbranch_execz .LBB316_429
; %bb.428:
	s_waitcnt lgkmcnt(1)
	v_add_co_u32_e32 v6, vcc, v1, v8
	v_addc_co_u32_e32 v2, vcc, 0, v2, vcc
	v_add_co_u32_e32 v1, vcc, 0, v6
	s_waitcnt lgkmcnt(0)
	v_addc_co_u32_e32 v2, vcc, v7, v2, vcc
.LBB316_429:
	s_or_b64 exec, exec, s[0:1]
	v_cmp_gt_u32_e32 vcc, 60, v4
	s_waitcnt lgkmcnt(0)
	v_cndmask_b32_e64 v7, 0, 4, vcc
	v_add_lshl_u32 v7, v7, v3, 2
	ds_bpermute_b32 v8, v7, v6
	ds_bpermute_b32 v7, v7, v2
	v_add_u32_e32 v9, 4, v4
	v_cmp_lt_u32_e32 vcc, v9, v5
	;; [unrolled: 19-line block ×4, first 2 shown]
	s_and_saveexec_b64 s[0:1], vcc
	s_cbranch_execz .LBB316_435
; %bb.434:
	s_waitcnt lgkmcnt(1)
	v_add_co_u32_e32 v6, vcc, v1, v8
	v_addc_co_u32_e32 v2, vcc, 0, v2, vcc
	v_add_co_u32_e32 v1, vcc, 0, v6
	s_waitcnt lgkmcnt(0)
	v_addc_co_u32_e32 v2, vcc, v7, v2, vcc
.LBB316_435:
	s_or_b64 exec, exec, s[0:1]
	s_waitcnt lgkmcnt(0)
	v_lshlrev_b32_e32 v7, 2, v3
	v_or_b32_e32 v8, 0x80, v7
	ds_bpermute_b32 v6, v8, v6
	ds_bpermute_b32 v8, v8, v2
	v_add_u32_e32 v4, 32, v4
	s_waitcnt lgkmcnt(1)
	v_add_co_u32_e32 v6, vcc, v1, v6
	v_addc_co_u32_e32 v9, vcc, 0, v2, vcc
	v_add_co_u32_e32 v6, vcc, 0, v6
	s_waitcnt lgkmcnt(0)
	v_addc_co_u32_e32 v8, vcc, v9, v8, vcc
	v_cmp_lt_u32_e32 vcc, v4, v5
	v_cndmask_b32_e32 v2, v2, v8, vcc
	v_cndmask_b32_e32 v1, v1, v6, vcc
	v_cmp_eq_u32_e32 vcc, 0, v3
	s_and_saveexec_b64 s[0:1], vcc
; %bb.436:
	v_lshrrev_b32_e32 v4, 3, v0
	v_and_b32_e32 v4, 8, v4
	ds_write_b64 v4, v[1:2] offset:128
; %bb.437:
	s_or_b64 exec, exec, s[0:1]
	v_cmp_gt_u32_e32 vcc, 2, v0
	s_waitcnt lgkmcnt(0)
	s_barrier
	s_and_saveexec_b64 s[0:1], vcc
	s_cbranch_execz .LBB316_439
; %bb.438:
	v_lshlrev_b32_e32 v1, 3, v3
	ds_read_b64 v[1:2], v1 offset:128
	v_or_b32_e32 v4, 4, v7
	s_add_i32 s2, s2, 63
	v_and_b32_e32 v3, 1, v3
	s_lshr_b32 s2, s2, 6
	s_waitcnt lgkmcnt(0)
	ds_bpermute_b32 v5, v4, v2
	ds_bpermute_b32 v4, v4, v1
	v_add_u32_e32 v3, 1, v3
	v_cmp_gt_u32_e32 vcc, s2, v3
	s_waitcnt lgkmcnt(1)
	v_cndmask_b32_e32 v3, 0, v5, vcc
	s_waitcnt lgkmcnt(0)
	v_cndmask_b32_e32 v4, 0, v4, vcc
	v_add_co_u32_e32 v1, vcc, v4, v1
	v_addc_co_u32_e32 v2, vcc, v3, v2, vcc
.LBB316_439:
	s_or_b64 exec, exec, s[0:1]
.LBB316_440:
	v_mov_b32_e32 v3, s6
	v_cmp_eq_u32_e64 s[2:3], 0, v0
	v_mov_b32_e32 v4, s7
.LBB316_441:
	s_branch .LBB316_591
.LBB316_442:
	s_cmp_gt_i32 s26, 31
	s_cbranch_scc0 .LBB316_450
; %bb.443:
	s_cmp_eq_u32 s26, 32
                                        ; implicit-def: $vgpr1_vgpr2
                                        ; implicit-def: $vgpr3_vgpr4
	s_cbranch_scc0 .LBB316_451
; %bb.444:
	s_mov_b32 s7, 0
	s_lshl_b32 s2, s6, 12
	s_mov_b32 s3, s7
	s_lshr_b64 s[8:9], s[20:21], 12
	s_lshl_b64 s[0:1], s[2:3], 3
	s_add_u32 s0, s18, s0
	s_addc_u32 s1, s19, s1
	s_cmp_lg_u64 s[8:9], s[6:7]
	s_cbranch_scc0 .LBB316_452
; %bb.445:
	v_lshlrev_b32_e32 v69, 3, v0
	v_mov_b32_e32 v1, s1
	v_add_co_u32_e32 v49, vcc, s0, v69
	v_addc_co_u32_e32 v50, vcc, 0, v1, vcc
	global_load_dwordx2 v[1:2], v69, s[0:1] offset:3072
	v_add_co_u32_e32 v3, vcc, 0x1000, v49
	v_addc_co_u32_e32 v4, vcc, 0, v50, vcc
	global_load_dwordx2 v[5:6], v[3:4], off
	global_load_dwordx2 v[7:8], v[3:4], off offset:1024
	global_load_dwordx2 v[9:10], v[3:4], off offset:2048
	;; [unrolled: 1-line block ×3, first 2 shown]
	s_movk_i32 s3, 0x2000
	v_add_co_u32_e32 v3, vcc, s3, v49
	v_addc_co_u32_e32 v4, vcc, 0, v50, vcc
	s_movk_i32 s3, 0x3000
	v_add_co_u32_e32 v13, vcc, s3, v49
	v_addc_co_u32_e32 v14, vcc, 0, v50, vcc
	global_load_dwordx2 v[15:16], v[3:4], off offset:1024
	global_load_dwordx2 v[17:18], v[3:4], off offset:2048
	;; [unrolled: 1-line block ×3, first 2 shown]
	global_load_dwordx2 v[21:22], v[13:14], off offset:-4096
	global_load_dwordx2 v[23:24], v[13:14], off
	global_load_dwordx2 v[25:26], v[13:14], off offset:1024
	global_load_dwordx2 v[27:28], v[13:14], off offset:2048
	s_movk_i32 s3, 0x4000
	v_add_co_u32_e32 v3, vcc, s3, v49
	v_addc_co_u32_e32 v4, vcc, 0, v50, vcc
	s_movk_i32 s3, 0x5000
	v_add_co_u32_e32 v29, vcc, s3, v49
	v_addc_co_u32_e32 v30, vcc, 0, v50, vcc
	s_movk_i32 s8, 0x7000
	global_load_dwordx2 v[31:32], v[13:14], off offset:3072
	global_load_dwordx2 v[33:34], v[29:30], off offset:-4096
	global_load_dwordx2 v[35:36], v[3:4], off offset:1024
	global_load_dwordx2 v[37:38], v[3:4], off offset:2048
	;; [unrolled: 1-line block ×3, first 2 shown]
	global_load_dwordx2 v[41:42], v[29:30], off
	v_add_co_u32_e32 v3, vcc, s8, v49
	s_movk_i32 s3, 0x6000
	v_addc_co_u32_e32 v4, vcc, 0, v50, vcc
	global_load_dwordx2 v[13:14], v[29:30], off offset:1024
	global_load_dwordx2 v[43:44], v[29:30], off offset:2048
	;; [unrolled: 1-line block ×3, first 2 shown]
	global_load_dwordx2 v[47:48], v[3:4], off offset:-4096
	v_add_co_u32_e32 v29, vcc, s3, v49
	v_addc_co_u32_e32 v30, vcc, 0, v50, vcc
	global_load_dwordx2 v[49:50], v[29:30], off offset:1024
	global_load_dwordx2 v[51:52], v[29:30], off offset:2048
	;; [unrolled: 1-line block ×3, first 2 shown]
	global_load_dwordx2 v[55:56], v[3:4], off
	global_load_dwordx2 v[57:58], v[3:4], off offset:1024
	global_load_dwordx2 v[59:60], v[3:4], off offset:2048
	;; [unrolled: 1-line block ×3, first 2 shown]
	global_load_dwordx2 v[63:64], v69, s[0:1] offset:1024
	global_load_dwordx2 v[65:66], v69, s[0:1]
	global_load_dwordx2 v[67:68], v69, s[0:1] offset:2048
	v_mov_b32_e32 v4, 0
	s_waitcnt vmcnt(31)
	v_cmp_neq_f64_e32 vcc, 0, v[1:2]
	v_mov_b32_dpp v4, v4 quad_perm:[1,0,3,2] row_mask:0xf bank_mask:0xf bound_ctrl:1
	v_cndmask_b32_e64 v1, 0, 1, vcc
	s_waitcnt vmcnt(30)
	v_cmp_neq_f64_e32 vcc, 0, v[5:6]
	v_cndmask_b32_e64 v2, 0, 1, vcc
	s_waitcnt vmcnt(29)
	v_cmp_neq_f64_e32 vcc, 0, v[7:8]
	;; [unrolled: 3-line block ×5, first 2 shown]
	v_cndmask_b32_e64 v7, 0, 1, vcc
	v_cmp_neq_f64_e32 vcc, 0, v[15:16]
	v_cndmask_b32_e64 v8, 0, 1, vcc
	v_cmp_neq_f64_e32 vcc, 0, v[17:18]
	;; [unrolled: 2-line block ×3, first 2 shown]
	v_cndmask_b32_e64 v10, 0, 1, vcc
	s_waitcnt vmcnt(22)
	v_cmp_neq_f64_e32 vcc, 0, v[23:24]
	v_cndmask_b32_e64 v11, 0, 1, vcc
	s_waitcnt vmcnt(21)
	v_cmp_neq_f64_e32 vcc, 0, v[25:26]
	;; [unrolled: 3-line block ×23, first 2 shown]
	v_addc_co_u32_e32 v31, vcc, v31, v32, vcc
	v_add_co_u32_e32 v1, vcc, v31, v1
	v_addc_co_u32_e64 v31, s[8:9], 0, 0, vcc
	v_add_co_u32_e32 v1, vcc, v1, v2
	v_addc_co_u32_e32 v2, vcc, 0, v31, vcc
	v_add_co_u32_e32 v1, vcc, v1, v3
	v_addc_co_u32_e32 v2, vcc, 0, v2, vcc
	;; [unrolled: 2-line block ×28, first 2 shown]
	s_nop 0
	v_mov_b32_dpp v5, v1 quad_perm:[1,0,3,2] row_mask:0xf bank_mask:0xf bound_ctrl:1
	v_add_co_u32_e32 v1, vcc, v1, v5
	v_addc_co_u32_e32 v2, vcc, 0, v2, vcc
	v_add_co_u32_e32 v5, vcc, 0, v1
	v_addc_co_u32_e32 v2, vcc, v4, v2, vcc
	v_mov_b32_dpp v1, v1 quad_perm:[2,3,0,1] row_mask:0xf bank_mask:0xf bound_ctrl:1
	v_add_co_u32_e32 v1, vcc, v5, v1
	v_mov_b32_dpp v4, v2 quad_perm:[2,3,0,1] row_mask:0xf bank_mask:0xf bound_ctrl:1
	v_addc_co_u32_e32 v2, vcc, 0, v2, vcc
	v_add_co_u32_e32 v5, vcc, 0, v1
	v_addc_co_u32_e32 v2, vcc, v2, v4, vcc
	v_mov_b32_dpp v1, v1 row_ror:4 row_mask:0xf bank_mask:0xf bound_ctrl:1
	v_add_co_u32_e32 v1, vcc, v5, v1
	v_mov_b32_dpp v4, v2 row_ror:4 row_mask:0xf bank_mask:0xf bound_ctrl:1
	v_addc_co_u32_e32 v2, vcc, 0, v2, vcc
	v_add_co_u32_e32 v5, vcc, 0, v1
	v_addc_co_u32_e32 v2, vcc, v2, v4, vcc
	v_mov_b32_dpp v1, v1 row_ror:8 row_mask:0xf bank_mask:0xf bound_ctrl:1
	v_add_co_u32_e32 v1, vcc, v5, v1
	v_mov_b32_dpp v4, v2 row_ror:8 row_mask:0xf bank_mask:0xf bound_ctrl:1
	v_addc_co_u32_e32 v2, vcc, 0, v2, vcc
	v_add_co_u32_e32 v5, vcc, 0, v1
	v_addc_co_u32_e32 v2, vcc, v2, v4, vcc
	v_mov_b32_dpp v1, v1 row_bcast:15 row_mask:0xf bank_mask:0xf bound_ctrl:1
	v_add_co_u32_e32 v1, vcc, v5, v1
	v_mov_b32_dpp v4, v2 row_bcast:15 row_mask:0xf bank_mask:0xf bound_ctrl:1
	v_addc_co_u32_e32 v2, vcc, 0, v2, vcc
	v_add_co_u32_e32 v5, vcc, 0, v1
	v_addc_co_u32_e32 v2, vcc, v2, v4, vcc
	v_mov_b32_dpp v1, v1 row_bcast:31 row_mask:0xf bank_mask:0xf bound_ctrl:1
	v_mbcnt_lo_u32_b32 v3, -1, 0
	v_add_co_u32_e32 v1, vcc, v5, v1
	v_mbcnt_hi_u32_b32 v3, -1, v3
	v_addc_co_u32_e32 v4, vcc, 0, v2, vcc
	v_cmp_eq_u32_e32 vcc, 0, v3
	s_nop 0
	v_add_u32_dpp v2, v2, v4 row_bcast:31 row_mask:0xf bank_mask:0xf bound_ctrl:1
	v_lshlrev_b32_e32 v4, 2, v3
	v_or_b32_e32 v5, 0xfc, v4
	ds_bpermute_b32 v1, v5, v1
	ds_bpermute_b32 v2, v5, v2
	s_and_saveexec_b64 s[8:9], vcc
	s_cbranch_execz .LBB316_447
; %bb.446:
	v_lshrrev_b32_e32 v5, 3, v0
	v_and_b32_e32 v5, 8, v5
	s_waitcnt lgkmcnt(0)
	ds_write_b64 v5, v[1:2] offset:64
.LBB316_447:
	s_or_b64 exec, exec, s[8:9]
	v_cmp_gt_u32_e32 vcc, 64, v0
	s_waitcnt lgkmcnt(0)
	s_barrier
	s_and_saveexec_b64 s[8:9], vcc
	s_cbranch_execz .LBB316_449
; %bb.448:
	v_and_b32_e32 v1, 1, v3
	v_lshlrev_b32_e32 v1, 3, v1
	ds_read_b64 v[1:2], v1 offset:64
	v_or_b32_e32 v3, 4, v4
	s_waitcnt lgkmcnt(0)
	ds_bpermute_b32 v4, v3, v1
	ds_bpermute_b32 v3, v3, v2
	s_waitcnt lgkmcnt(1)
	v_add_co_u32_e32 v1, vcc, v1, v4
	v_addc_co_u32_e32 v2, vcc, 0, v2, vcc
	v_add_co_u32_e32 v1, vcc, 0, v1
	s_waitcnt lgkmcnt(0)
	v_addc_co_u32_e32 v2, vcc, v2, v3, vcc
.LBB316_449:
	s_or_b64 exec, exec, s[8:9]
	s_mov_b64 s[8:9], 0
	s_branch .LBB316_453
.LBB316_450:
                                        ; implicit-def: $vgpr1_vgpr2
                                        ; implicit-def: $vgpr3_vgpr4
	s_cbranch_execnz .LBB316_534
	s_branch .LBB316_591
.LBB316_451:
	s_branch .LBB316_591
.LBB316_452:
	s_mov_b64 s[8:9], -1
                                        ; implicit-def: $vgpr1_vgpr2
.LBB316_453:
	s_and_b64 vcc, exec, s[8:9]
	s_cbranch_vccz .LBB316_533
; %bb.454:
	s_sub_i32 s8, s20, s2
	v_cmp_gt_u32_e32 vcc, s8, v0
                                        ; implicit-def: $vgpr1_vgpr2
	s_and_saveexec_b64 s[2:3], vcc
	s_cbranch_execz .LBB316_456
; %bb.455:
	v_lshlrev_b32_e32 v1, 3, v0
	global_load_dwordx2 v[1:2], v1, s[0:1]
	s_mov_b32 s9, 0
	s_waitcnt vmcnt(0)
	v_cmp_neq_f64_e32 vcc, 0, v[1:2]
	v_mov_b32_e32 v2, s9
	v_cndmask_b32_e64 v1, 0, 1, vcc
.LBB316_456:
	s_or_b64 exec, exec, s[2:3]
	v_or_b32_e32 v7, 0x80, v0
	v_mov_b32_e32 v3, 0
	v_mov_b32_e32 v5, 0
	v_mov_b32_e32 v4, 0
	v_mov_b32_e32 v6, 0
	v_cmp_gt_u32_e32 vcc, s8, v7
	s_and_saveexec_b64 s[2:3], vcc
	s_cbranch_execz .LBB316_458
; %bb.457:
	v_lshlrev_b32_e32 v5, 3, v0
	global_load_dwordx2 v[5:6], v5, s[0:1] offset:1024
	s_mov_b32 s9, 0
	s_waitcnt vmcnt(0)
	v_cmp_neq_f64_e32 vcc, 0, v[5:6]
	v_mov_b32_e32 v6, s9
	v_cndmask_b32_e64 v5, 0, 1, vcc
.LBB316_458:
	s_or_b64 exec, exec, s[2:3]
	v_or_b32_e32 v7, 0x100, v0
	v_cmp_gt_u32_e32 vcc, s8, v7
	s_and_saveexec_b64 s[2:3], vcc
	s_cbranch_execz .LBB316_460
; %bb.459:
	v_lshlrev_b32_e32 v3, 3, v0
	global_load_dwordx2 v[3:4], v3, s[0:1] offset:2048
	s_mov_b32 s9, 0
	s_waitcnt vmcnt(0)
	v_cmp_neq_f64_e32 vcc, 0, v[3:4]
	v_mov_b32_e32 v4, s9
	v_cndmask_b32_e64 v3, 0, 1, vcc
.LBB316_460:
	s_or_b64 exec, exec, s[2:3]
	v_or_b32_e32 v11, 0x180, v0
	v_mov_b32_e32 v7, 0
	v_mov_b32_e32 v9, 0
	;; [unrolled: 1-line block ×4, first 2 shown]
	v_cmp_gt_u32_e32 vcc, s8, v11
	s_and_saveexec_b64 s[2:3], vcc
	s_cbranch_execz .LBB316_462
; %bb.461:
	v_lshlrev_b32_e32 v9, 3, v0
	global_load_dwordx2 v[9:10], v9, s[0:1] offset:3072
	s_mov_b32 s9, 0
	s_waitcnt vmcnt(0)
	v_cmp_neq_f64_e32 vcc, 0, v[9:10]
	v_mov_b32_e32 v10, s9
	v_cndmask_b32_e64 v9, 0, 1, vcc
.LBB316_462:
	s_or_b64 exec, exec, s[2:3]
	v_or_b32_e32 v11, 0x200, v0
	v_cmp_gt_u32_e32 vcc, s8, v11
	s_and_saveexec_b64 s[2:3], vcc
	s_cbranch_execz .LBB316_464
; %bb.463:
	v_lshlrev_b32_e32 v7, 3, v11
	global_load_dwordx2 v[7:8], v7, s[0:1]
	s_mov_b32 s9, 0
	s_waitcnt vmcnt(0)
	v_cmp_neq_f64_e32 vcc, 0, v[7:8]
	v_mov_b32_e32 v8, s9
	v_cndmask_b32_e64 v7, 0, 1, vcc
.LBB316_464:
	s_or_b64 exec, exec, s[2:3]
	v_or_b32_e32 v15, 0x280, v0
	v_mov_b32_e32 v11, 0
	v_mov_b32_e32 v13, 0
	v_mov_b32_e32 v12, 0
	v_mov_b32_e32 v14, 0
	v_cmp_gt_u32_e32 vcc, s8, v15
	s_and_saveexec_b64 s[2:3], vcc
	s_cbranch_execz .LBB316_466
; %bb.465:
	v_lshlrev_b32_e32 v13, 3, v15
	global_load_dwordx2 v[13:14], v13, s[0:1]
	s_mov_b32 s9, 0
	s_waitcnt vmcnt(0)
	v_cmp_neq_f64_e32 vcc, 0, v[13:14]
	v_mov_b32_e32 v14, s9
	v_cndmask_b32_e64 v13, 0, 1, vcc
.LBB316_466:
	s_or_b64 exec, exec, s[2:3]
	v_or_b32_e32 v15, 0x300, v0
	v_cmp_gt_u32_e32 vcc, s8, v15
	s_and_saveexec_b64 s[2:3], vcc
	s_cbranch_execz .LBB316_468
; %bb.467:
	v_lshlrev_b32_e32 v11, 3, v15
	global_load_dwordx2 v[11:12], v11, s[0:1]
	s_mov_b32 s9, 0
	s_waitcnt vmcnt(0)
	v_cmp_neq_f64_e32 vcc, 0, v[11:12]
	v_mov_b32_e32 v12, s9
	v_cndmask_b32_e64 v11, 0, 1, vcc
.LBB316_468:
	s_or_b64 exec, exec, s[2:3]
	v_or_b32_e32 v19, 0x380, v0
	v_mov_b32_e32 v15, 0
	v_mov_b32_e32 v17, 0
	v_mov_b32_e32 v16, 0
	v_mov_b32_e32 v18, 0
	v_cmp_gt_u32_e32 vcc, s8, v19
	s_and_saveexec_b64 s[2:3], vcc
	s_cbranch_execz .LBB316_470
; %bb.469:
	v_lshlrev_b32_e32 v17, 3, v19
	global_load_dwordx2 v[17:18], v17, s[0:1]
	s_mov_b32 s9, 0
	s_waitcnt vmcnt(0)
	v_cmp_neq_f64_e32 vcc, 0, v[17:18]
	v_mov_b32_e32 v18, s9
	v_cndmask_b32_e64 v17, 0, 1, vcc
.LBB316_470:
	;; [unrolled: 32-line block ×13, first 2 shown]
	s_or_b64 exec, exec, s[2:3]
	v_or_b32_e32 v63, 0xf00, v0
	v_cmp_gt_u32_e32 vcc, s8, v63
	s_and_saveexec_b64 s[2:3], vcc
	s_cbranch_execz .LBB316_516
; %bb.515:
	v_lshlrev_b32_e32 v59, 3, v63
	global_load_dwordx2 v[59:60], v59, s[0:1]
	s_mov_b32 s9, 0
	s_waitcnt vmcnt(0)
	v_cmp_neq_f64_e32 vcc, 0, v[59:60]
	v_mov_b32_e32 v60, s9
	v_cndmask_b32_e64 v59, 0, 1, vcc
.LBB316_516:
	s_or_b64 exec, exec, s[2:3]
	v_or_b32_e32 v65, 0xf80, v0
	v_mov_b32_e32 v63, 0
	v_mov_b32_e32 v64, 0
	v_cmp_gt_u32_e32 vcc, s8, v65
	s_and_saveexec_b64 s[2:3], vcc
	s_cbranch_execz .LBB316_518
; %bb.517:
	v_lshlrev_b32_e32 v63, 3, v65
	global_load_dwordx2 v[63:64], v63, s[0:1]
	s_mov_b32 s0, 0
	s_waitcnt vmcnt(0)
	v_cmp_neq_f64_e32 vcc, 0, v[63:64]
	v_mov_b32_e32 v64, s0
	v_cndmask_b32_e64 v63, 0, 1, vcc
.LBB316_518:
	s_or_b64 exec, exec, s[2:3]
	v_add_co_u32_e32 v1, vcc, v5, v1
	v_addc_co_u32_e32 v2, vcc, v6, v2, vcc
	v_add_co_u32_e32 v1, vcc, v1, v3
	v_addc_co_u32_e32 v2, vcc, v2, v4, vcc
	;; [unrolled: 2-line block ×30, first 2 shown]
	v_mbcnt_lo_u32_b32 v3, -1, 0
	v_add_co_u32_e32 v1, vcc, v1, v63
	v_mbcnt_hi_u32_b32 v3, -1, v3
	v_addc_co_u32_e32 v2, vcc, v2, v64, vcc
	v_and_b32_e32 v4, 63, v3
	v_cmp_ne_u32_e32 vcc, 63, v4
	v_addc_co_u32_e32 v6, vcc, 0, v3, vcc
	v_lshlrev_b32_e32 v6, 2, v6
	ds_bpermute_b32 v8, v6, v1
	ds_bpermute_b32 v7, v6, v2
	s_min_u32 s2, s8, 0x80
	v_and_b32_e32 v5, 64, v0
	v_sub_u32_e64 v5, s2, v5 clamp
	v_add_u32_e32 v6, 1, v4
	v_cmp_lt_u32_e32 vcc, v6, v5
	v_mov_b32_e32 v6, v1
	s_and_saveexec_b64 s[0:1], vcc
	s_cbranch_execz .LBB316_520
; %bb.519:
	s_waitcnt lgkmcnt(1)
	v_add_co_u32_e32 v6, vcc, v1, v8
	v_addc_co_u32_e32 v2, vcc, 0, v2, vcc
	v_add_co_u32_e32 v1, vcc, 0, v6
	s_waitcnt lgkmcnt(0)
	v_addc_co_u32_e32 v2, vcc, v7, v2, vcc
.LBB316_520:
	s_or_b64 exec, exec, s[0:1]
	v_cmp_gt_u32_e32 vcc, 62, v4
	s_waitcnt lgkmcnt(0)
	v_cndmask_b32_e64 v7, 0, 2, vcc
	v_add_lshl_u32 v7, v7, v3, 2
	ds_bpermute_b32 v8, v7, v6
	ds_bpermute_b32 v7, v7, v2
	v_add_u32_e32 v9, 2, v4
	v_cmp_lt_u32_e32 vcc, v9, v5
	s_and_saveexec_b64 s[0:1], vcc
	s_cbranch_execz .LBB316_522
; %bb.521:
	s_waitcnt lgkmcnt(1)
	v_add_co_u32_e32 v6, vcc, v1, v8
	v_addc_co_u32_e32 v2, vcc, 0, v2, vcc
	v_add_co_u32_e32 v1, vcc, 0, v6
	s_waitcnt lgkmcnt(0)
	v_addc_co_u32_e32 v2, vcc, v7, v2, vcc
.LBB316_522:
	s_or_b64 exec, exec, s[0:1]
	v_cmp_gt_u32_e32 vcc, 60, v4
	s_waitcnt lgkmcnt(0)
	v_cndmask_b32_e64 v7, 0, 4, vcc
	v_add_lshl_u32 v7, v7, v3, 2
	ds_bpermute_b32 v8, v7, v6
	ds_bpermute_b32 v7, v7, v2
	v_add_u32_e32 v9, 4, v4
	v_cmp_lt_u32_e32 vcc, v9, v5
	;; [unrolled: 19-line block ×4, first 2 shown]
	s_and_saveexec_b64 s[0:1], vcc
	s_cbranch_execz .LBB316_528
; %bb.527:
	s_waitcnt lgkmcnt(1)
	v_add_co_u32_e32 v6, vcc, v1, v8
	v_addc_co_u32_e32 v2, vcc, 0, v2, vcc
	v_add_co_u32_e32 v1, vcc, 0, v6
	s_waitcnt lgkmcnt(0)
	v_addc_co_u32_e32 v2, vcc, v7, v2, vcc
.LBB316_528:
	s_or_b64 exec, exec, s[0:1]
	s_waitcnt lgkmcnt(0)
	v_lshlrev_b32_e32 v7, 2, v3
	v_or_b32_e32 v8, 0x80, v7
	ds_bpermute_b32 v6, v8, v6
	ds_bpermute_b32 v8, v8, v2
	v_add_u32_e32 v4, 32, v4
	s_waitcnt lgkmcnt(1)
	v_add_co_u32_e32 v6, vcc, v1, v6
	v_addc_co_u32_e32 v9, vcc, 0, v2, vcc
	v_add_co_u32_e32 v6, vcc, 0, v6
	s_waitcnt lgkmcnt(0)
	v_addc_co_u32_e32 v8, vcc, v9, v8, vcc
	v_cmp_lt_u32_e32 vcc, v4, v5
	v_cndmask_b32_e32 v2, v2, v8, vcc
	v_cndmask_b32_e32 v1, v1, v6, vcc
	v_cmp_eq_u32_e32 vcc, 0, v3
	s_and_saveexec_b64 s[0:1], vcc
; %bb.529:
	v_lshrrev_b32_e32 v4, 3, v0
	v_and_b32_e32 v4, 8, v4
	ds_write_b64 v4, v[1:2] offset:128
; %bb.530:
	s_or_b64 exec, exec, s[0:1]
	v_cmp_gt_u32_e32 vcc, 2, v0
	s_waitcnt lgkmcnt(0)
	s_barrier
	s_and_saveexec_b64 s[0:1], vcc
	s_cbranch_execz .LBB316_532
; %bb.531:
	v_lshlrev_b32_e32 v1, 3, v3
	ds_read_b64 v[1:2], v1 offset:128
	v_or_b32_e32 v4, 4, v7
	s_add_i32 s2, s2, 63
	v_and_b32_e32 v3, 1, v3
	s_lshr_b32 s2, s2, 6
	s_waitcnt lgkmcnt(0)
	ds_bpermute_b32 v5, v4, v2
	ds_bpermute_b32 v4, v4, v1
	v_add_u32_e32 v3, 1, v3
	v_cmp_gt_u32_e32 vcc, s2, v3
	s_waitcnt lgkmcnt(1)
	v_cndmask_b32_e32 v3, 0, v5, vcc
	s_waitcnt lgkmcnt(0)
	v_cndmask_b32_e32 v4, 0, v4, vcc
	v_add_co_u32_e32 v1, vcc, v4, v1
	v_addc_co_u32_e32 v2, vcc, v3, v2, vcc
.LBB316_532:
	s_or_b64 exec, exec, s[0:1]
.LBB316_533:
	v_mov_b32_e32 v3, s6
	v_cmp_eq_u32_e64 s[2:3], 0, v0
	v_mov_b32_e32 v4, s7
	s_branch .LBB316_591
.LBB316_534:
	s_cmp_eq_u32 s26, 16
                                        ; implicit-def: $vgpr1_vgpr2
                                        ; implicit-def: $vgpr3_vgpr4
	s_cbranch_scc0 .LBB316_591
; %bb.535:
	s_mov_b32 s7, 0
	s_lshl_b32 s2, s6, 11
	s_mov_b32 s3, s7
	s_lshr_b64 s[8:9], s[20:21], 11
	s_lshl_b64 s[0:1], s[2:3], 3
	s_add_u32 s0, s18, s0
	s_addc_u32 s1, s19, s1
	s_cmp_lg_u64 s[8:9], s[6:7]
	s_cbranch_scc0 .LBB316_541
; %bb.536:
	v_lshlrev_b32_e32 v9, 3, v0
	v_mov_b32_e32 v1, s1
	v_add_co_u32_e32 v29, vcc, s0, v9
	v_addc_co_u32_e32 v30, vcc, 0, v1, vcc
	global_load_dwordx2 v[1:2], v9, s[0:1] offset:1024
	global_load_dwordx2 v[3:4], v9, s[0:1] offset:2048
	;; [unrolled: 1-line block ×3, first 2 shown]
	global_load_dwordx2 v[7:8], v9, s[0:1]
	s_movk_i32 s8, 0x3000
	v_add_co_u32_e32 v9, vcc, s8, v29
	v_addc_co_u32_e32 v10, vcc, 0, v30, vcc
	global_load_dwordx2 v[11:12], v[9:10], off offset:-4096
	s_movk_i32 s3, 0x2000
	v_add_co_u32_e32 v13, vcc, s3, v29
	v_addc_co_u32_e32 v14, vcc, 0, v30, vcc
	global_load_dwordx2 v[15:16], v[13:14], off offset:1024
	global_load_dwordx2 v[17:18], v[13:14], off offset:2048
	;; [unrolled: 1-line block ×3, first 2 shown]
	global_load_dwordx2 v[21:22], v[9:10], off
	global_load_dwordx2 v[23:24], v[9:10], off offset:1024
	global_load_dwordx2 v[25:26], v[9:10], off offset:2048
	;; [unrolled: 1-line block ×3, first 2 shown]
	v_add_co_u32_e32 v9, vcc, 0x1000, v29
	v_addc_co_u32_e32 v10, vcc, 0, v30, vcc
	global_load_dwordx2 v[13:14], v[9:10], off
	global_load_dwordx2 v[29:30], v[9:10], off offset:1024
	global_load_dwordx2 v[31:32], v[9:10], off offset:2048
	;; [unrolled: 1-line block ×3, first 2 shown]
	v_mov_b32_e32 v9, 0
	s_waitcnt vmcnt(13)
	v_cmp_neq_f64_e32 vcc, 0, v[5:6]
	v_cndmask_b32_e64 v5, 0, 1, vcc
	v_cmp_neq_f64_e32 vcc, 0, v[1:2]
	v_cndmask_b32_e64 v1, 0, 1, vcc
	s_waitcnt vmcnt(12)
	v_cmp_neq_f64_e32 vcc, 0, v[7:8]
	v_cndmask_b32_e64 v2, 0, 1, vcc
	v_cmp_neq_f64_e32 vcc, 0, v[3:4]
	v_addc_co_u32_e32 v1, vcc, v1, v2, vcc
	s_waitcnt vmcnt(11)
	v_cmp_neq_f64_e32 vcc, 0, v[11:12]
	v_cndmask_b32_e64 v2, 0, 1, vcc
	s_waitcnt vmcnt(10)
	v_cmp_neq_f64_e32 vcc, 0, v[15:16]
	v_cndmask_b32_e64 v3, 0, 1, vcc
	;; [unrolled: 3-line block ×8, first 2 shown]
	v_add_co_u32_e32 v1, vcc, v1, v5
	v_addc_co_u32_e64 v5, s[8:9], 0, 0, vcc
	s_waitcnt vmcnt(3)
	v_cmp_neq_f64_e32 vcc, 0, v[13:14]
	v_cndmask_b32_e64 v12, 0, 1, vcc
	s_waitcnt vmcnt(2)
	v_cmp_neq_f64_e32 vcc, 0, v[29:30]
	v_cndmask_b32_e64 v13, 0, 1, vcc
	s_waitcnt vmcnt(1)
	v_cmp_neq_f64_e32 vcc, 0, v[31:32]
	v_cndmask_b32_e64 v14, 0, 1, vcc
	s_waitcnt vmcnt(0)
	v_cmp_neq_f64_e32 vcc, 0, v[33:34]
	v_cndmask_b32_e64 v15, 0, 1, vcc
	v_add_co_u32_e32 v1, vcc, v1, v12
	v_addc_co_u32_e32 v5, vcc, 0, v5, vcc
	v_add_co_u32_e32 v1, vcc, v1, v13
	v_addc_co_u32_e32 v5, vcc, 0, v5, vcc
	v_add_co_u32_e32 v1, vcc, v1, v14
	v_addc_co_u32_e32 v5, vcc, 0, v5, vcc
	v_add_co_u32_e32 v1, vcc, v1, v15
	v_addc_co_u32_e32 v5, vcc, 0, v5, vcc
	v_add_co_u32_e32 v1, vcc, v1, v2
	v_addc_co_u32_e32 v2, vcc, 0, v5, vcc
	v_add_co_u32_e32 v1, vcc, v1, v3
	v_addc_co_u32_e32 v2, vcc, 0, v2, vcc
	v_add_co_u32_e32 v1, vcc, v1, v4
	v_addc_co_u32_e32 v2, vcc, 0, v2, vcc
	v_add_co_u32_e32 v1, vcc, v1, v6
	v_addc_co_u32_e32 v2, vcc, 0, v2, vcc
	v_add_co_u32_e32 v1, vcc, v1, v7
	v_addc_co_u32_e32 v2, vcc, 0, v2, vcc
	v_add_co_u32_e32 v1, vcc, v1, v8
	v_addc_co_u32_e32 v2, vcc, 0, v2, vcc
	v_add_co_u32_e32 v1, vcc, v1, v10
	v_addc_co_u32_e32 v2, vcc, 0, v2, vcc
	v_add_co_u32_e32 v1, vcc, v1, v11
	v_addc_co_u32_e32 v2, vcc, 0, v2, vcc
	s_nop 0
	v_mov_b32_dpp v4, v1 quad_perm:[1,0,3,2] row_mask:0xf bank_mask:0xf bound_ctrl:1
	v_add_co_u32_e32 v1, vcc, v1, v4
	v_addc_co_u32_e32 v2, vcc, 0, v2, vcc
	v_mov_b32_dpp v5, v9 quad_perm:[1,0,3,2] row_mask:0xf bank_mask:0xf bound_ctrl:1
	v_add_co_u32_e32 v4, vcc, 0, v1
	v_addc_co_u32_e32 v2, vcc, v5, v2, vcc
	v_mov_b32_dpp v1, v1 quad_perm:[2,3,0,1] row_mask:0xf bank_mask:0xf bound_ctrl:1
	v_add_co_u32_e32 v1, vcc, v4, v1
	v_mov_b32_dpp v5, v2 quad_perm:[2,3,0,1] row_mask:0xf bank_mask:0xf bound_ctrl:1
	v_addc_co_u32_e32 v2, vcc, 0, v2, vcc
	v_add_co_u32_e32 v4, vcc, 0, v1
	v_addc_co_u32_e32 v2, vcc, v2, v5, vcc
	v_mov_b32_dpp v1, v1 row_ror:4 row_mask:0xf bank_mask:0xf bound_ctrl:1
	v_add_co_u32_e32 v1, vcc, v4, v1
	v_mov_b32_dpp v5, v2 row_ror:4 row_mask:0xf bank_mask:0xf bound_ctrl:1
	v_addc_co_u32_e32 v2, vcc, 0, v2, vcc
	v_add_co_u32_e32 v4, vcc, 0, v1
	v_addc_co_u32_e32 v2, vcc, v2, v5, vcc
	v_mov_b32_dpp v1, v1 row_ror:8 row_mask:0xf bank_mask:0xf bound_ctrl:1
	v_add_co_u32_e32 v1, vcc, v4, v1
	v_mov_b32_dpp v5, v2 row_ror:8 row_mask:0xf bank_mask:0xf bound_ctrl:1
	v_addc_co_u32_e32 v2, vcc, 0, v2, vcc
	v_add_co_u32_e32 v4, vcc, 0, v1
	v_addc_co_u32_e32 v2, vcc, v2, v5, vcc
	v_mov_b32_dpp v1, v1 row_bcast:15 row_mask:0xf bank_mask:0xf bound_ctrl:1
	v_add_co_u32_e32 v1, vcc, v4, v1
	v_mov_b32_dpp v5, v2 row_bcast:15 row_mask:0xf bank_mask:0xf bound_ctrl:1
	v_addc_co_u32_e32 v2, vcc, 0, v2, vcc
	v_add_co_u32_e32 v4, vcc, 0, v1
	v_addc_co_u32_e32 v2, vcc, v2, v5, vcc
	v_mov_b32_dpp v1, v1 row_bcast:31 row_mask:0xf bank_mask:0xf bound_ctrl:1
	v_mbcnt_lo_u32_b32 v3, -1, 0
	v_add_co_u32_e32 v1, vcc, v4, v1
	v_mbcnt_hi_u32_b32 v3, -1, v3
	v_addc_co_u32_e32 v4, vcc, 0, v2, vcc
	v_cmp_eq_u32_e32 vcc, 0, v3
	s_nop 0
	v_add_u32_dpp v2, v2, v4 row_bcast:31 row_mask:0xf bank_mask:0xf bound_ctrl:1
	v_lshlrev_b32_e32 v4, 2, v3
	v_or_b32_e32 v5, 0xfc, v4
	ds_bpermute_b32 v1, v5, v1
	ds_bpermute_b32 v2, v5, v2
	s_and_saveexec_b64 s[8:9], vcc
	s_cbranch_execz .LBB316_538
; %bb.537:
	v_lshrrev_b32_e32 v5, 3, v0
	v_and_b32_e32 v5, 8, v5
	s_waitcnt lgkmcnt(0)
	ds_write_b64 v5, v[1:2] offset:16
.LBB316_538:
	s_or_b64 exec, exec, s[8:9]
	v_cmp_gt_u32_e32 vcc, 64, v0
	s_waitcnt lgkmcnt(0)
	s_barrier
	s_and_saveexec_b64 s[8:9], vcc
	s_cbranch_execz .LBB316_540
; %bb.539:
	v_and_b32_e32 v1, 1, v3
	v_lshlrev_b32_e32 v1, 3, v1
	ds_read_b64 v[1:2], v1 offset:16
	v_or_b32_e32 v3, 4, v4
	s_waitcnt lgkmcnt(0)
	ds_bpermute_b32 v4, v3, v1
	ds_bpermute_b32 v3, v3, v2
	s_waitcnt lgkmcnt(1)
	v_add_co_u32_e32 v1, vcc, v1, v4
	v_addc_co_u32_e32 v2, vcc, 0, v2, vcc
	v_add_co_u32_e32 v1, vcc, 0, v1
	s_waitcnt lgkmcnt(0)
	v_addc_co_u32_e32 v2, vcc, v2, v3, vcc
.LBB316_540:
	s_or_b64 exec, exec, s[8:9]
	s_mov_b64 s[8:9], 0
	s_branch .LBB316_542
.LBB316_541:
	s_mov_b64 s[8:9], -1
                                        ; implicit-def: $vgpr1_vgpr2
.LBB316_542:
	s_and_b64 vcc, exec, s[8:9]
	s_cbranch_vccz .LBB316_590
; %bb.543:
	s_sub_i32 s8, s20, s2
	v_cmp_gt_u32_e32 vcc, s8, v0
                                        ; implicit-def: $vgpr1_vgpr2
	s_and_saveexec_b64 s[2:3], vcc
	s_cbranch_execz .LBB316_545
; %bb.544:
	v_lshlrev_b32_e32 v1, 3, v0
	global_load_dwordx2 v[1:2], v1, s[0:1]
	s_mov_b32 s9, 0
	s_waitcnt vmcnt(0)
	v_cmp_neq_f64_e32 vcc, 0, v[1:2]
	v_mov_b32_e32 v2, s9
	v_cndmask_b32_e64 v1, 0, 1, vcc
.LBB316_545:
	s_or_b64 exec, exec, s[2:3]
	v_or_b32_e32 v7, 0x80, v0
	v_mov_b32_e32 v3, 0
	v_mov_b32_e32 v5, 0
	;; [unrolled: 1-line block ×4, first 2 shown]
	v_cmp_gt_u32_e32 vcc, s8, v7
	s_and_saveexec_b64 s[2:3], vcc
	s_cbranch_execz .LBB316_547
; %bb.546:
	v_lshlrev_b32_e32 v5, 3, v0
	global_load_dwordx2 v[5:6], v5, s[0:1] offset:1024
	s_mov_b32 s9, 0
	s_waitcnt vmcnt(0)
	v_cmp_neq_f64_e32 vcc, 0, v[5:6]
	v_mov_b32_e32 v6, s9
	v_cndmask_b32_e64 v5, 0, 1, vcc
.LBB316_547:
	s_or_b64 exec, exec, s[2:3]
	v_or_b32_e32 v7, 0x100, v0
	v_cmp_gt_u32_e32 vcc, s8, v7
	s_and_saveexec_b64 s[2:3], vcc
	s_cbranch_execz .LBB316_549
; %bb.548:
	v_lshlrev_b32_e32 v3, 3, v0
	global_load_dwordx2 v[3:4], v3, s[0:1] offset:2048
	s_mov_b32 s9, 0
	s_waitcnt vmcnt(0)
	v_cmp_neq_f64_e32 vcc, 0, v[3:4]
	v_mov_b32_e32 v4, s9
	v_cndmask_b32_e64 v3, 0, 1, vcc
.LBB316_549:
	s_or_b64 exec, exec, s[2:3]
	v_or_b32_e32 v11, 0x180, v0
	v_mov_b32_e32 v7, 0
	v_mov_b32_e32 v9, 0
	;; [unrolled: 1-line block ×4, first 2 shown]
	v_cmp_gt_u32_e32 vcc, s8, v11
	s_and_saveexec_b64 s[2:3], vcc
	s_cbranch_execz .LBB316_551
; %bb.550:
	v_lshlrev_b32_e32 v9, 3, v0
	global_load_dwordx2 v[9:10], v9, s[0:1] offset:3072
	s_mov_b32 s9, 0
	s_waitcnt vmcnt(0)
	v_cmp_neq_f64_e32 vcc, 0, v[9:10]
	v_mov_b32_e32 v10, s9
	v_cndmask_b32_e64 v9, 0, 1, vcc
.LBB316_551:
	s_or_b64 exec, exec, s[2:3]
	v_or_b32_e32 v11, 0x200, v0
	v_cmp_gt_u32_e32 vcc, s8, v11
	s_and_saveexec_b64 s[2:3], vcc
	s_cbranch_execz .LBB316_553
; %bb.552:
	v_lshlrev_b32_e32 v7, 3, v11
	global_load_dwordx2 v[7:8], v7, s[0:1]
	s_mov_b32 s9, 0
	s_waitcnt vmcnt(0)
	v_cmp_neq_f64_e32 vcc, 0, v[7:8]
	v_mov_b32_e32 v8, s9
	v_cndmask_b32_e64 v7, 0, 1, vcc
.LBB316_553:
	s_or_b64 exec, exec, s[2:3]
	v_or_b32_e32 v15, 0x280, v0
	v_mov_b32_e32 v11, 0
	v_mov_b32_e32 v13, 0
	v_mov_b32_e32 v12, 0
	v_mov_b32_e32 v14, 0
	v_cmp_gt_u32_e32 vcc, s8, v15
	s_and_saveexec_b64 s[2:3], vcc
	s_cbranch_execz .LBB316_555
; %bb.554:
	v_lshlrev_b32_e32 v13, 3, v15
	global_load_dwordx2 v[13:14], v13, s[0:1]
	s_mov_b32 s9, 0
	s_waitcnt vmcnt(0)
	v_cmp_neq_f64_e32 vcc, 0, v[13:14]
	v_mov_b32_e32 v14, s9
	v_cndmask_b32_e64 v13, 0, 1, vcc
.LBB316_555:
	s_or_b64 exec, exec, s[2:3]
	v_or_b32_e32 v15, 0x300, v0
	v_cmp_gt_u32_e32 vcc, s8, v15
	s_and_saveexec_b64 s[2:3], vcc
	s_cbranch_execz .LBB316_557
; %bb.556:
	v_lshlrev_b32_e32 v11, 3, v15
	global_load_dwordx2 v[11:12], v11, s[0:1]
	s_mov_b32 s9, 0
	s_waitcnt vmcnt(0)
	v_cmp_neq_f64_e32 vcc, 0, v[11:12]
	v_mov_b32_e32 v12, s9
	v_cndmask_b32_e64 v11, 0, 1, vcc
.LBB316_557:
	s_or_b64 exec, exec, s[2:3]
	v_or_b32_e32 v19, 0x380, v0
	v_mov_b32_e32 v15, 0
	v_mov_b32_e32 v17, 0
	v_mov_b32_e32 v16, 0
	v_mov_b32_e32 v18, 0
	v_cmp_gt_u32_e32 vcc, s8, v19
	s_and_saveexec_b64 s[2:3], vcc
	s_cbranch_execz .LBB316_559
; %bb.558:
	v_lshlrev_b32_e32 v17, 3, v19
	global_load_dwordx2 v[17:18], v17, s[0:1]
	s_mov_b32 s9, 0
	s_waitcnt vmcnt(0)
	v_cmp_neq_f64_e32 vcc, 0, v[17:18]
	v_mov_b32_e32 v18, s9
	v_cndmask_b32_e64 v17, 0, 1, vcc
.LBB316_559:
	;; [unrolled: 32-line block ×5, first 2 shown]
	s_or_b64 exec, exec, s[2:3]
	v_or_b32_e32 v31, 0x700, v0
	v_cmp_gt_u32_e32 vcc, s8, v31
	s_and_saveexec_b64 s[2:3], vcc
	s_cbranch_execz .LBB316_573
; %bb.572:
	v_lshlrev_b32_e32 v27, 3, v31
	global_load_dwordx2 v[27:28], v27, s[0:1]
	s_mov_b32 s9, 0
	s_waitcnt vmcnt(0)
	v_cmp_neq_f64_e32 vcc, 0, v[27:28]
	v_mov_b32_e32 v28, s9
	v_cndmask_b32_e64 v27, 0, 1, vcc
.LBB316_573:
	s_or_b64 exec, exec, s[2:3]
	v_or_b32_e32 v33, 0x780, v0
	v_mov_b32_e32 v31, 0
	v_mov_b32_e32 v32, 0
	v_cmp_gt_u32_e32 vcc, s8, v33
	s_and_saveexec_b64 s[2:3], vcc
	s_cbranch_execz .LBB316_575
; %bb.574:
	v_lshlrev_b32_e32 v31, 3, v33
	global_load_dwordx2 v[31:32], v31, s[0:1]
	s_mov_b32 s0, 0
	s_waitcnt vmcnt(0)
	v_cmp_neq_f64_e32 vcc, 0, v[31:32]
	v_mov_b32_e32 v32, s0
	v_cndmask_b32_e64 v31, 0, 1, vcc
.LBB316_575:
	s_or_b64 exec, exec, s[2:3]
	v_add_co_u32_e32 v1, vcc, v5, v1
	v_addc_co_u32_e32 v2, vcc, v6, v2, vcc
	v_add_co_u32_e32 v1, vcc, v1, v3
	v_addc_co_u32_e32 v2, vcc, v2, v4, vcc
	;; [unrolled: 2-line block ×14, first 2 shown]
	v_mbcnt_lo_u32_b32 v3, -1, 0
	v_add_co_u32_e32 v1, vcc, v1, v31
	v_mbcnt_hi_u32_b32 v3, -1, v3
	v_addc_co_u32_e32 v2, vcc, v2, v32, vcc
	v_and_b32_e32 v4, 63, v3
	v_cmp_ne_u32_e32 vcc, 63, v4
	v_addc_co_u32_e32 v6, vcc, 0, v3, vcc
	v_lshlrev_b32_e32 v6, 2, v6
	ds_bpermute_b32 v8, v6, v1
	ds_bpermute_b32 v7, v6, v2
	s_min_u32 s2, s8, 0x80
	v_and_b32_e32 v5, 64, v0
	v_sub_u32_e64 v5, s2, v5 clamp
	v_add_u32_e32 v6, 1, v4
	v_cmp_lt_u32_e32 vcc, v6, v5
	v_mov_b32_e32 v6, v1
	s_and_saveexec_b64 s[0:1], vcc
	s_cbranch_execz .LBB316_577
; %bb.576:
	s_waitcnt lgkmcnt(1)
	v_add_co_u32_e32 v6, vcc, v1, v8
	v_addc_co_u32_e32 v2, vcc, 0, v2, vcc
	v_add_co_u32_e32 v1, vcc, 0, v6
	s_waitcnt lgkmcnt(0)
	v_addc_co_u32_e32 v2, vcc, v7, v2, vcc
.LBB316_577:
	s_or_b64 exec, exec, s[0:1]
	v_cmp_gt_u32_e32 vcc, 62, v4
	s_waitcnt lgkmcnt(0)
	v_cndmask_b32_e64 v7, 0, 2, vcc
	v_add_lshl_u32 v7, v7, v3, 2
	ds_bpermute_b32 v8, v7, v6
	ds_bpermute_b32 v7, v7, v2
	v_add_u32_e32 v9, 2, v4
	v_cmp_lt_u32_e32 vcc, v9, v5
	s_and_saveexec_b64 s[0:1], vcc
	s_cbranch_execz .LBB316_579
; %bb.578:
	s_waitcnt lgkmcnt(1)
	v_add_co_u32_e32 v6, vcc, v1, v8
	v_addc_co_u32_e32 v2, vcc, 0, v2, vcc
	v_add_co_u32_e32 v1, vcc, 0, v6
	s_waitcnt lgkmcnt(0)
	v_addc_co_u32_e32 v2, vcc, v7, v2, vcc
.LBB316_579:
	s_or_b64 exec, exec, s[0:1]
	v_cmp_gt_u32_e32 vcc, 60, v4
	s_waitcnt lgkmcnt(0)
	v_cndmask_b32_e64 v7, 0, 4, vcc
	v_add_lshl_u32 v7, v7, v3, 2
	ds_bpermute_b32 v8, v7, v6
	ds_bpermute_b32 v7, v7, v2
	v_add_u32_e32 v9, 4, v4
	v_cmp_lt_u32_e32 vcc, v9, v5
	;; [unrolled: 19-line block ×4, first 2 shown]
	s_and_saveexec_b64 s[0:1], vcc
	s_cbranch_execz .LBB316_585
; %bb.584:
	s_waitcnt lgkmcnt(1)
	v_add_co_u32_e32 v6, vcc, v1, v8
	v_addc_co_u32_e32 v2, vcc, 0, v2, vcc
	v_add_co_u32_e32 v1, vcc, 0, v6
	s_waitcnt lgkmcnt(0)
	v_addc_co_u32_e32 v2, vcc, v7, v2, vcc
.LBB316_585:
	s_or_b64 exec, exec, s[0:1]
	s_waitcnt lgkmcnt(0)
	v_lshlrev_b32_e32 v7, 2, v3
	v_or_b32_e32 v8, 0x80, v7
	ds_bpermute_b32 v6, v8, v6
	ds_bpermute_b32 v8, v8, v2
	v_add_u32_e32 v4, 32, v4
	s_waitcnt lgkmcnt(1)
	v_add_co_u32_e32 v6, vcc, v1, v6
	v_addc_co_u32_e32 v9, vcc, 0, v2, vcc
	v_add_co_u32_e32 v6, vcc, 0, v6
	s_waitcnt lgkmcnt(0)
	v_addc_co_u32_e32 v8, vcc, v9, v8, vcc
	v_cmp_lt_u32_e32 vcc, v4, v5
	v_cndmask_b32_e32 v2, v2, v8, vcc
	v_cndmask_b32_e32 v1, v1, v6, vcc
	v_cmp_eq_u32_e32 vcc, 0, v3
	s_and_saveexec_b64 s[0:1], vcc
; %bb.586:
	v_lshrrev_b32_e32 v4, 3, v0
	v_and_b32_e32 v4, 8, v4
	ds_write_b64 v4, v[1:2] offset:128
; %bb.587:
	s_or_b64 exec, exec, s[0:1]
	v_cmp_gt_u32_e32 vcc, 2, v0
	s_waitcnt lgkmcnt(0)
	s_barrier
	s_and_saveexec_b64 s[0:1], vcc
	s_cbranch_execz .LBB316_589
; %bb.588:
	v_lshlrev_b32_e32 v1, 3, v3
	ds_read_b64 v[1:2], v1 offset:128
	v_or_b32_e32 v4, 4, v7
	s_add_i32 s2, s2, 63
	v_and_b32_e32 v3, 1, v3
	s_lshr_b32 s2, s2, 6
	s_waitcnt lgkmcnt(0)
	ds_bpermute_b32 v5, v4, v2
	ds_bpermute_b32 v4, v4, v1
	v_add_u32_e32 v3, 1, v3
	v_cmp_gt_u32_e32 vcc, s2, v3
	s_waitcnt lgkmcnt(1)
	v_cndmask_b32_e32 v3, 0, v5, vcc
	s_waitcnt lgkmcnt(0)
	v_cndmask_b32_e32 v4, 0, v4, vcc
	v_add_co_u32_e32 v1, vcc, v4, v1
	v_addc_co_u32_e32 v2, vcc, v3, v2, vcc
.LBB316_589:
	s_or_b64 exec, exec, s[0:1]
.LBB316_590:
	v_mov_b32_e32 v3, s6
	v_cmp_eq_u32_e64 s[2:3], 0, v0
	v_mov_b32_e32 v4, s7
.LBB316_591:
	s_branch .LBB316_731
.LBB316_592:
	s_cmp_gt_i32 s26, 3
	s_cbranch_scc0 .LBB316_601
; %bb.593:
	s_cmp_gt_i32 s26, 7
	s_cbranch_scc0 .LBB316_602
; %bb.594:
	s_cmp_eq_u32 s26, 8
                                        ; implicit-def: $vgpr1_vgpr2
                                        ; implicit-def: $vgpr3_vgpr4
	s_cbranch_scc0 .LBB316_603
; %bb.595:
	s_mov_b32 s7, 0
	s_lshl_b32 s0, s6, 10
	s_mov_b32 s1, s7
	s_lshr_b64 s[2:3], s[20:21], 10
	s_lshl_b64 s[8:9], s[0:1], 3
	s_add_u32 s16, s18, s8
	s_addc_u32 s17, s19, s9
	s_cmp_lg_u64 s[2:3], s[6:7]
	s_cbranch_scc0 .LBB316_604
; %bb.596:
	v_lshlrev_b32_e32 v3, 3, v0
	global_load_dwordx2 v[1:2], v3, s[16:17]
	global_load_dwordx2 v[4:5], v3, s[16:17] offset:3072
	global_load_dwordx2 v[6:7], v3, s[16:17] offset:1024
	;; [unrolled: 1-line block ×3, first 2 shown]
	v_mov_b32_e32 v10, s17
	v_add_co_u32_e32 v3, vcc, s16, v3
	v_addc_co_u32_e32 v11, vcc, 0, v10, vcc
	v_add_co_u32_e32 v10, vcc, 0x1000, v3
	v_addc_co_u32_e32 v11, vcc, 0, v11, vcc
	global_load_dwordx2 v[12:13], v[10:11], off
	global_load_dwordx2 v[14:15], v[10:11], off offset:1024
	global_load_dwordx2 v[16:17], v[10:11], off offset:2048
	;; [unrolled: 1-line block ×3, first 2 shown]
	v_mov_b32_e32 v10, 0
	v_mbcnt_lo_u32_b32 v3, -1, 0
	v_mbcnt_hi_u32_b32 v3, -1, v3
	v_mov_b32_dpp v10, v10 quad_perm:[1,0,3,2] row_mask:0xf bank_mask:0xf bound_ctrl:1
	s_waitcnt vmcnt(6)
	v_cmp_neq_f64_e32 vcc, 0, v[4:5]
	v_cndmask_b32_e64 v4, 0, 1, vcc
	s_waitcnt vmcnt(5)
	v_cmp_neq_f64_e32 vcc, 0, v[6:7]
	v_cndmask_b32_e64 v5, 0, 1, vcc
	v_cmp_neq_f64_e32 vcc, 0, v[1:2]
	v_cndmask_b32_e64 v1, 0, 1, vcc
	s_waitcnt vmcnt(4)
	v_cmp_neq_f64_e32 vcc, 0, v[8:9]
	v_addc_co_u32_e32 v1, vcc, v5, v1, vcc
	v_add_co_u32_e32 v1, vcc, v1, v4
	v_addc_co_u32_e64 v2, s[2:3], 0, 0, vcc
	s_waitcnt vmcnt(3)
	v_cmp_neq_f64_e32 vcc, 0, v[12:13]
	v_cndmask_b32_e64 v4, 0, 1, vcc
	s_waitcnt vmcnt(2)
	v_cmp_neq_f64_e32 vcc, 0, v[14:15]
	v_cndmask_b32_e64 v5, 0, 1, vcc
	s_waitcnt vmcnt(1)
	v_cmp_neq_f64_e32 vcc, 0, v[16:17]
	v_cndmask_b32_e64 v6, 0, 1, vcc
	s_waitcnt vmcnt(0)
	v_cmp_neq_f64_e32 vcc, 0, v[18:19]
	v_cndmask_b32_e64 v7, 0, 1, vcc
	v_add_co_u32_e32 v1, vcc, v1, v4
	v_addc_co_u32_e32 v2, vcc, 0, v2, vcc
	v_add_co_u32_e32 v1, vcc, v1, v5
	v_addc_co_u32_e32 v2, vcc, 0, v2, vcc
	;; [unrolled: 2-line block ×4, first 2 shown]
	s_nop 0
	v_mov_b32_dpp v4, v1 quad_perm:[1,0,3,2] row_mask:0xf bank_mask:0xf bound_ctrl:1
	v_add_co_u32_e32 v1, vcc, v1, v4
	v_addc_co_u32_e32 v2, vcc, 0, v2, vcc
	v_add_co_u32_e32 v4, vcc, 0, v1
	v_addc_co_u32_e32 v2, vcc, v10, v2, vcc
	v_mov_b32_dpp v1, v1 quad_perm:[2,3,0,1] row_mask:0xf bank_mask:0xf bound_ctrl:1
	v_add_co_u32_e32 v1, vcc, v4, v1
	v_mov_b32_dpp v5, v2 quad_perm:[2,3,0,1] row_mask:0xf bank_mask:0xf bound_ctrl:1
	v_addc_co_u32_e32 v2, vcc, 0, v2, vcc
	v_add_co_u32_e32 v4, vcc, 0, v1
	v_addc_co_u32_e32 v2, vcc, v2, v5, vcc
	v_mov_b32_dpp v1, v1 row_ror:4 row_mask:0xf bank_mask:0xf bound_ctrl:1
	v_add_co_u32_e32 v1, vcc, v4, v1
	v_mov_b32_dpp v5, v2 row_ror:4 row_mask:0xf bank_mask:0xf bound_ctrl:1
	v_addc_co_u32_e32 v2, vcc, 0, v2, vcc
	v_add_co_u32_e32 v4, vcc, 0, v1
	v_addc_co_u32_e32 v2, vcc, v2, v5, vcc
	v_mov_b32_dpp v1, v1 row_ror:8 row_mask:0xf bank_mask:0xf bound_ctrl:1
	v_add_co_u32_e32 v1, vcc, v4, v1
	v_mov_b32_dpp v5, v2 row_ror:8 row_mask:0xf bank_mask:0xf bound_ctrl:1
	v_addc_co_u32_e32 v2, vcc, 0, v2, vcc
	v_add_co_u32_e32 v4, vcc, 0, v1
	v_addc_co_u32_e32 v2, vcc, v2, v5, vcc
	v_mov_b32_dpp v1, v1 row_bcast:15 row_mask:0xf bank_mask:0xf bound_ctrl:1
	v_add_co_u32_e32 v1, vcc, v4, v1
	v_mov_b32_dpp v5, v2 row_bcast:15 row_mask:0xf bank_mask:0xf bound_ctrl:1
	v_addc_co_u32_e32 v2, vcc, 0, v2, vcc
	v_add_co_u32_e32 v4, vcc, 0, v1
	v_addc_co_u32_e32 v2, vcc, v2, v5, vcc
	v_mov_b32_dpp v1, v1 row_bcast:31 row_mask:0xf bank_mask:0xf bound_ctrl:1
	v_add_co_u32_e32 v1, vcc, v4, v1
	v_addc_co_u32_e32 v4, vcc, 0, v2, vcc
	v_cmp_eq_u32_e32 vcc, 0, v3
	s_nop 0
	v_add_u32_dpp v2, v2, v4 row_bcast:31 row_mask:0xf bank_mask:0xf bound_ctrl:1
	v_lshlrev_b32_e32 v4, 2, v3
	v_or_b32_e32 v5, 0xfc, v4
	ds_bpermute_b32 v1, v5, v1
	ds_bpermute_b32 v2, v5, v2
	s_and_saveexec_b64 s[2:3], vcc
	s_cbranch_execz .LBB316_598
; %bb.597:
	v_lshrrev_b32_e32 v5, 3, v0
	v_and_b32_e32 v5, 8, v5
	s_waitcnt lgkmcnt(0)
	ds_write_b64 v5, v[1:2] offset:112
.LBB316_598:
	s_or_b64 exec, exec, s[2:3]
	v_cmp_gt_u32_e32 vcc, 64, v0
	s_waitcnt lgkmcnt(0)
	s_barrier
	s_and_saveexec_b64 s[2:3], vcc
	s_cbranch_execz .LBB316_600
; %bb.599:
	v_and_b32_e32 v1, 1, v3
	v_lshlrev_b32_e32 v1, 3, v1
	ds_read_b64 v[1:2], v1 offset:112
	v_or_b32_e32 v3, 4, v4
	s_waitcnt lgkmcnt(0)
	ds_bpermute_b32 v4, v3, v1
	ds_bpermute_b32 v3, v3, v2
	s_waitcnt lgkmcnt(1)
	v_add_co_u32_e32 v1, vcc, v1, v4
	v_addc_co_u32_e32 v2, vcc, 0, v2, vcc
	v_add_co_u32_e32 v1, vcc, 0, v1
	s_waitcnt lgkmcnt(0)
	v_addc_co_u32_e32 v2, vcc, v2, v3, vcc
.LBB316_600:
	s_or_b64 exec, exec, s[2:3]
	s_mov_b64 s[2:3], 0
	s_branch .LBB316_605
.LBB316_601:
                                        ; implicit-def: $vgpr1_vgpr2
                                        ; implicit-def: $vgpr3_vgpr4
	s_cbranch_execnz .LBB316_672
	s_branch .LBB316_731
.LBB316_602:
                                        ; implicit-def: $vgpr1_vgpr2
                                        ; implicit-def: $vgpr3_vgpr4
	s_cbranch_execnz .LBB316_638
	s_branch .LBB316_671
.LBB316_603:
	s_branch .LBB316_671
.LBB316_604:
	s_mov_b64 s[2:3], -1
                                        ; implicit-def: $vgpr1_vgpr2
.LBB316_605:
	s_and_b64 vcc, exec, s[2:3]
	s_cbranch_vccz .LBB316_637
; %bb.606:
	s_sub_i32 s27, s20, s0
	v_mov_b32_e32 v1, 0
	v_cmp_gt_u32_e32 vcc, s27, v0
	v_mov_b32_e32 v2, v1
	v_mov_b32_e32 v3, v1
	;; [unrolled: 1-line block ×15, first 2 shown]
	s_and_saveexec_b64 s[0:1], vcc
	s_cbranch_execz .LBB316_608
; %bb.607:
	v_lshlrev_b32_e32 v2, 3, v0
	global_load_dwordx2 v[17:18], v2, s[16:17]
	v_mov_b32_e32 v2, v1
	v_mov_b32_e32 v3, v1
	;; [unrolled: 1-line block ×15, first 2 shown]
	s_waitcnt vmcnt(0)
	v_cmp_neq_f64_e32 vcc, 0, v[17:18]
	v_cndmask_b32_e64 v1, 0, 1, vcc
	v_and_b32_e32 v1, 0xffff, v1
.LBB316_608:
	s_or_b64 exec, exec, s[0:1]
	v_or_b32_e32 v17, 0x80, v0
	v_cmp_gt_u32_e32 vcc, s27, v17
	s_and_saveexec_b64 s[2:3], vcc
	s_cbranch_execz .LBB316_610
; %bb.609:
	v_lshlrev_b32_e32 v3, 3, v0
	global_load_dwordx2 v[3:4], v3, s[16:17] offset:1024
	s_mov_b32 s8, 0
	s_waitcnt vmcnt(0)
	v_cmp_neq_f64_e64 s[0:1], 0, v[3:4]
	v_mov_b32_e32 v4, s8
	v_cndmask_b32_e64 v3, 0, 1, s[0:1]
.LBB316_610:
	s_or_b64 exec, exec, s[2:3]
	v_or_b32_e32 v17, 0x100, v0
	v_cmp_gt_u32_e64 s[0:1], s27, v17
	s_and_saveexec_b64 s[8:9], s[0:1]
	s_cbranch_execz .LBB316_612
; %bb.611:
	v_lshlrev_b32_e32 v5, 3, v0
	global_load_dwordx2 v[5:6], v5, s[16:17] offset:2048
	s_mov_b32 s10, 0
	s_waitcnt vmcnt(0)
	v_cmp_neq_f64_e64 s[2:3], 0, v[5:6]
	v_mov_b32_e32 v6, s10
	v_cndmask_b32_e64 v5, 0, 1, s[2:3]
.LBB316_612:
	s_or_b64 exec, exec, s[8:9]
	v_or_b32_e32 v17, 0x180, v0
	v_cmp_gt_u32_e64 s[2:3], s27, v17
	s_and_saveexec_b64 s[10:11], s[2:3]
	;; [unrolled: 14-line block ×3, first 2 shown]
	s_cbranch_execz .LBB316_616
; %bb.615:
	v_lshlrev_b32_e32 v9, 3, v17
	global_load_dwordx2 v[9:10], v9, s[16:17]
	s_mov_b32 s14, 0
	s_waitcnt vmcnt(0)
	v_cmp_neq_f64_e64 s[10:11], 0, v[9:10]
	v_mov_b32_e32 v10, s14
	v_cndmask_b32_e64 v9, 0, 1, s[10:11]
.LBB316_616:
	s_or_b64 exec, exec, s[12:13]
	v_or_b32_e32 v17, 0x280, v0
	v_cmp_gt_u32_e64 s[10:11], s27, v17
	s_and_saveexec_b64 s[14:15], s[10:11]
	s_cbranch_execz .LBB316_618
; %bb.617:
	v_lshlrev_b32_e32 v11, 3, v17
	global_load_dwordx2 v[11:12], v11, s[16:17]
	s_mov_b32 s24, 0
	s_waitcnt vmcnt(0)
	v_cmp_neq_f64_e64 s[12:13], 0, v[11:12]
	v_mov_b32_e32 v12, s24
	v_cndmask_b32_e64 v11, 0, 1, s[12:13]
.LBB316_618:
	s_or_b64 exec, exec, s[14:15]
	v_or_b32_e32 v17, 0x300, v0
	v_cmp_gt_u32_e64 s[12:13], s27, v17
	s_and_saveexec_b64 s[24:25], s[12:13]
	;; [unrolled: 14-line block ×3, first 2 shown]
	s_cbranch_execz .LBB316_622
; %bb.621:
	v_lshlrev_b32_e32 v15, 3, v17
	global_load_dwordx2 v[15:16], v15, s[16:17]
	s_mov_b32 s28, 0
	s_waitcnt vmcnt(0)
	v_cmp_neq_f64_e64 s[16:17], 0, v[15:16]
	v_mov_b32_e32 v16, s28
	v_cndmask_b32_e64 v15, 0, 1, s[16:17]
.LBB316_622:
	s_or_b64 exec, exec, s[24:25]
	v_cndmask_b32_e32 v3, 0, v3, vcc
	v_cndmask_b32_e32 v4, 0, v4, vcc
	v_add_co_u32_e32 v1, vcc, v3, v1
	v_addc_co_u32_e32 v2, vcc, v4, v2, vcc
	v_cndmask_b32_e64 v4, 0, v5, s[0:1]
	v_cndmask_b32_e64 v3, 0, v6, s[0:1]
	v_add_co_u32_e32 v1, vcc, v1, v4
	v_addc_co_u32_e32 v2, vcc, v2, v3, vcc
	v_cndmask_b32_e64 v4, 0, v7, s[2:3]
	v_cndmask_b32_e64 v3, 0, v8, s[2:3]
	;; [unrolled: 4-line block ×6, first 2 shown]
	v_add_co_u32_e32 v1, vcc, v1, v4
	v_addc_co_u32_e32 v2, vcc, v2, v3, vcc
	v_mbcnt_lo_u32_b32 v3, -1, 0
	v_mbcnt_hi_u32_b32 v3, -1, v3
	v_and_b32_e32 v4, 63, v3
	v_cmp_ne_u32_e32 vcc, 63, v4
	v_addc_co_u32_e32 v6, vcc, 0, v3, vcc
	v_lshlrev_b32_e32 v6, 2, v6
	ds_bpermute_b32 v8, v6, v1
	ds_bpermute_b32 v7, v6, v2
	s_min_u32 s2, s27, 0x80
	v_and_b32_e32 v5, 64, v0
	v_sub_u32_e64 v5, s2, v5 clamp
	v_add_u32_e32 v6, 1, v4
	v_cmp_lt_u32_e32 vcc, v6, v5
	v_mov_b32_e32 v6, v1
	s_and_saveexec_b64 s[0:1], vcc
	s_cbranch_execz .LBB316_624
; %bb.623:
	s_waitcnt lgkmcnt(1)
	v_add_co_u32_e32 v6, vcc, v1, v8
	v_addc_co_u32_e32 v2, vcc, 0, v2, vcc
	v_add_co_u32_e32 v1, vcc, 0, v6
	s_waitcnt lgkmcnt(0)
	v_addc_co_u32_e32 v2, vcc, v2, v7, vcc
.LBB316_624:
	s_or_b64 exec, exec, s[0:1]
	v_cmp_gt_u32_e32 vcc, 62, v4
	s_waitcnt lgkmcnt(0)
	v_cndmask_b32_e64 v7, 0, 2, vcc
	v_add_lshl_u32 v7, v7, v3, 2
	ds_bpermute_b32 v8, v7, v6
	ds_bpermute_b32 v7, v7, v2
	v_add_u32_e32 v9, 2, v4
	v_cmp_lt_u32_e32 vcc, v9, v5
	s_and_saveexec_b64 s[0:1], vcc
	s_cbranch_execz .LBB316_626
; %bb.625:
	s_waitcnt lgkmcnt(1)
	v_add_co_u32_e32 v6, vcc, v1, v8
	v_addc_co_u32_e32 v2, vcc, 0, v2, vcc
	v_add_co_u32_e32 v1, vcc, 0, v6
	s_waitcnt lgkmcnt(0)
	v_addc_co_u32_e32 v2, vcc, v7, v2, vcc
.LBB316_626:
	s_or_b64 exec, exec, s[0:1]
	v_cmp_gt_u32_e32 vcc, 60, v4
	s_waitcnt lgkmcnt(0)
	v_cndmask_b32_e64 v7, 0, 4, vcc
	v_add_lshl_u32 v7, v7, v3, 2
	ds_bpermute_b32 v8, v7, v6
	ds_bpermute_b32 v7, v7, v2
	v_add_u32_e32 v9, 4, v4
	v_cmp_lt_u32_e32 vcc, v9, v5
	;; [unrolled: 19-line block ×4, first 2 shown]
	s_and_saveexec_b64 s[0:1], vcc
	s_cbranch_execz .LBB316_632
; %bb.631:
	s_waitcnt lgkmcnt(1)
	v_add_co_u32_e32 v6, vcc, v1, v8
	v_addc_co_u32_e32 v2, vcc, 0, v2, vcc
	v_add_co_u32_e32 v1, vcc, 0, v6
	s_waitcnt lgkmcnt(0)
	v_addc_co_u32_e32 v2, vcc, v7, v2, vcc
.LBB316_632:
	s_or_b64 exec, exec, s[0:1]
	s_waitcnt lgkmcnt(0)
	v_lshlrev_b32_e32 v7, 2, v3
	v_or_b32_e32 v8, 0x80, v7
	ds_bpermute_b32 v6, v8, v6
	ds_bpermute_b32 v8, v8, v2
	v_add_u32_e32 v4, 32, v4
	s_waitcnt lgkmcnt(1)
	v_add_co_u32_e32 v6, vcc, v1, v6
	v_addc_co_u32_e32 v9, vcc, 0, v2, vcc
	v_add_co_u32_e32 v6, vcc, 0, v6
	s_waitcnt lgkmcnt(0)
	v_addc_co_u32_e32 v8, vcc, v9, v8, vcc
	v_cmp_lt_u32_e32 vcc, v4, v5
	v_cndmask_b32_e32 v2, v2, v8, vcc
	v_cndmask_b32_e32 v1, v1, v6, vcc
	v_cmp_eq_u32_e32 vcc, 0, v3
	s_and_saveexec_b64 s[0:1], vcc
; %bb.633:
	v_lshrrev_b32_e32 v4, 3, v0
	v_and_b32_e32 v4, 8, v4
	ds_write_b64 v4, v[1:2] offset:128
; %bb.634:
	s_or_b64 exec, exec, s[0:1]
	v_cmp_gt_u32_e32 vcc, 2, v0
	s_waitcnt lgkmcnt(0)
	s_barrier
	s_and_saveexec_b64 s[0:1], vcc
	s_cbranch_execz .LBB316_636
; %bb.635:
	v_lshlrev_b32_e32 v1, 3, v3
	ds_read_b64 v[1:2], v1 offset:128
	v_or_b32_e32 v4, 4, v7
	s_add_i32 s2, s2, 63
	v_and_b32_e32 v3, 1, v3
	s_lshr_b32 s2, s2, 6
	s_waitcnt lgkmcnt(0)
	ds_bpermute_b32 v5, v4, v2
	ds_bpermute_b32 v4, v4, v1
	v_add_u32_e32 v3, 1, v3
	v_cmp_gt_u32_e32 vcc, s2, v3
	s_waitcnt lgkmcnt(1)
	v_cndmask_b32_e32 v3, 0, v5, vcc
	s_waitcnt lgkmcnt(0)
	v_cndmask_b32_e32 v4, 0, v4, vcc
	v_add_co_u32_e32 v1, vcc, v4, v1
	v_addc_co_u32_e32 v2, vcc, v3, v2, vcc
.LBB316_636:
	s_or_b64 exec, exec, s[0:1]
.LBB316_637:
	v_mov_b32_e32 v3, s6
	v_cmp_eq_u32_e64 s[2:3], 0, v0
	v_mov_b32_e32 v4, s7
	s_branch .LBB316_671
.LBB316_638:
	s_cmp_eq_u32 s26, 4
                                        ; implicit-def: $vgpr1_vgpr2
                                        ; implicit-def: $vgpr3_vgpr4
	s_cbranch_scc0 .LBB316_671
; %bb.639:
	s_mov_b32 s7, 0
	s_lshl_b32 s0, s6, 9
	s_mov_b32 s1, s7
	s_lshr_b64 s[2:3], s[20:21], 9
	s_lshl_b64 s[8:9], s[0:1], 3
	s_add_u32 s8, s18, s8
	s_addc_u32 s9, s19, s9
	s_cmp_lg_u64 s[2:3], s[6:7]
	s_cbranch_scc0 .LBB316_645
; %bb.640:
	v_lshlrev_b32_e32 v3, 3, v0
	global_load_dwordx2 v[1:2], v3, s[8:9] offset:3072
	global_load_dwordx2 v[5:6], v3, s[8:9] offset:1024
	global_load_dwordx2 v[7:8], v3, s[8:9]
	global_load_dwordx2 v[9:10], v3, s[8:9] offset:2048
	v_mov_b32_e32 v4, 0
	v_mbcnt_lo_u32_b32 v3, -1, 0
	v_mbcnt_hi_u32_b32 v3, -1, v3
	v_mov_b32_dpp v11, v4 quad_perm:[1,0,3,2] row_mask:0xf bank_mask:0xf bound_ctrl:1
	v_lshlrev_b32_e32 v4, 2, v3
	v_or_b32_e32 v12, 0xfc, v4
	s_waitcnt vmcnt(3)
	v_cmp_neq_f64_e32 vcc, 0, v[1:2]
	v_cndmask_b32_e64 v1, 0, 1, vcc
	s_waitcnt vmcnt(2)
	v_cmp_neq_f64_e32 vcc, 0, v[5:6]
	v_cndmask_b32_e64 v2, 0, 1, vcc
	;; [unrolled: 3-line block ×3, first 2 shown]
	s_waitcnt vmcnt(0)
	v_cmp_neq_f64_e32 vcc, 0, v[9:10]
	v_addc_co_u32_e32 v2, vcc, v2, v5, vcc
	v_add_co_u32_e32 v1, vcc, v2, v1
	v_addc_co_u32_e64 v2, s[2:3], 0, 0, vcc
	s_nop 0
	v_mov_b32_dpp v5, v1 quad_perm:[1,0,3,2] row_mask:0xf bank_mask:0xf bound_ctrl:1
	v_add_co_u32_e32 v1, vcc, v1, v5
	v_addc_co_u32_e32 v2, vcc, 0, v2, vcc
	v_add_co_u32_e32 v5, vcc, 0, v1
	v_addc_co_u32_e32 v2, vcc, v11, v2, vcc
	v_mov_b32_dpp v1, v1 quad_perm:[2,3,0,1] row_mask:0xf bank_mask:0xf bound_ctrl:1
	v_add_co_u32_e32 v1, vcc, v5, v1
	v_mov_b32_dpp v6, v2 quad_perm:[2,3,0,1] row_mask:0xf bank_mask:0xf bound_ctrl:1
	v_addc_co_u32_e32 v2, vcc, 0, v2, vcc
	v_add_co_u32_e32 v5, vcc, 0, v1
	v_addc_co_u32_e32 v2, vcc, v2, v6, vcc
	v_mov_b32_dpp v1, v1 row_ror:4 row_mask:0xf bank_mask:0xf bound_ctrl:1
	v_add_co_u32_e32 v1, vcc, v5, v1
	v_mov_b32_dpp v6, v2 row_ror:4 row_mask:0xf bank_mask:0xf bound_ctrl:1
	v_addc_co_u32_e32 v2, vcc, 0, v2, vcc
	v_add_co_u32_e32 v5, vcc, 0, v1
	v_addc_co_u32_e32 v2, vcc, v2, v6, vcc
	v_mov_b32_dpp v1, v1 row_ror:8 row_mask:0xf bank_mask:0xf bound_ctrl:1
	v_add_co_u32_e32 v1, vcc, v5, v1
	v_mov_b32_dpp v6, v2 row_ror:8 row_mask:0xf bank_mask:0xf bound_ctrl:1
	v_addc_co_u32_e32 v2, vcc, 0, v2, vcc
	v_add_co_u32_e32 v5, vcc, 0, v1
	v_addc_co_u32_e32 v2, vcc, v2, v6, vcc
	v_mov_b32_dpp v1, v1 row_bcast:15 row_mask:0xf bank_mask:0xf bound_ctrl:1
	v_add_co_u32_e32 v1, vcc, v5, v1
	v_mov_b32_dpp v6, v2 row_bcast:15 row_mask:0xf bank_mask:0xf bound_ctrl:1
	v_addc_co_u32_e32 v2, vcc, 0, v2, vcc
	v_add_co_u32_e32 v5, vcc, 0, v1
	v_addc_co_u32_e32 v2, vcc, v2, v6, vcc
	v_mov_b32_dpp v1, v1 row_bcast:31 row_mask:0xf bank_mask:0xf bound_ctrl:1
	v_add_co_u32_e32 v1, vcc, v5, v1
	v_addc_co_u32_e32 v5, vcc, 0, v2, vcc
	ds_bpermute_b32 v1, v12, v1
	s_nop 0
	v_add_u32_dpp v2, v2, v5 row_bcast:31 row_mask:0xf bank_mask:0xf bound_ctrl:1
	ds_bpermute_b32 v2, v12, v2
	v_cmp_eq_u32_e32 vcc, 0, v3
	s_and_saveexec_b64 s[2:3], vcc
	s_cbranch_execz .LBB316_642
; %bb.641:
	v_lshrrev_b32_e32 v5, 3, v0
	v_and_b32_e32 v5, 8, v5
	s_waitcnt lgkmcnt(0)
	ds_write_b64 v5, v[1:2] offset:80
.LBB316_642:
	s_or_b64 exec, exec, s[2:3]
	v_cmp_gt_u32_e32 vcc, 64, v0
	s_waitcnt lgkmcnt(0)
	s_barrier
	s_and_saveexec_b64 s[2:3], vcc
	s_cbranch_execz .LBB316_644
; %bb.643:
	v_and_b32_e32 v1, 1, v3
	v_lshlrev_b32_e32 v1, 3, v1
	ds_read_b64 v[1:2], v1 offset:80
	v_or_b32_e32 v3, 4, v4
	s_waitcnt lgkmcnt(0)
	ds_bpermute_b32 v4, v3, v1
	ds_bpermute_b32 v3, v3, v2
	s_waitcnt lgkmcnt(1)
	v_add_co_u32_e32 v1, vcc, v1, v4
	v_addc_co_u32_e32 v2, vcc, 0, v2, vcc
	v_add_co_u32_e32 v1, vcc, 0, v1
	s_waitcnt lgkmcnt(0)
	v_addc_co_u32_e32 v2, vcc, v2, v3, vcc
.LBB316_644:
	s_or_b64 exec, exec, s[2:3]
	s_mov_b64 s[2:3], 0
	s_branch .LBB316_646
.LBB316_645:
	s_mov_b64 s[2:3], -1
                                        ; implicit-def: $vgpr1_vgpr2
.LBB316_646:
	s_and_b64 vcc, exec, s[2:3]
	s_cbranch_vccz .LBB316_670
; %bb.647:
	s_sub_i32 s12, s20, s0
	v_mov_b32_e32 v1, 0
	v_cmp_gt_u32_e32 vcc, s12, v0
	v_mov_b32_e32 v2, v1
	v_mov_b32_e32 v3, v1
	;; [unrolled: 1-line block ×7, first 2 shown]
	s_and_saveexec_b64 s[0:1], vcc
	s_cbranch_execz .LBB316_649
; %bb.648:
	v_lshlrev_b32_e32 v2, 3, v0
	global_load_dwordx2 v[9:10], v2, s[8:9]
	v_mov_b32_e32 v3, v1
	v_mov_b32_e32 v4, v1
	;; [unrolled: 1-line block ×6, first 2 shown]
	s_waitcnt vmcnt(0)
	v_cmp_neq_f64_e32 vcc, 0, v[9:10]
	v_mov_b32_e32 v9, v1
	v_cndmask_b32_e64 v2, 0, 1, vcc
	v_and_b32_e32 v2, 0xffff, v2
	v_mov_b32_e32 v1, v2
	v_mov_b32_e32 v2, v3
	;; [unrolled: 1-line block ×8, first 2 shown]
.LBB316_649:
	s_or_b64 exec, exec, s[0:1]
	v_or_b32_e32 v9, 0x80, v0
	v_cmp_gt_u32_e32 vcc, s12, v9
	s_and_saveexec_b64 s[2:3], vcc
	s_cbranch_execz .LBB316_651
; %bb.650:
	v_lshlrev_b32_e32 v3, 3, v0
	global_load_dwordx2 v[3:4], v3, s[8:9] offset:1024
	s_mov_b32 s10, 0
	s_waitcnt vmcnt(0)
	v_cmp_neq_f64_e64 s[0:1], 0, v[3:4]
	v_mov_b32_e32 v4, s10
	v_cndmask_b32_e64 v3, 0, 1, s[0:1]
.LBB316_651:
	s_or_b64 exec, exec, s[2:3]
	v_or_b32_e32 v9, 0x100, v0
	v_cmp_gt_u32_e64 s[0:1], s12, v9
	s_and_saveexec_b64 s[10:11], s[0:1]
	s_cbranch_execz .LBB316_653
; %bb.652:
	v_lshlrev_b32_e32 v5, 3, v0
	global_load_dwordx2 v[5:6], v5, s[8:9] offset:2048
	s_mov_b32 s13, 0
	s_waitcnt vmcnt(0)
	v_cmp_neq_f64_e64 s[2:3], 0, v[5:6]
	v_mov_b32_e32 v6, s13
	v_cndmask_b32_e64 v5, 0, 1, s[2:3]
.LBB316_653:
	s_or_b64 exec, exec, s[10:11]
	v_or_b32_e32 v9, 0x180, v0
	v_cmp_gt_u32_e64 s[2:3], s12, v9
	s_and_saveexec_b64 s[10:11], s[2:3]
	s_cbranch_execz .LBB316_655
; %bb.654:
	v_lshlrev_b32_e32 v7, 3, v0
	global_load_dwordx2 v[7:8], v7, s[8:9] offset:3072
	s_mov_b32 s13, 0
	s_waitcnt vmcnt(0)
	v_cmp_neq_f64_e64 s[8:9], 0, v[7:8]
	v_mov_b32_e32 v8, s13
	v_cndmask_b32_e64 v7, 0, 1, s[8:9]
.LBB316_655:
	s_or_b64 exec, exec, s[10:11]
	v_cndmask_b32_e32 v3, 0, v3, vcc
	v_cndmask_b32_e32 v4, 0, v4, vcc
	v_add_co_u32_e32 v1, vcc, v3, v1
	v_addc_co_u32_e32 v2, vcc, v4, v2, vcc
	v_cndmask_b32_e64 v4, 0, v5, s[0:1]
	v_cndmask_b32_e64 v3, 0, v6, s[0:1]
	v_add_co_u32_e32 v1, vcc, v1, v4
	v_addc_co_u32_e32 v2, vcc, v2, v3, vcc
	v_cndmask_b32_e64 v4, 0, v7, s[2:3]
	v_cndmask_b32_e64 v3, 0, v8, s[2:3]
	v_add_co_u32_e32 v1, vcc, v1, v4
	v_addc_co_u32_e32 v2, vcc, v2, v3, vcc
	v_mbcnt_lo_u32_b32 v3, -1, 0
	v_mbcnt_hi_u32_b32 v3, -1, v3
	v_and_b32_e32 v4, 63, v3
	v_cmp_ne_u32_e32 vcc, 63, v4
	v_addc_co_u32_e32 v6, vcc, 0, v3, vcc
	v_lshlrev_b32_e32 v6, 2, v6
	ds_bpermute_b32 v8, v6, v1
	ds_bpermute_b32 v7, v6, v2
	s_min_u32 s2, s12, 0x80
	v_and_b32_e32 v5, 64, v0
	v_sub_u32_e64 v5, s2, v5 clamp
	v_add_u32_e32 v6, 1, v4
	v_cmp_lt_u32_e32 vcc, v6, v5
	v_mov_b32_e32 v6, v1
	s_and_saveexec_b64 s[0:1], vcc
	s_cbranch_execz .LBB316_657
; %bb.656:
	s_waitcnt lgkmcnt(1)
	v_add_co_u32_e32 v6, vcc, v1, v8
	v_addc_co_u32_e32 v2, vcc, 0, v2, vcc
	v_add_co_u32_e32 v1, vcc, 0, v6
	s_waitcnt lgkmcnt(0)
	v_addc_co_u32_e32 v2, vcc, v7, v2, vcc
.LBB316_657:
	s_or_b64 exec, exec, s[0:1]
	v_cmp_gt_u32_e32 vcc, 62, v4
	s_waitcnt lgkmcnt(0)
	v_cndmask_b32_e64 v7, 0, 2, vcc
	v_add_lshl_u32 v7, v7, v3, 2
	ds_bpermute_b32 v8, v7, v6
	ds_bpermute_b32 v7, v7, v2
	v_add_u32_e32 v9, 2, v4
	v_cmp_lt_u32_e32 vcc, v9, v5
	s_and_saveexec_b64 s[0:1], vcc
	s_cbranch_execz .LBB316_659
; %bb.658:
	s_waitcnt lgkmcnt(1)
	v_add_co_u32_e32 v6, vcc, v1, v8
	v_addc_co_u32_e32 v2, vcc, 0, v2, vcc
	v_add_co_u32_e32 v1, vcc, 0, v6
	s_waitcnt lgkmcnt(0)
	v_addc_co_u32_e32 v2, vcc, v7, v2, vcc
.LBB316_659:
	s_or_b64 exec, exec, s[0:1]
	v_cmp_gt_u32_e32 vcc, 60, v4
	s_waitcnt lgkmcnt(0)
	v_cndmask_b32_e64 v7, 0, 4, vcc
	v_add_lshl_u32 v7, v7, v3, 2
	ds_bpermute_b32 v8, v7, v6
	ds_bpermute_b32 v7, v7, v2
	v_add_u32_e32 v9, 4, v4
	v_cmp_lt_u32_e32 vcc, v9, v5
	;; [unrolled: 19-line block ×4, first 2 shown]
	s_and_saveexec_b64 s[0:1], vcc
	s_cbranch_execz .LBB316_665
; %bb.664:
	s_waitcnt lgkmcnt(1)
	v_add_co_u32_e32 v6, vcc, v1, v8
	v_addc_co_u32_e32 v2, vcc, 0, v2, vcc
	v_add_co_u32_e32 v1, vcc, 0, v6
	s_waitcnt lgkmcnt(0)
	v_addc_co_u32_e32 v2, vcc, v7, v2, vcc
.LBB316_665:
	s_or_b64 exec, exec, s[0:1]
	s_waitcnt lgkmcnt(0)
	v_lshlrev_b32_e32 v7, 2, v3
	v_or_b32_e32 v8, 0x80, v7
	ds_bpermute_b32 v6, v8, v6
	ds_bpermute_b32 v8, v8, v2
	v_add_u32_e32 v4, 32, v4
	s_waitcnt lgkmcnt(1)
	v_add_co_u32_e32 v6, vcc, v1, v6
	v_addc_co_u32_e32 v9, vcc, 0, v2, vcc
	v_add_co_u32_e32 v6, vcc, 0, v6
	s_waitcnt lgkmcnt(0)
	v_addc_co_u32_e32 v8, vcc, v9, v8, vcc
	v_cmp_lt_u32_e32 vcc, v4, v5
	v_cndmask_b32_e32 v2, v2, v8, vcc
	v_cndmask_b32_e32 v1, v1, v6, vcc
	v_cmp_eq_u32_e32 vcc, 0, v3
	s_and_saveexec_b64 s[0:1], vcc
; %bb.666:
	v_lshrrev_b32_e32 v4, 3, v0
	v_and_b32_e32 v4, 8, v4
	ds_write_b64 v4, v[1:2] offset:128
; %bb.667:
	s_or_b64 exec, exec, s[0:1]
	v_cmp_gt_u32_e32 vcc, 2, v0
	s_waitcnt lgkmcnt(0)
	s_barrier
	s_and_saveexec_b64 s[0:1], vcc
	s_cbranch_execz .LBB316_669
; %bb.668:
	v_lshlrev_b32_e32 v1, 3, v3
	ds_read_b64 v[1:2], v1 offset:128
	v_or_b32_e32 v4, 4, v7
	s_add_i32 s2, s2, 63
	v_and_b32_e32 v3, 1, v3
	s_lshr_b32 s2, s2, 6
	s_waitcnt lgkmcnt(0)
	ds_bpermute_b32 v5, v4, v2
	ds_bpermute_b32 v4, v4, v1
	v_add_u32_e32 v3, 1, v3
	v_cmp_gt_u32_e32 vcc, s2, v3
	s_waitcnt lgkmcnt(1)
	v_cndmask_b32_e32 v3, 0, v5, vcc
	s_waitcnt lgkmcnt(0)
	v_cndmask_b32_e32 v4, 0, v4, vcc
	v_add_co_u32_e32 v1, vcc, v4, v1
	v_addc_co_u32_e32 v2, vcc, v3, v2, vcc
.LBB316_669:
	s_or_b64 exec, exec, s[0:1]
.LBB316_670:
	v_mov_b32_e32 v3, s6
	v_cmp_eq_u32_e64 s[2:3], 0, v0
	v_mov_b32_e32 v4, s7
.LBB316_671:
	s_branch .LBB316_731
.LBB316_672:
	s_cmp_gt_i32 s26, 1
	s_cbranch_scc0 .LBB316_680
; %bb.673:
	s_cmp_eq_u32 s26, 2
                                        ; implicit-def: $vgpr1_vgpr2
                                        ; implicit-def: $vgpr3_vgpr4
	s_cbranch_scc0 .LBB316_681
; %bb.674:
	s_mov_b32 s7, 0
	s_lshl_b32 s2, s6, 8
	s_mov_b32 s3, s7
	s_lshr_b64 s[8:9], s[20:21], 8
	s_lshl_b64 s[0:1], s[2:3], 3
	s_add_u32 s0, s18, s0
	s_addc_u32 s1, s19, s1
	s_cmp_lg_u64 s[8:9], s[6:7]
	s_cbranch_scc0 .LBB316_682
; %bb.675:
	v_lshlrev_b32_e32 v3, 3, v0
	global_load_dwordx2 v[1:2], v3, s[0:1]
	global_load_dwordx2 v[5:6], v3, s[0:1] offset:1024
	v_mov_b32_e32 v4, 0
	v_mbcnt_lo_u32_b32 v3, -1, 0
	v_mbcnt_hi_u32_b32 v3, -1, v3
	v_mov_b32_dpp v7, v4 quad_perm:[1,0,3,2] row_mask:0xf bank_mask:0xf bound_ctrl:1
	v_lshlrev_b32_e32 v4, 2, v3
	v_or_b32_e32 v8, 0xfc, v4
	s_waitcnt vmcnt(1)
	v_cmp_neq_f64_e32 vcc, 0, v[1:2]
	v_cndmask_b32_e64 v1, 0, 1, vcc
	s_waitcnt vmcnt(0)
	v_cmp_neq_f64_e32 vcc, 0, v[5:6]
	v_addc_co_u32_e32 v1, vcc, 0, v1, vcc
	s_nop 1
	v_mov_b32_dpp v2, v1 quad_perm:[1,0,3,2] row_mask:0xf bank_mask:0xf bound_ctrl:1
	v_add_co_u32_e32 v1, vcc, v1, v2
	v_addc_co_u32_e64 v2, s[8:9], 0, 0, vcc
	v_add_co_u32_e32 v5, vcc, 0, v1
	v_addc_co_u32_e32 v2, vcc, v7, v2, vcc
	v_mov_b32_dpp v1, v1 quad_perm:[2,3,0,1] row_mask:0xf bank_mask:0xf bound_ctrl:1
	v_add_co_u32_e32 v1, vcc, v5, v1
	v_mov_b32_dpp v6, v2 quad_perm:[2,3,0,1] row_mask:0xf bank_mask:0xf bound_ctrl:1
	v_addc_co_u32_e32 v2, vcc, 0, v2, vcc
	v_add_co_u32_e32 v5, vcc, 0, v1
	v_addc_co_u32_e32 v2, vcc, v2, v6, vcc
	v_mov_b32_dpp v1, v1 row_ror:4 row_mask:0xf bank_mask:0xf bound_ctrl:1
	v_add_co_u32_e32 v1, vcc, v5, v1
	v_mov_b32_dpp v6, v2 row_ror:4 row_mask:0xf bank_mask:0xf bound_ctrl:1
	v_addc_co_u32_e32 v2, vcc, 0, v2, vcc
	v_add_co_u32_e32 v5, vcc, 0, v1
	v_addc_co_u32_e32 v2, vcc, v2, v6, vcc
	v_mov_b32_dpp v1, v1 row_ror:8 row_mask:0xf bank_mask:0xf bound_ctrl:1
	v_add_co_u32_e32 v1, vcc, v5, v1
	v_mov_b32_dpp v6, v2 row_ror:8 row_mask:0xf bank_mask:0xf bound_ctrl:1
	v_addc_co_u32_e32 v2, vcc, 0, v2, vcc
	v_add_co_u32_e32 v5, vcc, 0, v1
	v_addc_co_u32_e32 v2, vcc, v2, v6, vcc
	v_mov_b32_dpp v1, v1 row_bcast:15 row_mask:0xf bank_mask:0xf bound_ctrl:1
	v_add_co_u32_e32 v1, vcc, v5, v1
	v_mov_b32_dpp v6, v2 row_bcast:15 row_mask:0xf bank_mask:0xf bound_ctrl:1
	v_addc_co_u32_e32 v2, vcc, 0, v2, vcc
	v_add_co_u32_e32 v5, vcc, 0, v1
	v_addc_co_u32_e32 v2, vcc, v2, v6, vcc
	v_mov_b32_dpp v1, v1 row_bcast:31 row_mask:0xf bank_mask:0xf bound_ctrl:1
	v_add_co_u32_e32 v1, vcc, v5, v1
	v_addc_co_u32_e32 v5, vcc, 0, v2, vcc
	ds_bpermute_b32 v1, v8, v1
	s_nop 0
	v_add_u32_dpp v2, v2, v5 row_bcast:31 row_mask:0xf bank_mask:0xf bound_ctrl:1
	ds_bpermute_b32 v2, v8, v2
	v_cmp_eq_u32_e32 vcc, 0, v3
	s_and_saveexec_b64 s[8:9], vcc
	s_cbranch_execz .LBB316_677
; %bb.676:
	v_lshrrev_b32_e32 v5, 3, v0
	v_and_b32_e32 v5, 8, v5
	s_waitcnt lgkmcnt(0)
	ds_write_b64 v5, v[1:2] offset:48
.LBB316_677:
	s_or_b64 exec, exec, s[8:9]
	v_cmp_gt_u32_e32 vcc, 64, v0
	s_waitcnt lgkmcnt(0)
	s_barrier
	s_and_saveexec_b64 s[8:9], vcc
	s_cbranch_execz .LBB316_679
; %bb.678:
	v_and_b32_e32 v1, 1, v3
	v_lshlrev_b32_e32 v1, 3, v1
	ds_read_b64 v[1:2], v1 offset:48
	v_or_b32_e32 v3, 4, v4
	s_waitcnt lgkmcnt(0)
	ds_bpermute_b32 v4, v3, v1
	ds_bpermute_b32 v3, v3, v2
	s_waitcnt lgkmcnt(1)
	v_add_co_u32_e32 v1, vcc, v1, v4
	v_addc_co_u32_e32 v2, vcc, 0, v2, vcc
	v_add_co_u32_e32 v1, vcc, 0, v1
	s_waitcnt lgkmcnt(0)
	v_addc_co_u32_e32 v2, vcc, v2, v3, vcc
.LBB316_679:
	s_or_b64 exec, exec, s[8:9]
	s_mov_b64 s[8:9], 0
	s_branch .LBB316_683
.LBB316_680:
                                        ; implicit-def: $vgpr1_vgpr2
                                        ; implicit-def: $vgpr3_vgpr4
	s_cbranch_execnz .LBB316_704
	s_branch .LBB316_731
.LBB316_681:
	s_branch .LBB316_731
.LBB316_682:
	s_mov_b64 s[8:9], -1
                                        ; implicit-def: $vgpr1_vgpr2
.LBB316_683:
	s_and_b64 vcc, exec, s[8:9]
	s_cbranch_vccz .LBB316_703
; %bb.684:
	s_sub_i32 s8, s20, s2
	v_mov_b32_e32 v1, 0
	v_cmp_gt_u32_e32 vcc, s8, v0
	v_mov_b32_e32 v2, v1
	v_mov_b32_e32 v3, v1
	;; [unrolled: 1-line block ×3, first 2 shown]
	s_and_saveexec_b64 s[2:3], vcc
	s_cbranch_execz .LBB316_686
; %bb.685:
	v_lshlrev_b32_e32 v2, 3, v0
	global_load_dwordx2 v[5:6], v2, s[0:1]
	v_mov_b32_e32 v3, v1
	v_mov_b32_e32 v4, v1
	s_waitcnt vmcnt(0)
	v_cmp_neq_f64_e32 vcc, 0, v[5:6]
	v_mov_b32_e32 v5, v1
	v_cndmask_b32_e64 v2, 0, 1, vcc
	v_and_b32_e32 v2, 0xffff, v2
	v_mov_b32_e32 v1, v2
	v_mov_b32_e32 v2, v3
	;; [unrolled: 1-line block ×4, first 2 shown]
.LBB316_686:
	s_or_b64 exec, exec, s[2:3]
	v_or_b32_e32 v5, 0x80, v0
	v_cmp_gt_u32_e32 vcc, s8, v5
	s_and_saveexec_b64 s[2:3], vcc
	s_cbranch_execz .LBB316_688
; %bb.687:
	v_lshlrev_b32_e32 v3, 3, v0
	global_load_dwordx2 v[3:4], v3, s[0:1] offset:1024
	s_mov_b32 s9, 0
	s_waitcnt vmcnt(0)
	v_cmp_neq_f64_e64 s[0:1], 0, v[3:4]
	v_mov_b32_e32 v4, s9
	v_cndmask_b32_e64 v3, 0, 1, s[0:1]
.LBB316_688:
	s_or_b64 exec, exec, s[2:3]
	v_cndmask_b32_e32 v3, 0, v3, vcc
	v_cndmask_b32_e32 v4, 0, v4, vcc
	v_add_co_u32_e32 v1, vcc, v3, v1
	v_mbcnt_lo_u32_b32 v3, -1, 0
	v_mbcnt_hi_u32_b32 v3, -1, v3
	v_addc_co_u32_e32 v2, vcc, v4, v2, vcc
	v_and_b32_e32 v4, 63, v3
	v_cmp_ne_u32_e32 vcc, 63, v4
	v_addc_co_u32_e32 v6, vcc, 0, v3, vcc
	v_lshlrev_b32_e32 v6, 2, v6
	ds_bpermute_b32 v8, v6, v1
	ds_bpermute_b32 v7, v6, v2
	s_min_u32 s2, s8, 0x80
	v_and_b32_e32 v5, 64, v0
	v_sub_u32_e64 v5, s2, v5 clamp
	v_add_u32_e32 v6, 1, v4
	v_cmp_lt_u32_e32 vcc, v6, v5
	v_mov_b32_e32 v6, v1
	s_and_saveexec_b64 s[0:1], vcc
	s_cbranch_execz .LBB316_690
; %bb.689:
	s_waitcnt lgkmcnt(1)
	v_add_co_u32_e32 v6, vcc, v1, v8
	v_addc_co_u32_e32 v2, vcc, 0, v2, vcc
	v_add_co_u32_e32 v1, vcc, 0, v6
	s_waitcnt lgkmcnt(0)
	v_addc_co_u32_e32 v2, vcc, v7, v2, vcc
.LBB316_690:
	s_or_b64 exec, exec, s[0:1]
	v_cmp_gt_u32_e32 vcc, 62, v4
	s_waitcnt lgkmcnt(0)
	v_cndmask_b32_e64 v7, 0, 2, vcc
	v_add_lshl_u32 v7, v7, v3, 2
	ds_bpermute_b32 v8, v7, v6
	ds_bpermute_b32 v7, v7, v2
	v_add_u32_e32 v9, 2, v4
	v_cmp_lt_u32_e32 vcc, v9, v5
	s_and_saveexec_b64 s[0:1], vcc
	s_cbranch_execz .LBB316_692
; %bb.691:
	s_waitcnt lgkmcnt(1)
	v_add_co_u32_e32 v6, vcc, v1, v8
	v_addc_co_u32_e32 v2, vcc, 0, v2, vcc
	v_add_co_u32_e32 v1, vcc, 0, v6
	s_waitcnt lgkmcnt(0)
	v_addc_co_u32_e32 v2, vcc, v7, v2, vcc
.LBB316_692:
	s_or_b64 exec, exec, s[0:1]
	v_cmp_gt_u32_e32 vcc, 60, v4
	s_waitcnt lgkmcnt(0)
	v_cndmask_b32_e64 v7, 0, 4, vcc
	v_add_lshl_u32 v7, v7, v3, 2
	ds_bpermute_b32 v8, v7, v6
	ds_bpermute_b32 v7, v7, v2
	v_add_u32_e32 v9, 4, v4
	v_cmp_lt_u32_e32 vcc, v9, v5
	;; [unrolled: 19-line block ×4, first 2 shown]
	s_and_saveexec_b64 s[0:1], vcc
	s_cbranch_execz .LBB316_698
; %bb.697:
	s_waitcnt lgkmcnt(1)
	v_add_co_u32_e32 v6, vcc, v1, v8
	v_addc_co_u32_e32 v2, vcc, 0, v2, vcc
	v_add_co_u32_e32 v1, vcc, 0, v6
	s_waitcnt lgkmcnt(0)
	v_addc_co_u32_e32 v2, vcc, v7, v2, vcc
.LBB316_698:
	s_or_b64 exec, exec, s[0:1]
	s_waitcnt lgkmcnt(0)
	v_lshlrev_b32_e32 v7, 2, v3
	v_or_b32_e32 v8, 0x80, v7
	ds_bpermute_b32 v6, v8, v6
	ds_bpermute_b32 v8, v8, v2
	v_add_u32_e32 v4, 32, v4
	s_waitcnt lgkmcnt(1)
	v_add_co_u32_e32 v6, vcc, v1, v6
	v_addc_co_u32_e32 v9, vcc, 0, v2, vcc
	v_add_co_u32_e32 v6, vcc, 0, v6
	s_waitcnt lgkmcnt(0)
	v_addc_co_u32_e32 v8, vcc, v9, v8, vcc
	v_cmp_lt_u32_e32 vcc, v4, v5
	v_cndmask_b32_e32 v2, v2, v8, vcc
	v_cndmask_b32_e32 v1, v1, v6, vcc
	v_cmp_eq_u32_e32 vcc, 0, v3
	s_and_saveexec_b64 s[0:1], vcc
; %bb.699:
	v_lshrrev_b32_e32 v4, 3, v0
	v_and_b32_e32 v4, 8, v4
	ds_write_b64 v4, v[1:2] offset:128
; %bb.700:
	s_or_b64 exec, exec, s[0:1]
	v_cmp_gt_u32_e32 vcc, 2, v0
	s_waitcnt lgkmcnt(0)
	s_barrier
	s_and_saveexec_b64 s[0:1], vcc
	s_cbranch_execz .LBB316_702
; %bb.701:
	v_lshlrev_b32_e32 v1, 3, v3
	ds_read_b64 v[1:2], v1 offset:128
	v_or_b32_e32 v4, 4, v7
	s_add_i32 s2, s2, 63
	v_and_b32_e32 v3, 1, v3
	s_lshr_b32 s2, s2, 6
	s_waitcnt lgkmcnt(0)
	ds_bpermute_b32 v5, v4, v2
	ds_bpermute_b32 v4, v4, v1
	v_add_u32_e32 v3, 1, v3
	v_cmp_gt_u32_e32 vcc, s2, v3
	s_waitcnt lgkmcnt(1)
	v_cndmask_b32_e32 v3, 0, v5, vcc
	s_waitcnt lgkmcnt(0)
	v_cndmask_b32_e32 v4, 0, v4, vcc
	v_add_co_u32_e32 v1, vcc, v4, v1
	v_addc_co_u32_e32 v2, vcc, v3, v2, vcc
.LBB316_702:
	s_or_b64 exec, exec, s[0:1]
.LBB316_703:
	v_mov_b32_e32 v3, s6
	v_cmp_eq_u32_e64 s[2:3], 0, v0
	v_mov_b32_e32 v4, s7
	s_branch .LBB316_731
.LBB316_704:
	s_cmp_eq_u32 s26, 1
                                        ; implicit-def: $vgpr1_vgpr2
                                        ; implicit-def: $vgpr3_vgpr4
	s_cbranch_scc0 .LBB316_731
; %bb.705:
	s_mov_b32 s1, 0
	s_lshl_b32 s0, s6, 7
	s_mov_b32 s7, s1
	s_lshr_b64 s[2:3], s[20:21], 7
	s_cmp_lg_u64 s[2:3], s[6:7]
	v_mbcnt_lo_u32_b32 v3, -1, 0
	s_cbranch_scc0 .LBB316_711
; %bb.706:
	s_lshl_b64 s[2:3], s[0:1], 3
	s_add_u32 s2, s18, s2
	s_addc_u32 s3, s19, s3
	v_lshlrev_b32_e32 v1, 3, v0
	global_load_dwordx2 v[1:2], v1, s[2:3]
	v_mov_b32_e32 v5, 0
	v_mbcnt_hi_u32_b32 v4, -1, v3
	s_waitcnt vmcnt(0)
	v_cmp_neq_f64_e32 vcc, 0, v[1:2]
	v_mov_b32_dpp v6, v5 quad_perm:[1,0,3,2] row_mask:0xf bank_mask:0xf bound_ctrl:1
	v_lshlrev_b32_e32 v5, 2, v4
	v_or_b32_e32 v7, 0xfc, v5
	v_cndmask_b32_e64 v1, 0, 1, vcc
	s_nop 1
	v_mov_b32_dpp v2, v1 quad_perm:[1,0,3,2] row_mask:0xf bank_mask:0xf bound_ctrl:1
	v_add_co_u32_e32 v1, vcc, v2, v1
	v_addc_co_u32_e64 v2, s[2:3], 0, 0, vcc
	v_add_co_u32_e32 v8, vcc, 0, v1
	v_addc_co_u32_e32 v2, vcc, v6, v2, vcc
	v_mov_b32_dpp v1, v1 quad_perm:[2,3,0,1] row_mask:0xf bank_mask:0xf bound_ctrl:1
	v_add_co_u32_e32 v1, vcc, v8, v1
	v_mov_b32_dpp v6, v2 quad_perm:[2,3,0,1] row_mask:0xf bank_mask:0xf bound_ctrl:1
	v_addc_co_u32_e32 v2, vcc, 0, v2, vcc
	v_add_co_u32_e32 v8, vcc, 0, v1
	v_addc_co_u32_e32 v2, vcc, v2, v6, vcc
	v_mov_b32_dpp v1, v1 row_ror:4 row_mask:0xf bank_mask:0xf bound_ctrl:1
	v_add_co_u32_e32 v1, vcc, v8, v1
	v_mov_b32_dpp v6, v2 row_ror:4 row_mask:0xf bank_mask:0xf bound_ctrl:1
	v_addc_co_u32_e32 v2, vcc, 0, v2, vcc
	v_add_co_u32_e32 v8, vcc, 0, v1
	v_addc_co_u32_e32 v2, vcc, v2, v6, vcc
	v_mov_b32_dpp v1, v1 row_ror:8 row_mask:0xf bank_mask:0xf bound_ctrl:1
	v_add_co_u32_e32 v1, vcc, v8, v1
	v_mov_b32_dpp v6, v2 row_ror:8 row_mask:0xf bank_mask:0xf bound_ctrl:1
	v_addc_co_u32_e32 v2, vcc, 0, v2, vcc
	v_add_co_u32_e32 v8, vcc, 0, v1
	v_addc_co_u32_e32 v2, vcc, v2, v6, vcc
	v_mov_b32_dpp v1, v1 row_bcast:15 row_mask:0xf bank_mask:0xf bound_ctrl:1
	v_add_co_u32_e32 v1, vcc, v8, v1
	v_mov_b32_dpp v6, v2 row_bcast:15 row_mask:0xf bank_mask:0xf bound_ctrl:1
	v_addc_co_u32_e32 v2, vcc, 0, v2, vcc
	v_add_co_u32_e32 v8, vcc, 0, v1
	v_addc_co_u32_e32 v2, vcc, v2, v6, vcc
	v_mov_b32_dpp v1, v1 row_bcast:31 row_mask:0xf bank_mask:0xf bound_ctrl:1
	v_add_co_u32_e32 v1, vcc, v8, v1
	v_addc_co_u32_e32 v6, vcc, 0, v2, vcc
	ds_bpermute_b32 v1, v7, v1
	s_nop 0
	v_add_u32_dpp v2, v2, v6 row_bcast:31 row_mask:0xf bank_mask:0xf bound_ctrl:1
	ds_bpermute_b32 v2, v7, v2
	v_cmp_eq_u32_e32 vcc, 0, v4
	s_and_saveexec_b64 s[2:3], vcc
	s_cbranch_execz .LBB316_708
; %bb.707:
	v_lshrrev_b32_e32 v6, 3, v0
	v_and_b32_e32 v6, 8, v6
	s_waitcnt lgkmcnt(0)
	ds_write_b64 v6, v[1:2] offset:32
.LBB316_708:
	s_or_b64 exec, exec, s[2:3]
	v_cmp_gt_u32_e32 vcc, 64, v0
	s_waitcnt lgkmcnt(0)
	s_barrier
	s_and_saveexec_b64 s[2:3], vcc
	s_cbranch_execz .LBB316_710
; %bb.709:
	v_and_b32_e32 v1, 1, v4
	v_lshlrev_b32_e32 v1, 3, v1
	ds_read_b64 v[1:2], v1 offset:32
	v_or_b32_e32 v4, 4, v5
	s_waitcnt lgkmcnt(0)
	ds_bpermute_b32 v5, v4, v1
	ds_bpermute_b32 v4, v4, v2
	s_waitcnt lgkmcnt(1)
	v_add_co_u32_e32 v1, vcc, v1, v5
	v_addc_co_u32_e32 v2, vcc, 0, v2, vcc
	v_add_co_u32_e32 v1, vcc, 0, v1
	s_waitcnt lgkmcnt(0)
	v_addc_co_u32_e32 v2, vcc, v2, v4, vcc
.LBB316_710:
	s_or_b64 exec, exec, s[2:3]
	s_mov_b64 s[2:3], 0
	s_branch .LBB316_712
.LBB316_711:
	s_mov_b64 s[2:3], -1
                                        ; implicit-def: $vgpr1_vgpr2
.LBB316_712:
	s_and_b64 vcc, exec, s[2:3]
	s_cbranch_vccz .LBB316_730
; %bb.713:
	s_sub_i32 s8, s20, s0
	v_cmp_gt_u32_e32 vcc, s8, v0
                                        ; implicit-def: $vgpr1_vgpr2
	s_and_saveexec_b64 s[2:3], vcc
	s_cbranch_execz .LBB316_715
; %bb.714:
	s_lshl_b64 s[0:1], s[0:1], 3
	s_add_u32 s0, s18, s0
	s_addc_u32 s1, s19, s1
	v_lshlrev_b32_e32 v1, 3, v0
	global_load_dwordx2 v[1:2], v1, s[0:1]
	s_mov_b32 s0, 0
	s_waitcnt vmcnt(0)
	v_cmp_neq_f64_e32 vcc, 0, v[1:2]
	v_mov_b32_e32 v2, s0
	v_cndmask_b32_e64 v1, 0, 1, vcc
.LBB316_715:
	s_or_b64 exec, exec, s[2:3]
	v_mbcnt_hi_u32_b32 v3, -1, v3
	v_and_b32_e32 v4, 63, v3
	v_cmp_ne_u32_e32 vcc, 63, v4
	v_addc_co_u32_e32 v6, vcc, 0, v3, vcc
	v_lshlrev_b32_e32 v6, 2, v6
	ds_bpermute_b32 v8, v6, v1
	ds_bpermute_b32 v7, v6, v2
	s_min_u32 s2, s8, 0x80
	v_and_b32_e32 v5, 64, v0
	v_sub_u32_e64 v5, s2, v5 clamp
	v_add_u32_e32 v6, 1, v4
	v_cmp_lt_u32_e32 vcc, v6, v5
	v_mov_b32_e32 v6, v1
	s_and_saveexec_b64 s[0:1], vcc
	s_cbranch_execz .LBB316_717
; %bb.716:
	s_waitcnt lgkmcnt(1)
	v_add_co_u32_e32 v6, vcc, v1, v8
	v_addc_co_u32_e32 v2, vcc, 0, v2, vcc
	v_add_co_u32_e32 v1, vcc, 0, v6
	s_waitcnt lgkmcnt(0)
	v_addc_co_u32_e32 v2, vcc, v7, v2, vcc
.LBB316_717:
	s_or_b64 exec, exec, s[0:1]
	v_cmp_gt_u32_e32 vcc, 62, v4
	s_waitcnt lgkmcnt(0)
	v_cndmask_b32_e64 v7, 0, 2, vcc
	v_add_lshl_u32 v7, v7, v3, 2
	ds_bpermute_b32 v8, v7, v6
	ds_bpermute_b32 v7, v7, v2
	v_add_u32_e32 v9, 2, v4
	v_cmp_lt_u32_e32 vcc, v9, v5
	s_and_saveexec_b64 s[0:1], vcc
	s_cbranch_execz .LBB316_719
; %bb.718:
	s_waitcnt lgkmcnt(1)
	v_add_co_u32_e32 v6, vcc, v1, v8
	v_addc_co_u32_e32 v2, vcc, 0, v2, vcc
	v_add_co_u32_e32 v1, vcc, 0, v6
	s_waitcnt lgkmcnt(0)
	v_addc_co_u32_e32 v2, vcc, v7, v2, vcc
.LBB316_719:
	s_or_b64 exec, exec, s[0:1]
	v_cmp_gt_u32_e32 vcc, 60, v4
	s_waitcnt lgkmcnt(0)
	v_cndmask_b32_e64 v7, 0, 4, vcc
	v_add_lshl_u32 v7, v7, v3, 2
	ds_bpermute_b32 v8, v7, v6
	ds_bpermute_b32 v7, v7, v2
	v_add_u32_e32 v9, 4, v4
	v_cmp_lt_u32_e32 vcc, v9, v5
	;; [unrolled: 19-line block ×4, first 2 shown]
	s_and_saveexec_b64 s[0:1], vcc
	s_cbranch_execz .LBB316_725
; %bb.724:
	s_waitcnt lgkmcnt(1)
	v_add_co_u32_e32 v6, vcc, v1, v8
	v_addc_co_u32_e32 v2, vcc, 0, v2, vcc
	v_add_co_u32_e32 v1, vcc, 0, v6
	s_waitcnt lgkmcnt(0)
	v_addc_co_u32_e32 v2, vcc, v7, v2, vcc
.LBB316_725:
	s_or_b64 exec, exec, s[0:1]
	s_waitcnt lgkmcnt(0)
	v_lshlrev_b32_e32 v7, 2, v3
	v_or_b32_e32 v8, 0x80, v7
	ds_bpermute_b32 v6, v8, v6
	ds_bpermute_b32 v8, v8, v2
	v_add_u32_e32 v4, 32, v4
	s_waitcnt lgkmcnt(1)
	v_add_co_u32_e32 v6, vcc, v1, v6
	v_addc_co_u32_e32 v9, vcc, 0, v2, vcc
	v_add_co_u32_e32 v6, vcc, 0, v6
	s_waitcnt lgkmcnt(0)
	v_addc_co_u32_e32 v8, vcc, v9, v8, vcc
	v_cmp_lt_u32_e32 vcc, v4, v5
	v_cndmask_b32_e32 v2, v2, v8, vcc
	v_cndmask_b32_e32 v1, v1, v6, vcc
	v_cmp_eq_u32_e32 vcc, 0, v3
	s_and_saveexec_b64 s[0:1], vcc
; %bb.726:
	v_lshrrev_b32_e32 v4, 3, v0
	v_and_b32_e32 v4, 8, v4
	ds_write_b64 v4, v[1:2] offset:128
; %bb.727:
	s_or_b64 exec, exec, s[0:1]
	v_cmp_gt_u32_e32 vcc, 2, v0
	s_waitcnt lgkmcnt(0)
	s_barrier
	s_and_saveexec_b64 s[0:1], vcc
	s_cbranch_execz .LBB316_729
; %bb.728:
	v_lshlrev_b32_e32 v1, 3, v3
	ds_read_b64 v[1:2], v1 offset:128
	v_or_b32_e32 v4, 4, v7
	s_add_i32 s2, s2, 63
	v_and_b32_e32 v3, 1, v3
	s_lshr_b32 s2, s2, 6
	s_waitcnt lgkmcnt(0)
	ds_bpermute_b32 v5, v4, v2
	ds_bpermute_b32 v4, v4, v1
	v_add_u32_e32 v3, 1, v3
	v_cmp_gt_u32_e32 vcc, s2, v3
	s_waitcnt lgkmcnt(1)
	v_cndmask_b32_e32 v3, 0, v5, vcc
	s_waitcnt lgkmcnt(0)
	v_cndmask_b32_e32 v4, 0, v4, vcc
	v_add_co_u32_e32 v1, vcc, v4, v1
	v_addc_co_u32_e32 v2, vcc, v3, v2, vcc
.LBB316_729:
	s_or_b64 exec, exec, s[0:1]
.LBB316_730:
	v_mov_b32_e32 v3, s6
	v_cmp_eq_u32_e64 s[2:3], 0, v0
	v_mov_b32_e32 v4, s7
.LBB316_731:
	s_and_saveexec_b64 s[0:1], s[2:3]
	s_cbranch_execz .LBB316_733
; %bb.732:
	v_lshlrev_b64 v[3:4], 3, v[3:4]
	s_load_dwordx2 s[0:1], s[4:5], 0x28
	v_mov_b32_e32 v0, s23
	v_add_co_u32_e32 v3, vcc, s22, v3
	v_addc_co_u32_e32 v4, vcc, v0, v4, vcc
	s_cmp_lg_u64 s[20:21], 0
	s_cselect_b64 vcc, -1, 0
	v_cndmask_b32_e32 v0, 0, v1, vcc
	v_cndmask_b32_e32 v2, 0, v2, vcc
	s_waitcnt lgkmcnt(0)
	v_mov_b32_e32 v1, s1
	v_add_co_u32_e32 v0, vcc, s0, v0
	v_addc_co_u32_e32 v1, vcc, v2, v1, vcc
	global_store_dwordx2 v[3:4], v[0:1], off
.LBB316_733:
	s_endpgm
	.section	.rodata,"a",@progbits
	.p2align	6, 0x0
	.amdhsa_kernel _ZN7rocprim17ROCPRIM_400000_NS6detail17trampoline_kernelINS0_14default_configENS1_22reduce_config_selectorIbEEZNS1_11reduce_implILb1ES3_N6hipcub16HIPCUB_304000_NS22TransformInputIteratorIb7NonZeroIdEPdlEEPllNS8_6detail34convert_binary_result_type_wrapperINS8_3SumESD_lEEEE10hipError_tPvRmT1_T2_T3_mT4_P12ihipStream_tbEUlT_E1_NS1_11comp_targetILNS1_3genE2ELNS1_11target_archE906ELNS1_3gpuE6ELNS1_3repE0EEENS1_30default_config_static_selectorELNS0_4arch9wavefront6targetE1EEEvSM_
		.amdhsa_group_segment_fixed_size 144
		.amdhsa_private_segment_fixed_size 20
		.amdhsa_kernarg_size 56
		.amdhsa_user_sgpr_count 6
		.amdhsa_user_sgpr_private_segment_buffer 1
		.amdhsa_user_sgpr_dispatch_ptr 0
		.amdhsa_user_sgpr_queue_ptr 0
		.amdhsa_user_sgpr_kernarg_segment_ptr 1
		.amdhsa_user_sgpr_dispatch_id 0
		.amdhsa_user_sgpr_flat_scratch_init 0
		.amdhsa_user_sgpr_private_segment_size 0
		.amdhsa_uses_dynamic_stack 0
		.amdhsa_system_sgpr_private_segment_wavefront_offset 1
		.amdhsa_system_sgpr_workgroup_id_x 1
		.amdhsa_system_sgpr_workgroup_id_y 0
		.amdhsa_system_sgpr_workgroup_id_z 0
		.amdhsa_system_sgpr_workgroup_info 0
		.amdhsa_system_vgpr_workitem_id 0
		.amdhsa_next_free_vgpr 256
		.amdhsa_next_free_sgpr 40
		.amdhsa_reserve_vcc 1
		.amdhsa_reserve_flat_scratch 0
		.amdhsa_float_round_mode_32 0
		.amdhsa_float_round_mode_16_64 0
		.amdhsa_float_denorm_mode_32 3
		.amdhsa_float_denorm_mode_16_64 3
		.amdhsa_dx10_clamp 1
		.amdhsa_ieee_mode 1
		.amdhsa_fp16_overflow 0
		.amdhsa_exception_fp_ieee_invalid_op 0
		.amdhsa_exception_fp_denorm_src 0
		.amdhsa_exception_fp_ieee_div_zero 0
		.amdhsa_exception_fp_ieee_overflow 0
		.amdhsa_exception_fp_ieee_underflow 0
		.amdhsa_exception_fp_ieee_inexact 0
		.amdhsa_exception_int_div_zero 0
	.end_amdhsa_kernel
	.section	.text._ZN7rocprim17ROCPRIM_400000_NS6detail17trampoline_kernelINS0_14default_configENS1_22reduce_config_selectorIbEEZNS1_11reduce_implILb1ES3_N6hipcub16HIPCUB_304000_NS22TransformInputIteratorIb7NonZeroIdEPdlEEPllNS8_6detail34convert_binary_result_type_wrapperINS8_3SumESD_lEEEE10hipError_tPvRmT1_T2_T3_mT4_P12ihipStream_tbEUlT_E1_NS1_11comp_targetILNS1_3genE2ELNS1_11target_archE906ELNS1_3gpuE6ELNS1_3repE0EEENS1_30default_config_static_selectorELNS0_4arch9wavefront6targetE1EEEvSM_,"axG",@progbits,_ZN7rocprim17ROCPRIM_400000_NS6detail17trampoline_kernelINS0_14default_configENS1_22reduce_config_selectorIbEEZNS1_11reduce_implILb1ES3_N6hipcub16HIPCUB_304000_NS22TransformInputIteratorIb7NonZeroIdEPdlEEPllNS8_6detail34convert_binary_result_type_wrapperINS8_3SumESD_lEEEE10hipError_tPvRmT1_T2_T3_mT4_P12ihipStream_tbEUlT_E1_NS1_11comp_targetILNS1_3genE2ELNS1_11target_archE906ELNS1_3gpuE6ELNS1_3repE0EEENS1_30default_config_static_selectorELNS0_4arch9wavefront6targetE1EEEvSM_,comdat
.Lfunc_end316:
	.size	_ZN7rocprim17ROCPRIM_400000_NS6detail17trampoline_kernelINS0_14default_configENS1_22reduce_config_selectorIbEEZNS1_11reduce_implILb1ES3_N6hipcub16HIPCUB_304000_NS22TransformInputIteratorIb7NonZeroIdEPdlEEPllNS8_6detail34convert_binary_result_type_wrapperINS8_3SumESD_lEEEE10hipError_tPvRmT1_T2_T3_mT4_P12ihipStream_tbEUlT_E1_NS1_11comp_targetILNS1_3genE2ELNS1_11target_archE906ELNS1_3gpuE6ELNS1_3repE0EEENS1_30default_config_static_selectorELNS0_4arch9wavefront6targetE1EEEvSM_, .Lfunc_end316-_ZN7rocprim17ROCPRIM_400000_NS6detail17trampoline_kernelINS0_14default_configENS1_22reduce_config_selectorIbEEZNS1_11reduce_implILb1ES3_N6hipcub16HIPCUB_304000_NS22TransformInputIteratorIb7NonZeroIdEPdlEEPllNS8_6detail34convert_binary_result_type_wrapperINS8_3SumESD_lEEEE10hipError_tPvRmT1_T2_T3_mT4_P12ihipStream_tbEUlT_E1_NS1_11comp_targetILNS1_3genE2ELNS1_11target_archE906ELNS1_3gpuE6ELNS1_3repE0EEENS1_30default_config_static_selectorELNS0_4arch9wavefront6targetE1EEEvSM_
                                        ; -- End function
	.set _ZN7rocprim17ROCPRIM_400000_NS6detail17trampoline_kernelINS0_14default_configENS1_22reduce_config_selectorIbEEZNS1_11reduce_implILb1ES3_N6hipcub16HIPCUB_304000_NS22TransformInputIteratorIb7NonZeroIdEPdlEEPllNS8_6detail34convert_binary_result_type_wrapperINS8_3SumESD_lEEEE10hipError_tPvRmT1_T2_T3_mT4_P12ihipStream_tbEUlT_E1_NS1_11comp_targetILNS1_3genE2ELNS1_11target_archE906ELNS1_3gpuE6ELNS1_3repE0EEENS1_30default_config_static_selectorELNS0_4arch9wavefront6targetE1EEEvSM_.num_vgpr, 256
	.set _ZN7rocprim17ROCPRIM_400000_NS6detail17trampoline_kernelINS0_14default_configENS1_22reduce_config_selectorIbEEZNS1_11reduce_implILb1ES3_N6hipcub16HIPCUB_304000_NS22TransformInputIteratorIb7NonZeroIdEPdlEEPllNS8_6detail34convert_binary_result_type_wrapperINS8_3SumESD_lEEEE10hipError_tPvRmT1_T2_T3_mT4_P12ihipStream_tbEUlT_E1_NS1_11comp_targetILNS1_3genE2ELNS1_11target_archE906ELNS1_3gpuE6ELNS1_3repE0EEENS1_30default_config_static_selectorELNS0_4arch9wavefront6targetE1EEEvSM_.num_agpr, 0
	.set _ZN7rocprim17ROCPRIM_400000_NS6detail17trampoline_kernelINS0_14default_configENS1_22reduce_config_selectorIbEEZNS1_11reduce_implILb1ES3_N6hipcub16HIPCUB_304000_NS22TransformInputIteratorIb7NonZeroIdEPdlEEPllNS8_6detail34convert_binary_result_type_wrapperINS8_3SumESD_lEEEE10hipError_tPvRmT1_T2_T3_mT4_P12ihipStream_tbEUlT_E1_NS1_11comp_targetILNS1_3genE2ELNS1_11target_archE906ELNS1_3gpuE6ELNS1_3repE0EEENS1_30default_config_static_selectorELNS0_4arch9wavefront6targetE1EEEvSM_.numbered_sgpr, 40
	.set _ZN7rocprim17ROCPRIM_400000_NS6detail17trampoline_kernelINS0_14default_configENS1_22reduce_config_selectorIbEEZNS1_11reduce_implILb1ES3_N6hipcub16HIPCUB_304000_NS22TransformInputIteratorIb7NonZeroIdEPdlEEPllNS8_6detail34convert_binary_result_type_wrapperINS8_3SumESD_lEEEE10hipError_tPvRmT1_T2_T3_mT4_P12ihipStream_tbEUlT_E1_NS1_11comp_targetILNS1_3genE2ELNS1_11target_archE906ELNS1_3gpuE6ELNS1_3repE0EEENS1_30default_config_static_selectorELNS0_4arch9wavefront6targetE1EEEvSM_.num_named_barrier, 0
	.set _ZN7rocprim17ROCPRIM_400000_NS6detail17trampoline_kernelINS0_14default_configENS1_22reduce_config_selectorIbEEZNS1_11reduce_implILb1ES3_N6hipcub16HIPCUB_304000_NS22TransformInputIteratorIb7NonZeroIdEPdlEEPllNS8_6detail34convert_binary_result_type_wrapperINS8_3SumESD_lEEEE10hipError_tPvRmT1_T2_T3_mT4_P12ihipStream_tbEUlT_E1_NS1_11comp_targetILNS1_3genE2ELNS1_11target_archE906ELNS1_3gpuE6ELNS1_3repE0EEENS1_30default_config_static_selectorELNS0_4arch9wavefront6targetE1EEEvSM_.private_seg_size, 20
	.set _ZN7rocprim17ROCPRIM_400000_NS6detail17trampoline_kernelINS0_14default_configENS1_22reduce_config_selectorIbEEZNS1_11reduce_implILb1ES3_N6hipcub16HIPCUB_304000_NS22TransformInputIteratorIb7NonZeroIdEPdlEEPllNS8_6detail34convert_binary_result_type_wrapperINS8_3SumESD_lEEEE10hipError_tPvRmT1_T2_T3_mT4_P12ihipStream_tbEUlT_E1_NS1_11comp_targetILNS1_3genE2ELNS1_11target_archE906ELNS1_3gpuE6ELNS1_3repE0EEENS1_30default_config_static_selectorELNS0_4arch9wavefront6targetE1EEEvSM_.uses_vcc, 1
	.set _ZN7rocprim17ROCPRIM_400000_NS6detail17trampoline_kernelINS0_14default_configENS1_22reduce_config_selectorIbEEZNS1_11reduce_implILb1ES3_N6hipcub16HIPCUB_304000_NS22TransformInputIteratorIb7NonZeroIdEPdlEEPllNS8_6detail34convert_binary_result_type_wrapperINS8_3SumESD_lEEEE10hipError_tPvRmT1_T2_T3_mT4_P12ihipStream_tbEUlT_E1_NS1_11comp_targetILNS1_3genE2ELNS1_11target_archE906ELNS1_3gpuE6ELNS1_3repE0EEENS1_30default_config_static_selectorELNS0_4arch9wavefront6targetE1EEEvSM_.uses_flat_scratch, 0
	.set _ZN7rocprim17ROCPRIM_400000_NS6detail17trampoline_kernelINS0_14default_configENS1_22reduce_config_selectorIbEEZNS1_11reduce_implILb1ES3_N6hipcub16HIPCUB_304000_NS22TransformInputIteratorIb7NonZeroIdEPdlEEPllNS8_6detail34convert_binary_result_type_wrapperINS8_3SumESD_lEEEE10hipError_tPvRmT1_T2_T3_mT4_P12ihipStream_tbEUlT_E1_NS1_11comp_targetILNS1_3genE2ELNS1_11target_archE906ELNS1_3gpuE6ELNS1_3repE0EEENS1_30default_config_static_selectorELNS0_4arch9wavefront6targetE1EEEvSM_.has_dyn_sized_stack, 0
	.set _ZN7rocprim17ROCPRIM_400000_NS6detail17trampoline_kernelINS0_14default_configENS1_22reduce_config_selectorIbEEZNS1_11reduce_implILb1ES3_N6hipcub16HIPCUB_304000_NS22TransformInputIteratorIb7NonZeroIdEPdlEEPllNS8_6detail34convert_binary_result_type_wrapperINS8_3SumESD_lEEEE10hipError_tPvRmT1_T2_T3_mT4_P12ihipStream_tbEUlT_E1_NS1_11comp_targetILNS1_3genE2ELNS1_11target_archE906ELNS1_3gpuE6ELNS1_3repE0EEENS1_30default_config_static_selectorELNS0_4arch9wavefront6targetE1EEEvSM_.has_recursion, 0
	.set _ZN7rocprim17ROCPRIM_400000_NS6detail17trampoline_kernelINS0_14default_configENS1_22reduce_config_selectorIbEEZNS1_11reduce_implILb1ES3_N6hipcub16HIPCUB_304000_NS22TransformInputIteratorIb7NonZeroIdEPdlEEPllNS8_6detail34convert_binary_result_type_wrapperINS8_3SumESD_lEEEE10hipError_tPvRmT1_T2_T3_mT4_P12ihipStream_tbEUlT_E1_NS1_11comp_targetILNS1_3genE2ELNS1_11target_archE906ELNS1_3gpuE6ELNS1_3repE0EEENS1_30default_config_static_selectorELNS0_4arch9wavefront6targetE1EEEvSM_.has_indirect_call, 0
	.section	.AMDGPU.csdata,"",@progbits
; Kernel info:
; codeLenInByte = 37704
; TotalNumSgprs: 44
; NumVgprs: 256
; ScratchSize: 20
; MemoryBound: 0
; FloatMode: 240
; IeeeMode: 1
; LDSByteSize: 144 bytes/workgroup (compile time only)
; SGPRBlocks: 5
; VGPRBlocks: 63
; NumSGPRsForWavesPerEU: 44
; NumVGPRsForWavesPerEU: 256
; Occupancy: 1
; WaveLimiterHint : 1
; COMPUTE_PGM_RSRC2:SCRATCH_EN: 1
; COMPUTE_PGM_RSRC2:USER_SGPR: 6
; COMPUTE_PGM_RSRC2:TRAP_HANDLER: 0
; COMPUTE_PGM_RSRC2:TGID_X_EN: 1
; COMPUTE_PGM_RSRC2:TGID_Y_EN: 0
; COMPUTE_PGM_RSRC2:TGID_Z_EN: 0
; COMPUTE_PGM_RSRC2:TIDIG_COMP_CNT: 0
	.section	.text._ZN7rocprim17ROCPRIM_400000_NS6detail17trampoline_kernelINS0_14default_configENS1_22reduce_config_selectorIbEEZNS1_11reduce_implILb1ES3_N6hipcub16HIPCUB_304000_NS22TransformInputIteratorIb7NonZeroIdEPdlEEPllNS8_6detail34convert_binary_result_type_wrapperINS8_3SumESD_lEEEE10hipError_tPvRmT1_T2_T3_mT4_P12ihipStream_tbEUlT_E1_NS1_11comp_targetILNS1_3genE10ELNS1_11target_archE1201ELNS1_3gpuE5ELNS1_3repE0EEENS1_30default_config_static_selectorELNS0_4arch9wavefront6targetE1EEEvSM_,"axG",@progbits,_ZN7rocprim17ROCPRIM_400000_NS6detail17trampoline_kernelINS0_14default_configENS1_22reduce_config_selectorIbEEZNS1_11reduce_implILb1ES3_N6hipcub16HIPCUB_304000_NS22TransformInputIteratorIb7NonZeroIdEPdlEEPllNS8_6detail34convert_binary_result_type_wrapperINS8_3SumESD_lEEEE10hipError_tPvRmT1_T2_T3_mT4_P12ihipStream_tbEUlT_E1_NS1_11comp_targetILNS1_3genE10ELNS1_11target_archE1201ELNS1_3gpuE5ELNS1_3repE0EEENS1_30default_config_static_selectorELNS0_4arch9wavefront6targetE1EEEvSM_,comdat
	.protected	_ZN7rocprim17ROCPRIM_400000_NS6detail17trampoline_kernelINS0_14default_configENS1_22reduce_config_selectorIbEEZNS1_11reduce_implILb1ES3_N6hipcub16HIPCUB_304000_NS22TransformInputIteratorIb7NonZeroIdEPdlEEPllNS8_6detail34convert_binary_result_type_wrapperINS8_3SumESD_lEEEE10hipError_tPvRmT1_T2_T3_mT4_P12ihipStream_tbEUlT_E1_NS1_11comp_targetILNS1_3genE10ELNS1_11target_archE1201ELNS1_3gpuE5ELNS1_3repE0EEENS1_30default_config_static_selectorELNS0_4arch9wavefront6targetE1EEEvSM_ ; -- Begin function _ZN7rocprim17ROCPRIM_400000_NS6detail17trampoline_kernelINS0_14default_configENS1_22reduce_config_selectorIbEEZNS1_11reduce_implILb1ES3_N6hipcub16HIPCUB_304000_NS22TransformInputIteratorIb7NonZeroIdEPdlEEPllNS8_6detail34convert_binary_result_type_wrapperINS8_3SumESD_lEEEE10hipError_tPvRmT1_T2_T3_mT4_P12ihipStream_tbEUlT_E1_NS1_11comp_targetILNS1_3genE10ELNS1_11target_archE1201ELNS1_3gpuE5ELNS1_3repE0EEENS1_30default_config_static_selectorELNS0_4arch9wavefront6targetE1EEEvSM_
	.globl	_ZN7rocprim17ROCPRIM_400000_NS6detail17trampoline_kernelINS0_14default_configENS1_22reduce_config_selectorIbEEZNS1_11reduce_implILb1ES3_N6hipcub16HIPCUB_304000_NS22TransformInputIteratorIb7NonZeroIdEPdlEEPllNS8_6detail34convert_binary_result_type_wrapperINS8_3SumESD_lEEEE10hipError_tPvRmT1_T2_T3_mT4_P12ihipStream_tbEUlT_E1_NS1_11comp_targetILNS1_3genE10ELNS1_11target_archE1201ELNS1_3gpuE5ELNS1_3repE0EEENS1_30default_config_static_selectorELNS0_4arch9wavefront6targetE1EEEvSM_
	.p2align	8
	.type	_ZN7rocprim17ROCPRIM_400000_NS6detail17trampoline_kernelINS0_14default_configENS1_22reduce_config_selectorIbEEZNS1_11reduce_implILb1ES3_N6hipcub16HIPCUB_304000_NS22TransformInputIteratorIb7NonZeroIdEPdlEEPllNS8_6detail34convert_binary_result_type_wrapperINS8_3SumESD_lEEEE10hipError_tPvRmT1_T2_T3_mT4_P12ihipStream_tbEUlT_E1_NS1_11comp_targetILNS1_3genE10ELNS1_11target_archE1201ELNS1_3gpuE5ELNS1_3repE0EEENS1_30default_config_static_selectorELNS0_4arch9wavefront6targetE1EEEvSM_,@function
_ZN7rocprim17ROCPRIM_400000_NS6detail17trampoline_kernelINS0_14default_configENS1_22reduce_config_selectorIbEEZNS1_11reduce_implILb1ES3_N6hipcub16HIPCUB_304000_NS22TransformInputIteratorIb7NonZeroIdEPdlEEPllNS8_6detail34convert_binary_result_type_wrapperINS8_3SumESD_lEEEE10hipError_tPvRmT1_T2_T3_mT4_P12ihipStream_tbEUlT_E1_NS1_11comp_targetILNS1_3genE10ELNS1_11target_archE1201ELNS1_3gpuE5ELNS1_3repE0EEENS1_30default_config_static_selectorELNS0_4arch9wavefront6targetE1EEEvSM_: ; @_ZN7rocprim17ROCPRIM_400000_NS6detail17trampoline_kernelINS0_14default_configENS1_22reduce_config_selectorIbEEZNS1_11reduce_implILb1ES3_N6hipcub16HIPCUB_304000_NS22TransformInputIteratorIb7NonZeroIdEPdlEEPllNS8_6detail34convert_binary_result_type_wrapperINS8_3SumESD_lEEEE10hipError_tPvRmT1_T2_T3_mT4_P12ihipStream_tbEUlT_E1_NS1_11comp_targetILNS1_3genE10ELNS1_11target_archE1201ELNS1_3gpuE5ELNS1_3repE0EEENS1_30default_config_static_selectorELNS0_4arch9wavefront6targetE1EEEvSM_
; %bb.0:
	.section	.rodata,"a",@progbits
	.p2align	6, 0x0
	.amdhsa_kernel _ZN7rocprim17ROCPRIM_400000_NS6detail17trampoline_kernelINS0_14default_configENS1_22reduce_config_selectorIbEEZNS1_11reduce_implILb1ES3_N6hipcub16HIPCUB_304000_NS22TransformInputIteratorIb7NonZeroIdEPdlEEPllNS8_6detail34convert_binary_result_type_wrapperINS8_3SumESD_lEEEE10hipError_tPvRmT1_T2_T3_mT4_P12ihipStream_tbEUlT_E1_NS1_11comp_targetILNS1_3genE10ELNS1_11target_archE1201ELNS1_3gpuE5ELNS1_3repE0EEENS1_30default_config_static_selectorELNS0_4arch9wavefront6targetE1EEEvSM_
		.amdhsa_group_segment_fixed_size 0
		.amdhsa_private_segment_fixed_size 0
		.amdhsa_kernarg_size 56
		.amdhsa_user_sgpr_count 6
		.amdhsa_user_sgpr_private_segment_buffer 1
		.amdhsa_user_sgpr_dispatch_ptr 0
		.amdhsa_user_sgpr_queue_ptr 0
		.amdhsa_user_sgpr_kernarg_segment_ptr 1
		.amdhsa_user_sgpr_dispatch_id 0
		.amdhsa_user_sgpr_flat_scratch_init 0
		.amdhsa_user_sgpr_private_segment_size 0
		.amdhsa_uses_dynamic_stack 0
		.amdhsa_system_sgpr_private_segment_wavefront_offset 0
		.amdhsa_system_sgpr_workgroup_id_x 1
		.amdhsa_system_sgpr_workgroup_id_y 0
		.amdhsa_system_sgpr_workgroup_id_z 0
		.amdhsa_system_sgpr_workgroup_info 0
		.amdhsa_system_vgpr_workitem_id 0
		.amdhsa_next_free_vgpr 1
		.amdhsa_next_free_sgpr 0
		.amdhsa_reserve_vcc 0
		.amdhsa_reserve_flat_scratch 0
		.amdhsa_float_round_mode_32 0
		.amdhsa_float_round_mode_16_64 0
		.amdhsa_float_denorm_mode_32 3
		.amdhsa_float_denorm_mode_16_64 3
		.amdhsa_dx10_clamp 1
		.amdhsa_ieee_mode 1
		.amdhsa_fp16_overflow 0
		.amdhsa_exception_fp_ieee_invalid_op 0
		.amdhsa_exception_fp_denorm_src 0
		.amdhsa_exception_fp_ieee_div_zero 0
		.amdhsa_exception_fp_ieee_overflow 0
		.amdhsa_exception_fp_ieee_underflow 0
		.amdhsa_exception_fp_ieee_inexact 0
		.amdhsa_exception_int_div_zero 0
	.end_amdhsa_kernel
	.section	.text._ZN7rocprim17ROCPRIM_400000_NS6detail17trampoline_kernelINS0_14default_configENS1_22reduce_config_selectorIbEEZNS1_11reduce_implILb1ES3_N6hipcub16HIPCUB_304000_NS22TransformInputIteratorIb7NonZeroIdEPdlEEPllNS8_6detail34convert_binary_result_type_wrapperINS8_3SumESD_lEEEE10hipError_tPvRmT1_T2_T3_mT4_P12ihipStream_tbEUlT_E1_NS1_11comp_targetILNS1_3genE10ELNS1_11target_archE1201ELNS1_3gpuE5ELNS1_3repE0EEENS1_30default_config_static_selectorELNS0_4arch9wavefront6targetE1EEEvSM_,"axG",@progbits,_ZN7rocprim17ROCPRIM_400000_NS6detail17trampoline_kernelINS0_14default_configENS1_22reduce_config_selectorIbEEZNS1_11reduce_implILb1ES3_N6hipcub16HIPCUB_304000_NS22TransformInputIteratorIb7NonZeroIdEPdlEEPllNS8_6detail34convert_binary_result_type_wrapperINS8_3SumESD_lEEEE10hipError_tPvRmT1_T2_T3_mT4_P12ihipStream_tbEUlT_E1_NS1_11comp_targetILNS1_3genE10ELNS1_11target_archE1201ELNS1_3gpuE5ELNS1_3repE0EEENS1_30default_config_static_selectorELNS0_4arch9wavefront6targetE1EEEvSM_,comdat
.Lfunc_end317:
	.size	_ZN7rocprim17ROCPRIM_400000_NS6detail17trampoline_kernelINS0_14default_configENS1_22reduce_config_selectorIbEEZNS1_11reduce_implILb1ES3_N6hipcub16HIPCUB_304000_NS22TransformInputIteratorIb7NonZeroIdEPdlEEPllNS8_6detail34convert_binary_result_type_wrapperINS8_3SumESD_lEEEE10hipError_tPvRmT1_T2_T3_mT4_P12ihipStream_tbEUlT_E1_NS1_11comp_targetILNS1_3genE10ELNS1_11target_archE1201ELNS1_3gpuE5ELNS1_3repE0EEENS1_30default_config_static_selectorELNS0_4arch9wavefront6targetE1EEEvSM_, .Lfunc_end317-_ZN7rocprim17ROCPRIM_400000_NS6detail17trampoline_kernelINS0_14default_configENS1_22reduce_config_selectorIbEEZNS1_11reduce_implILb1ES3_N6hipcub16HIPCUB_304000_NS22TransformInputIteratorIb7NonZeroIdEPdlEEPllNS8_6detail34convert_binary_result_type_wrapperINS8_3SumESD_lEEEE10hipError_tPvRmT1_T2_T3_mT4_P12ihipStream_tbEUlT_E1_NS1_11comp_targetILNS1_3genE10ELNS1_11target_archE1201ELNS1_3gpuE5ELNS1_3repE0EEENS1_30default_config_static_selectorELNS0_4arch9wavefront6targetE1EEEvSM_
                                        ; -- End function
	.set _ZN7rocprim17ROCPRIM_400000_NS6detail17trampoline_kernelINS0_14default_configENS1_22reduce_config_selectorIbEEZNS1_11reduce_implILb1ES3_N6hipcub16HIPCUB_304000_NS22TransformInputIteratorIb7NonZeroIdEPdlEEPllNS8_6detail34convert_binary_result_type_wrapperINS8_3SumESD_lEEEE10hipError_tPvRmT1_T2_T3_mT4_P12ihipStream_tbEUlT_E1_NS1_11comp_targetILNS1_3genE10ELNS1_11target_archE1201ELNS1_3gpuE5ELNS1_3repE0EEENS1_30default_config_static_selectorELNS0_4arch9wavefront6targetE1EEEvSM_.num_vgpr, 0
	.set _ZN7rocprim17ROCPRIM_400000_NS6detail17trampoline_kernelINS0_14default_configENS1_22reduce_config_selectorIbEEZNS1_11reduce_implILb1ES3_N6hipcub16HIPCUB_304000_NS22TransformInputIteratorIb7NonZeroIdEPdlEEPllNS8_6detail34convert_binary_result_type_wrapperINS8_3SumESD_lEEEE10hipError_tPvRmT1_T2_T3_mT4_P12ihipStream_tbEUlT_E1_NS1_11comp_targetILNS1_3genE10ELNS1_11target_archE1201ELNS1_3gpuE5ELNS1_3repE0EEENS1_30default_config_static_selectorELNS0_4arch9wavefront6targetE1EEEvSM_.num_agpr, 0
	.set _ZN7rocprim17ROCPRIM_400000_NS6detail17trampoline_kernelINS0_14default_configENS1_22reduce_config_selectorIbEEZNS1_11reduce_implILb1ES3_N6hipcub16HIPCUB_304000_NS22TransformInputIteratorIb7NonZeroIdEPdlEEPllNS8_6detail34convert_binary_result_type_wrapperINS8_3SumESD_lEEEE10hipError_tPvRmT1_T2_T3_mT4_P12ihipStream_tbEUlT_E1_NS1_11comp_targetILNS1_3genE10ELNS1_11target_archE1201ELNS1_3gpuE5ELNS1_3repE0EEENS1_30default_config_static_selectorELNS0_4arch9wavefront6targetE1EEEvSM_.numbered_sgpr, 0
	.set _ZN7rocprim17ROCPRIM_400000_NS6detail17trampoline_kernelINS0_14default_configENS1_22reduce_config_selectorIbEEZNS1_11reduce_implILb1ES3_N6hipcub16HIPCUB_304000_NS22TransformInputIteratorIb7NonZeroIdEPdlEEPllNS8_6detail34convert_binary_result_type_wrapperINS8_3SumESD_lEEEE10hipError_tPvRmT1_T2_T3_mT4_P12ihipStream_tbEUlT_E1_NS1_11comp_targetILNS1_3genE10ELNS1_11target_archE1201ELNS1_3gpuE5ELNS1_3repE0EEENS1_30default_config_static_selectorELNS0_4arch9wavefront6targetE1EEEvSM_.num_named_barrier, 0
	.set _ZN7rocprim17ROCPRIM_400000_NS6detail17trampoline_kernelINS0_14default_configENS1_22reduce_config_selectorIbEEZNS1_11reduce_implILb1ES3_N6hipcub16HIPCUB_304000_NS22TransformInputIteratorIb7NonZeroIdEPdlEEPllNS8_6detail34convert_binary_result_type_wrapperINS8_3SumESD_lEEEE10hipError_tPvRmT1_T2_T3_mT4_P12ihipStream_tbEUlT_E1_NS1_11comp_targetILNS1_3genE10ELNS1_11target_archE1201ELNS1_3gpuE5ELNS1_3repE0EEENS1_30default_config_static_selectorELNS0_4arch9wavefront6targetE1EEEvSM_.private_seg_size, 0
	.set _ZN7rocprim17ROCPRIM_400000_NS6detail17trampoline_kernelINS0_14default_configENS1_22reduce_config_selectorIbEEZNS1_11reduce_implILb1ES3_N6hipcub16HIPCUB_304000_NS22TransformInputIteratorIb7NonZeroIdEPdlEEPllNS8_6detail34convert_binary_result_type_wrapperINS8_3SumESD_lEEEE10hipError_tPvRmT1_T2_T3_mT4_P12ihipStream_tbEUlT_E1_NS1_11comp_targetILNS1_3genE10ELNS1_11target_archE1201ELNS1_3gpuE5ELNS1_3repE0EEENS1_30default_config_static_selectorELNS0_4arch9wavefront6targetE1EEEvSM_.uses_vcc, 0
	.set _ZN7rocprim17ROCPRIM_400000_NS6detail17trampoline_kernelINS0_14default_configENS1_22reduce_config_selectorIbEEZNS1_11reduce_implILb1ES3_N6hipcub16HIPCUB_304000_NS22TransformInputIteratorIb7NonZeroIdEPdlEEPllNS8_6detail34convert_binary_result_type_wrapperINS8_3SumESD_lEEEE10hipError_tPvRmT1_T2_T3_mT4_P12ihipStream_tbEUlT_E1_NS1_11comp_targetILNS1_3genE10ELNS1_11target_archE1201ELNS1_3gpuE5ELNS1_3repE0EEENS1_30default_config_static_selectorELNS0_4arch9wavefront6targetE1EEEvSM_.uses_flat_scratch, 0
	.set _ZN7rocprim17ROCPRIM_400000_NS6detail17trampoline_kernelINS0_14default_configENS1_22reduce_config_selectorIbEEZNS1_11reduce_implILb1ES3_N6hipcub16HIPCUB_304000_NS22TransformInputIteratorIb7NonZeroIdEPdlEEPllNS8_6detail34convert_binary_result_type_wrapperINS8_3SumESD_lEEEE10hipError_tPvRmT1_T2_T3_mT4_P12ihipStream_tbEUlT_E1_NS1_11comp_targetILNS1_3genE10ELNS1_11target_archE1201ELNS1_3gpuE5ELNS1_3repE0EEENS1_30default_config_static_selectorELNS0_4arch9wavefront6targetE1EEEvSM_.has_dyn_sized_stack, 0
	.set _ZN7rocprim17ROCPRIM_400000_NS6detail17trampoline_kernelINS0_14default_configENS1_22reduce_config_selectorIbEEZNS1_11reduce_implILb1ES3_N6hipcub16HIPCUB_304000_NS22TransformInputIteratorIb7NonZeroIdEPdlEEPllNS8_6detail34convert_binary_result_type_wrapperINS8_3SumESD_lEEEE10hipError_tPvRmT1_T2_T3_mT4_P12ihipStream_tbEUlT_E1_NS1_11comp_targetILNS1_3genE10ELNS1_11target_archE1201ELNS1_3gpuE5ELNS1_3repE0EEENS1_30default_config_static_selectorELNS0_4arch9wavefront6targetE1EEEvSM_.has_recursion, 0
	.set _ZN7rocprim17ROCPRIM_400000_NS6detail17trampoline_kernelINS0_14default_configENS1_22reduce_config_selectorIbEEZNS1_11reduce_implILb1ES3_N6hipcub16HIPCUB_304000_NS22TransformInputIteratorIb7NonZeroIdEPdlEEPllNS8_6detail34convert_binary_result_type_wrapperINS8_3SumESD_lEEEE10hipError_tPvRmT1_T2_T3_mT4_P12ihipStream_tbEUlT_E1_NS1_11comp_targetILNS1_3genE10ELNS1_11target_archE1201ELNS1_3gpuE5ELNS1_3repE0EEENS1_30default_config_static_selectorELNS0_4arch9wavefront6targetE1EEEvSM_.has_indirect_call, 0
	.section	.AMDGPU.csdata,"",@progbits
; Kernel info:
; codeLenInByte = 0
; TotalNumSgprs: 4
; NumVgprs: 0
; ScratchSize: 0
; MemoryBound: 0
; FloatMode: 240
; IeeeMode: 1
; LDSByteSize: 0 bytes/workgroup (compile time only)
; SGPRBlocks: 0
; VGPRBlocks: 0
; NumSGPRsForWavesPerEU: 4
; NumVGPRsForWavesPerEU: 1
; Occupancy: 10
; WaveLimiterHint : 0
; COMPUTE_PGM_RSRC2:SCRATCH_EN: 0
; COMPUTE_PGM_RSRC2:USER_SGPR: 6
; COMPUTE_PGM_RSRC2:TRAP_HANDLER: 0
; COMPUTE_PGM_RSRC2:TGID_X_EN: 1
; COMPUTE_PGM_RSRC2:TGID_Y_EN: 0
; COMPUTE_PGM_RSRC2:TGID_Z_EN: 0
; COMPUTE_PGM_RSRC2:TIDIG_COMP_CNT: 0
	.section	.text._ZN7rocprim17ROCPRIM_400000_NS6detail17trampoline_kernelINS0_14default_configENS1_22reduce_config_selectorIbEEZNS1_11reduce_implILb1ES3_N6hipcub16HIPCUB_304000_NS22TransformInputIteratorIb7NonZeroIdEPdlEEPllNS8_6detail34convert_binary_result_type_wrapperINS8_3SumESD_lEEEE10hipError_tPvRmT1_T2_T3_mT4_P12ihipStream_tbEUlT_E1_NS1_11comp_targetILNS1_3genE10ELNS1_11target_archE1200ELNS1_3gpuE4ELNS1_3repE0EEENS1_30default_config_static_selectorELNS0_4arch9wavefront6targetE1EEEvSM_,"axG",@progbits,_ZN7rocprim17ROCPRIM_400000_NS6detail17trampoline_kernelINS0_14default_configENS1_22reduce_config_selectorIbEEZNS1_11reduce_implILb1ES3_N6hipcub16HIPCUB_304000_NS22TransformInputIteratorIb7NonZeroIdEPdlEEPllNS8_6detail34convert_binary_result_type_wrapperINS8_3SumESD_lEEEE10hipError_tPvRmT1_T2_T3_mT4_P12ihipStream_tbEUlT_E1_NS1_11comp_targetILNS1_3genE10ELNS1_11target_archE1200ELNS1_3gpuE4ELNS1_3repE0EEENS1_30default_config_static_selectorELNS0_4arch9wavefront6targetE1EEEvSM_,comdat
	.protected	_ZN7rocprim17ROCPRIM_400000_NS6detail17trampoline_kernelINS0_14default_configENS1_22reduce_config_selectorIbEEZNS1_11reduce_implILb1ES3_N6hipcub16HIPCUB_304000_NS22TransformInputIteratorIb7NonZeroIdEPdlEEPllNS8_6detail34convert_binary_result_type_wrapperINS8_3SumESD_lEEEE10hipError_tPvRmT1_T2_T3_mT4_P12ihipStream_tbEUlT_E1_NS1_11comp_targetILNS1_3genE10ELNS1_11target_archE1200ELNS1_3gpuE4ELNS1_3repE0EEENS1_30default_config_static_selectorELNS0_4arch9wavefront6targetE1EEEvSM_ ; -- Begin function _ZN7rocprim17ROCPRIM_400000_NS6detail17trampoline_kernelINS0_14default_configENS1_22reduce_config_selectorIbEEZNS1_11reduce_implILb1ES3_N6hipcub16HIPCUB_304000_NS22TransformInputIteratorIb7NonZeroIdEPdlEEPllNS8_6detail34convert_binary_result_type_wrapperINS8_3SumESD_lEEEE10hipError_tPvRmT1_T2_T3_mT4_P12ihipStream_tbEUlT_E1_NS1_11comp_targetILNS1_3genE10ELNS1_11target_archE1200ELNS1_3gpuE4ELNS1_3repE0EEENS1_30default_config_static_selectorELNS0_4arch9wavefront6targetE1EEEvSM_
	.globl	_ZN7rocprim17ROCPRIM_400000_NS6detail17trampoline_kernelINS0_14default_configENS1_22reduce_config_selectorIbEEZNS1_11reduce_implILb1ES3_N6hipcub16HIPCUB_304000_NS22TransformInputIteratorIb7NonZeroIdEPdlEEPllNS8_6detail34convert_binary_result_type_wrapperINS8_3SumESD_lEEEE10hipError_tPvRmT1_T2_T3_mT4_P12ihipStream_tbEUlT_E1_NS1_11comp_targetILNS1_3genE10ELNS1_11target_archE1200ELNS1_3gpuE4ELNS1_3repE0EEENS1_30default_config_static_selectorELNS0_4arch9wavefront6targetE1EEEvSM_
	.p2align	8
	.type	_ZN7rocprim17ROCPRIM_400000_NS6detail17trampoline_kernelINS0_14default_configENS1_22reduce_config_selectorIbEEZNS1_11reduce_implILb1ES3_N6hipcub16HIPCUB_304000_NS22TransformInputIteratorIb7NonZeroIdEPdlEEPllNS8_6detail34convert_binary_result_type_wrapperINS8_3SumESD_lEEEE10hipError_tPvRmT1_T2_T3_mT4_P12ihipStream_tbEUlT_E1_NS1_11comp_targetILNS1_3genE10ELNS1_11target_archE1200ELNS1_3gpuE4ELNS1_3repE0EEENS1_30default_config_static_selectorELNS0_4arch9wavefront6targetE1EEEvSM_,@function
_ZN7rocprim17ROCPRIM_400000_NS6detail17trampoline_kernelINS0_14default_configENS1_22reduce_config_selectorIbEEZNS1_11reduce_implILb1ES3_N6hipcub16HIPCUB_304000_NS22TransformInputIteratorIb7NonZeroIdEPdlEEPllNS8_6detail34convert_binary_result_type_wrapperINS8_3SumESD_lEEEE10hipError_tPvRmT1_T2_T3_mT4_P12ihipStream_tbEUlT_E1_NS1_11comp_targetILNS1_3genE10ELNS1_11target_archE1200ELNS1_3gpuE4ELNS1_3repE0EEENS1_30default_config_static_selectorELNS0_4arch9wavefront6targetE1EEEvSM_: ; @_ZN7rocprim17ROCPRIM_400000_NS6detail17trampoline_kernelINS0_14default_configENS1_22reduce_config_selectorIbEEZNS1_11reduce_implILb1ES3_N6hipcub16HIPCUB_304000_NS22TransformInputIteratorIb7NonZeroIdEPdlEEPllNS8_6detail34convert_binary_result_type_wrapperINS8_3SumESD_lEEEE10hipError_tPvRmT1_T2_T3_mT4_P12ihipStream_tbEUlT_E1_NS1_11comp_targetILNS1_3genE10ELNS1_11target_archE1200ELNS1_3gpuE4ELNS1_3repE0EEENS1_30default_config_static_selectorELNS0_4arch9wavefront6targetE1EEEvSM_
; %bb.0:
	.section	.rodata,"a",@progbits
	.p2align	6, 0x0
	.amdhsa_kernel _ZN7rocprim17ROCPRIM_400000_NS6detail17trampoline_kernelINS0_14default_configENS1_22reduce_config_selectorIbEEZNS1_11reduce_implILb1ES3_N6hipcub16HIPCUB_304000_NS22TransformInputIteratorIb7NonZeroIdEPdlEEPllNS8_6detail34convert_binary_result_type_wrapperINS8_3SumESD_lEEEE10hipError_tPvRmT1_T2_T3_mT4_P12ihipStream_tbEUlT_E1_NS1_11comp_targetILNS1_3genE10ELNS1_11target_archE1200ELNS1_3gpuE4ELNS1_3repE0EEENS1_30default_config_static_selectorELNS0_4arch9wavefront6targetE1EEEvSM_
		.amdhsa_group_segment_fixed_size 0
		.amdhsa_private_segment_fixed_size 0
		.amdhsa_kernarg_size 56
		.amdhsa_user_sgpr_count 6
		.amdhsa_user_sgpr_private_segment_buffer 1
		.amdhsa_user_sgpr_dispatch_ptr 0
		.amdhsa_user_sgpr_queue_ptr 0
		.amdhsa_user_sgpr_kernarg_segment_ptr 1
		.amdhsa_user_sgpr_dispatch_id 0
		.amdhsa_user_sgpr_flat_scratch_init 0
		.amdhsa_user_sgpr_private_segment_size 0
		.amdhsa_uses_dynamic_stack 0
		.amdhsa_system_sgpr_private_segment_wavefront_offset 0
		.amdhsa_system_sgpr_workgroup_id_x 1
		.amdhsa_system_sgpr_workgroup_id_y 0
		.amdhsa_system_sgpr_workgroup_id_z 0
		.amdhsa_system_sgpr_workgroup_info 0
		.amdhsa_system_vgpr_workitem_id 0
		.amdhsa_next_free_vgpr 1
		.amdhsa_next_free_sgpr 0
		.amdhsa_reserve_vcc 0
		.amdhsa_reserve_flat_scratch 0
		.amdhsa_float_round_mode_32 0
		.amdhsa_float_round_mode_16_64 0
		.amdhsa_float_denorm_mode_32 3
		.amdhsa_float_denorm_mode_16_64 3
		.amdhsa_dx10_clamp 1
		.amdhsa_ieee_mode 1
		.amdhsa_fp16_overflow 0
		.amdhsa_exception_fp_ieee_invalid_op 0
		.amdhsa_exception_fp_denorm_src 0
		.amdhsa_exception_fp_ieee_div_zero 0
		.amdhsa_exception_fp_ieee_overflow 0
		.amdhsa_exception_fp_ieee_underflow 0
		.amdhsa_exception_fp_ieee_inexact 0
		.amdhsa_exception_int_div_zero 0
	.end_amdhsa_kernel
	.section	.text._ZN7rocprim17ROCPRIM_400000_NS6detail17trampoline_kernelINS0_14default_configENS1_22reduce_config_selectorIbEEZNS1_11reduce_implILb1ES3_N6hipcub16HIPCUB_304000_NS22TransformInputIteratorIb7NonZeroIdEPdlEEPllNS8_6detail34convert_binary_result_type_wrapperINS8_3SumESD_lEEEE10hipError_tPvRmT1_T2_T3_mT4_P12ihipStream_tbEUlT_E1_NS1_11comp_targetILNS1_3genE10ELNS1_11target_archE1200ELNS1_3gpuE4ELNS1_3repE0EEENS1_30default_config_static_selectorELNS0_4arch9wavefront6targetE1EEEvSM_,"axG",@progbits,_ZN7rocprim17ROCPRIM_400000_NS6detail17trampoline_kernelINS0_14default_configENS1_22reduce_config_selectorIbEEZNS1_11reduce_implILb1ES3_N6hipcub16HIPCUB_304000_NS22TransformInputIteratorIb7NonZeroIdEPdlEEPllNS8_6detail34convert_binary_result_type_wrapperINS8_3SumESD_lEEEE10hipError_tPvRmT1_T2_T3_mT4_P12ihipStream_tbEUlT_E1_NS1_11comp_targetILNS1_3genE10ELNS1_11target_archE1200ELNS1_3gpuE4ELNS1_3repE0EEENS1_30default_config_static_selectorELNS0_4arch9wavefront6targetE1EEEvSM_,comdat
.Lfunc_end318:
	.size	_ZN7rocprim17ROCPRIM_400000_NS6detail17trampoline_kernelINS0_14default_configENS1_22reduce_config_selectorIbEEZNS1_11reduce_implILb1ES3_N6hipcub16HIPCUB_304000_NS22TransformInputIteratorIb7NonZeroIdEPdlEEPllNS8_6detail34convert_binary_result_type_wrapperINS8_3SumESD_lEEEE10hipError_tPvRmT1_T2_T3_mT4_P12ihipStream_tbEUlT_E1_NS1_11comp_targetILNS1_3genE10ELNS1_11target_archE1200ELNS1_3gpuE4ELNS1_3repE0EEENS1_30default_config_static_selectorELNS0_4arch9wavefront6targetE1EEEvSM_, .Lfunc_end318-_ZN7rocprim17ROCPRIM_400000_NS6detail17trampoline_kernelINS0_14default_configENS1_22reduce_config_selectorIbEEZNS1_11reduce_implILb1ES3_N6hipcub16HIPCUB_304000_NS22TransformInputIteratorIb7NonZeroIdEPdlEEPllNS8_6detail34convert_binary_result_type_wrapperINS8_3SumESD_lEEEE10hipError_tPvRmT1_T2_T3_mT4_P12ihipStream_tbEUlT_E1_NS1_11comp_targetILNS1_3genE10ELNS1_11target_archE1200ELNS1_3gpuE4ELNS1_3repE0EEENS1_30default_config_static_selectorELNS0_4arch9wavefront6targetE1EEEvSM_
                                        ; -- End function
	.set _ZN7rocprim17ROCPRIM_400000_NS6detail17trampoline_kernelINS0_14default_configENS1_22reduce_config_selectorIbEEZNS1_11reduce_implILb1ES3_N6hipcub16HIPCUB_304000_NS22TransformInputIteratorIb7NonZeroIdEPdlEEPllNS8_6detail34convert_binary_result_type_wrapperINS8_3SumESD_lEEEE10hipError_tPvRmT1_T2_T3_mT4_P12ihipStream_tbEUlT_E1_NS1_11comp_targetILNS1_3genE10ELNS1_11target_archE1200ELNS1_3gpuE4ELNS1_3repE0EEENS1_30default_config_static_selectorELNS0_4arch9wavefront6targetE1EEEvSM_.num_vgpr, 0
	.set _ZN7rocprim17ROCPRIM_400000_NS6detail17trampoline_kernelINS0_14default_configENS1_22reduce_config_selectorIbEEZNS1_11reduce_implILb1ES3_N6hipcub16HIPCUB_304000_NS22TransformInputIteratorIb7NonZeroIdEPdlEEPllNS8_6detail34convert_binary_result_type_wrapperINS8_3SumESD_lEEEE10hipError_tPvRmT1_T2_T3_mT4_P12ihipStream_tbEUlT_E1_NS1_11comp_targetILNS1_3genE10ELNS1_11target_archE1200ELNS1_3gpuE4ELNS1_3repE0EEENS1_30default_config_static_selectorELNS0_4arch9wavefront6targetE1EEEvSM_.num_agpr, 0
	.set _ZN7rocprim17ROCPRIM_400000_NS6detail17trampoline_kernelINS0_14default_configENS1_22reduce_config_selectorIbEEZNS1_11reduce_implILb1ES3_N6hipcub16HIPCUB_304000_NS22TransformInputIteratorIb7NonZeroIdEPdlEEPllNS8_6detail34convert_binary_result_type_wrapperINS8_3SumESD_lEEEE10hipError_tPvRmT1_T2_T3_mT4_P12ihipStream_tbEUlT_E1_NS1_11comp_targetILNS1_3genE10ELNS1_11target_archE1200ELNS1_3gpuE4ELNS1_3repE0EEENS1_30default_config_static_selectorELNS0_4arch9wavefront6targetE1EEEvSM_.numbered_sgpr, 0
	.set _ZN7rocprim17ROCPRIM_400000_NS6detail17trampoline_kernelINS0_14default_configENS1_22reduce_config_selectorIbEEZNS1_11reduce_implILb1ES3_N6hipcub16HIPCUB_304000_NS22TransformInputIteratorIb7NonZeroIdEPdlEEPllNS8_6detail34convert_binary_result_type_wrapperINS8_3SumESD_lEEEE10hipError_tPvRmT1_T2_T3_mT4_P12ihipStream_tbEUlT_E1_NS1_11comp_targetILNS1_3genE10ELNS1_11target_archE1200ELNS1_3gpuE4ELNS1_3repE0EEENS1_30default_config_static_selectorELNS0_4arch9wavefront6targetE1EEEvSM_.num_named_barrier, 0
	.set _ZN7rocprim17ROCPRIM_400000_NS6detail17trampoline_kernelINS0_14default_configENS1_22reduce_config_selectorIbEEZNS1_11reduce_implILb1ES3_N6hipcub16HIPCUB_304000_NS22TransformInputIteratorIb7NonZeroIdEPdlEEPllNS8_6detail34convert_binary_result_type_wrapperINS8_3SumESD_lEEEE10hipError_tPvRmT1_T2_T3_mT4_P12ihipStream_tbEUlT_E1_NS1_11comp_targetILNS1_3genE10ELNS1_11target_archE1200ELNS1_3gpuE4ELNS1_3repE0EEENS1_30default_config_static_selectorELNS0_4arch9wavefront6targetE1EEEvSM_.private_seg_size, 0
	.set _ZN7rocprim17ROCPRIM_400000_NS6detail17trampoline_kernelINS0_14default_configENS1_22reduce_config_selectorIbEEZNS1_11reduce_implILb1ES3_N6hipcub16HIPCUB_304000_NS22TransformInputIteratorIb7NonZeroIdEPdlEEPllNS8_6detail34convert_binary_result_type_wrapperINS8_3SumESD_lEEEE10hipError_tPvRmT1_T2_T3_mT4_P12ihipStream_tbEUlT_E1_NS1_11comp_targetILNS1_3genE10ELNS1_11target_archE1200ELNS1_3gpuE4ELNS1_3repE0EEENS1_30default_config_static_selectorELNS0_4arch9wavefront6targetE1EEEvSM_.uses_vcc, 0
	.set _ZN7rocprim17ROCPRIM_400000_NS6detail17trampoline_kernelINS0_14default_configENS1_22reduce_config_selectorIbEEZNS1_11reduce_implILb1ES3_N6hipcub16HIPCUB_304000_NS22TransformInputIteratorIb7NonZeroIdEPdlEEPllNS8_6detail34convert_binary_result_type_wrapperINS8_3SumESD_lEEEE10hipError_tPvRmT1_T2_T3_mT4_P12ihipStream_tbEUlT_E1_NS1_11comp_targetILNS1_3genE10ELNS1_11target_archE1200ELNS1_3gpuE4ELNS1_3repE0EEENS1_30default_config_static_selectorELNS0_4arch9wavefront6targetE1EEEvSM_.uses_flat_scratch, 0
	.set _ZN7rocprim17ROCPRIM_400000_NS6detail17trampoline_kernelINS0_14default_configENS1_22reduce_config_selectorIbEEZNS1_11reduce_implILb1ES3_N6hipcub16HIPCUB_304000_NS22TransformInputIteratorIb7NonZeroIdEPdlEEPllNS8_6detail34convert_binary_result_type_wrapperINS8_3SumESD_lEEEE10hipError_tPvRmT1_T2_T3_mT4_P12ihipStream_tbEUlT_E1_NS1_11comp_targetILNS1_3genE10ELNS1_11target_archE1200ELNS1_3gpuE4ELNS1_3repE0EEENS1_30default_config_static_selectorELNS0_4arch9wavefront6targetE1EEEvSM_.has_dyn_sized_stack, 0
	.set _ZN7rocprim17ROCPRIM_400000_NS6detail17trampoline_kernelINS0_14default_configENS1_22reduce_config_selectorIbEEZNS1_11reduce_implILb1ES3_N6hipcub16HIPCUB_304000_NS22TransformInputIteratorIb7NonZeroIdEPdlEEPllNS8_6detail34convert_binary_result_type_wrapperINS8_3SumESD_lEEEE10hipError_tPvRmT1_T2_T3_mT4_P12ihipStream_tbEUlT_E1_NS1_11comp_targetILNS1_3genE10ELNS1_11target_archE1200ELNS1_3gpuE4ELNS1_3repE0EEENS1_30default_config_static_selectorELNS0_4arch9wavefront6targetE1EEEvSM_.has_recursion, 0
	.set _ZN7rocprim17ROCPRIM_400000_NS6detail17trampoline_kernelINS0_14default_configENS1_22reduce_config_selectorIbEEZNS1_11reduce_implILb1ES3_N6hipcub16HIPCUB_304000_NS22TransformInputIteratorIb7NonZeroIdEPdlEEPllNS8_6detail34convert_binary_result_type_wrapperINS8_3SumESD_lEEEE10hipError_tPvRmT1_T2_T3_mT4_P12ihipStream_tbEUlT_E1_NS1_11comp_targetILNS1_3genE10ELNS1_11target_archE1200ELNS1_3gpuE4ELNS1_3repE0EEENS1_30default_config_static_selectorELNS0_4arch9wavefront6targetE1EEEvSM_.has_indirect_call, 0
	.section	.AMDGPU.csdata,"",@progbits
; Kernel info:
; codeLenInByte = 0
; TotalNumSgprs: 4
; NumVgprs: 0
; ScratchSize: 0
; MemoryBound: 0
; FloatMode: 240
; IeeeMode: 1
; LDSByteSize: 0 bytes/workgroup (compile time only)
; SGPRBlocks: 0
; VGPRBlocks: 0
; NumSGPRsForWavesPerEU: 4
; NumVGPRsForWavesPerEU: 1
; Occupancy: 10
; WaveLimiterHint : 0
; COMPUTE_PGM_RSRC2:SCRATCH_EN: 0
; COMPUTE_PGM_RSRC2:USER_SGPR: 6
; COMPUTE_PGM_RSRC2:TRAP_HANDLER: 0
; COMPUTE_PGM_RSRC2:TGID_X_EN: 1
; COMPUTE_PGM_RSRC2:TGID_Y_EN: 0
; COMPUTE_PGM_RSRC2:TGID_Z_EN: 0
; COMPUTE_PGM_RSRC2:TIDIG_COMP_CNT: 0
	.section	.text._ZN7rocprim17ROCPRIM_400000_NS6detail17trampoline_kernelINS0_14default_configENS1_22reduce_config_selectorIbEEZNS1_11reduce_implILb1ES3_N6hipcub16HIPCUB_304000_NS22TransformInputIteratorIb7NonZeroIdEPdlEEPllNS8_6detail34convert_binary_result_type_wrapperINS8_3SumESD_lEEEE10hipError_tPvRmT1_T2_T3_mT4_P12ihipStream_tbEUlT_E1_NS1_11comp_targetILNS1_3genE9ELNS1_11target_archE1100ELNS1_3gpuE3ELNS1_3repE0EEENS1_30default_config_static_selectorELNS0_4arch9wavefront6targetE1EEEvSM_,"axG",@progbits,_ZN7rocprim17ROCPRIM_400000_NS6detail17trampoline_kernelINS0_14default_configENS1_22reduce_config_selectorIbEEZNS1_11reduce_implILb1ES3_N6hipcub16HIPCUB_304000_NS22TransformInputIteratorIb7NonZeroIdEPdlEEPllNS8_6detail34convert_binary_result_type_wrapperINS8_3SumESD_lEEEE10hipError_tPvRmT1_T2_T3_mT4_P12ihipStream_tbEUlT_E1_NS1_11comp_targetILNS1_3genE9ELNS1_11target_archE1100ELNS1_3gpuE3ELNS1_3repE0EEENS1_30default_config_static_selectorELNS0_4arch9wavefront6targetE1EEEvSM_,comdat
	.protected	_ZN7rocprim17ROCPRIM_400000_NS6detail17trampoline_kernelINS0_14default_configENS1_22reduce_config_selectorIbEEZNS1_11reduce_implILb1ES3_N6hipcub16HIPCUB_304000_NS22TransformInputIteratorIb7NonZeroIdEPdlEEPllNS8_6detail34convert_binary_result_type_wrapperINS8_3SumESD_lEEEE10hipError_tPvRmT1_T2_T3_mT4_P12ihipStream_tbEUlT_E1_NS1_11comp_targetILNS1_3genE9ELNS1_11target_archE1100ELNS1_3gpuE3ELNS1_3repE0EEENS1_30default_config_static_selectorELNS0_4arch9wavefront6targetE1EEEvSM_ ; -- Begin function _ZN7rocprim17ROCPRIM_400000_NS6detail17trampoline_kernelINS0_14default_configENS1_22reduce_config_selectorIbEEZNS1_11reduce_implILb1ES3_N6hipcub16HIPCUB_304000_NS22TransformInputIteratorIb7NonZeroIdEPdlEEPllNS8_6detail34convert_binary_result_type_wrapperINS8_3SumESD_lEEEE10hipError_tPvRmT1_T2_T3_mT4_P12ihipStream_tbEUlT_E1_NS1_11comp_targetILNS1_3genE9ELNS1_11target_archE1100ELNS1_3gpuE3ELNS1_3repE0EEENS1_30default_config_static_selectorELNS0_4arch9wavefront6targetE1EEEvSM_
	.globl	_ZN7rocprim17ROCPRIM_400000_NS6detail17trampoline_kernelINS0_14default_configENS1_22reduce_config_selectorIbEEZNS1_11reduce_implILb1ES3_N6hipcub16HIPCUB_304000_NS22TransformInputIteratorIb7NonZeroIdEPdlEEPllNS8_6detail34convert_binary_result_type_wrapperINS8_3SumESD_lEEEE10hipError_tPvRmT1_T2_T3_mT4_P12ihipStream_tbEUlT_E1_NS1_11comp_targetILNS1_3genE9ELNS1_11target_archE1100ELNS1_3gpuE3ELNS1_3repE0EEENS1_30default_config_static_selectorELNS0_4arch9wavefront6targetE1EEEvSM_
	.p2align	8
	.type	_ZN7rocprim17ROCPRIM_400000_NS6detail17trampoline_kernelINS0_14default_configENS1_22reduce_config_selectorIbEEZNS1_11reduce_implILb1ES3_N6hipcub16HIPCUB_304000_NS22TransformInputIteratorIb7NonZeroIdEPdlEEPllNS8_6detail34convert_binary_result_type_wrapperINS8_3SumESD_lEEEE10hipError_tPvRmT1_T2_T3_mT4_P12ihipStream_tbEUlT_E1_NS1_11comp_targetILNS1_3genE9ELNS1_11target_archE1100ELNS1_3gpuE3ELNS1_3repE0EEENS1_30default_config_static_selectorELNS0_4arch9wavefront6targetE1EEEvSM_,@function
_ZN7rocprim17ROCPRIM_400000_NS6detail17trampoline_kernelINS0_14default_configENS1_22reduce_config_selectorIbEEZNS1_11reduce_implILb1ES3_N6hipcub16HIPCUB_304000_NS22TransformInputIteratorIb7NonZeroIdEPdlEEPllNS8_6detail34convert_binary_result_type_wrapperINS8_3SumESD_lEEEE10hipError_tPvRmT1_T2_T3_mT4_P12ihipStream_tbEUlT_E1_NS1_11comp_targetILNS1_3genE9ELNS1_11target_archE1100ELNS1_3gpuE3ELNS1_3repE0EEENS1_30default_config_static_selectorELNS0_4arch9wavefront6targetE1EEEvSM_: ; @_ZN7rocprim17ROCPRIM_400000_NS6detail17trampoline_kernelINS0_14default_configENS1_22reduce_config_selectorIbEEZNS1_11reduce_implILb1ES3_N6hipcub16HIPCUB_304000_NS22TransformInputIteratorIb7NonZeroIdEPdlEEPllNS8_6detail34convert_binary_result_type_wrapperINS8_3SumESD_lEEEE10hipError_tPvRmT1_T2_T3_mT4_P12ihipStream_tbEUlT_E1_NS1_11comp_targetILNS1_3genE9ELNS1_11target_archE1100ELNS1_3gpuE3ELNS1_3repE0EEENS1_30default_config_static_selectorELNS0_4arch9wavefront6targetE1EEEvSM_
; %bb.0:
	.section	.rodata,"a",@progbits
	.p2align	6, 0x0
	.amdhsa_kernel _ZN7rocprim17ROCPRIM_400000_NS6detail17trampoline_kernelINS0_14default_configENS1_22reduce_config_selectorIbEEZNS1_11reduce_implILb1ES3_N6hipcub16HIPCUB_304000_NS22TransformInputIteratorIb7NonZeroIdEPdlEEPllNS8_6detail34convert_binary_result_type_wrapperINS8_3SumESD_lEEEE10hipError_tPvRmT1_T2_T3_mT4_P12ihipStream_tbEUlT_E1_NS1_11comp_targetILNS1_3genE9ELNS1_11target_archE1100ELNS1_3gpuE3ELNS1_3repE0EEENS1_30default_config_static_selectorELNS0_4arch9wavefront6targetE1EEEvSM_
		.amdhsa_group_segment_fixed_size 0
		.amdhsa_private_segment_fixed_size 0
		.amdhsa_kernarg_size 56
		.amdhsa_user_sgpr_count 6
		.amdhsa_user_sgpr_private_segment_buffer 1
		.amdhsa_user_sgpr_dispatch_ptr 0
		.amdhsa_user_sgpr_queue_ptr 0
		.amdhsa_user_sgpr_kernarg_segment_ptr 1
		.amdhsa_user_sgpr_dispatch_id 0
		.amdhsa_user_sgpr_flat_scratch_init 0
		.amdhsa_user_sgpr_private_segment_size 0
		.amdhsa_uses_dynamic_stack 0
		.amdhsa_system_sgpr_private_segment_wavefront_offset 0
		.amdhsa_system_sgpr_workgroup_id_x 1
		.amdhsa_system_sgpr_workgroup_id_y 0
		.amdhsa_system_sgpr_workgroup_id_z 0
		.amdhsa_system_sgpr_workgroup_info 0
		.amdhsa_system_vgpr_workitem_id 0
		.amdhsa_next_free_vgpr 1
		.amdhsa_next_free_sgpr 0
		.amdhsa_reserve_vcc 0
		.amdhsa_reserve_flat_scratch 0
		.amdhsa_float_round_mode_32 0
		.amdhsa_float_round_mode_16_64 0
		.amdhsa_float_denorm_mode_32 3
		.amdhsa_float_denorm_mode_16_64 3
		.amdhsa_dx10_clamp 1
		.amdhsa_ieee_mode 1
		.amdhsa_fp16_overflow 0
		.amdhsa_exception_fp_ieee_invalid_op 0
		.amdhsa_exception_fp_denorm_src 0
		.amdhsa_exception_fp_ieee_div_zero 0
		.amdhsa_exception_fp_ieee_overflow 0
		.amdhsa_exception_fp_ieee_underflow 0
		.amdhsa_exception_fp_ieee_inexact 0
		.amdhsa_exception_int_div_zero 0
	.end_amdhsa_kernel
	.section	.text._ZN7rocprim17ROCPRIM_400000_NS6detail17trampoline_kernelINS0_14default_configENS1_22reduce_config_selectorIbEEZNS1_11reduce_implILb1ES3_N6hipcub16HIPCUB_304000_NS22TransformInputIteratorIb7NonZeroIdEPdlEEPllNS8_6detail34convert_binary_result_type_wrapperINS8_3SumESD_lEEEE10hipError_tPvRmT1_T2_T3_mT4_P12ihipStream_tbEUlT_E1_NS1_11comp_targetILNS1_3genE9ELNS1_11target_archE1100ELNS1_3gpuE3ELNS1_3repE0EEENS1_30default_config_static_selectorELNS0_4arch9wavefront6targetE1EEEvSM_,"axG",@progbits,_ZN7rocprim17ROCPRIM_400000_NS6detail17trampoline_kernelINS0_14default_configENS1_22reduce_config_selectorIbEEZNS1_11reduce_implILb1ES3_N6hipcub16HIPCUB_304000_NS22TransformInputIteratorIb7NonZeroIdEPdlEEPllNS8_6detail34convert_binary_result_type_wrapperINS8_3SumESD_lEEEE10hipError_tPvRmT1_T2_T3_mT4_P12ihipStream_tbEUlT_E1_NS1_11comp_targetILNS1_3genE9ELNS1_11target_archE1100ELNS1_3gpuE3ELNS1_3repE0EEENS1_30default_config_static_selectorELNS0_4arch9wavefront6targetE1EEEvSM_,comdat
.Lfunc_end319:
	.size	_ZN7rocprim17ROCPRIM_400000_NS6detail17trampoline_kernelINS0_14default_configENS1_22reduce_config_selectorIbEEZNS1_11reduce_implILb1ES3_N6hipcub16HIPCUB_304000_NS22TransformInputIteratorIb7NonZeroIdEPdlEEPllNS8_6detail34convert_binary_result_type_wrapperINS8_3SumESD_lEEEE10hipError_tPvRmT1_T2_T3_mT4_P12ihipStream_tbEUlT_E1_NS1_11comp_targetILNS1_3genE9ELNS1_11target_archE1100ELNS1_3gpuE3ELNS1_3repE0EEENS1_30default_config_static_selectorELNS0_4arch9wavefront6targetE1EEEvSM_, .Lfunc_end319-_ZN7rocprim17ROCPRIM_400000_NS6detail17trampoline_kernelINS0_14default_configENS1_22reduce_config_selectorIbEEZNS1_11reduce_implILb1ES3_N6hipcub16HIPCUB_304000_NS22TransformInputIteratorIb7NonZeroIdEPdlEEPllNS8_6detail34convert_binary_result_type_wrapperINS8_3SumESD_lEEEE10hipError_tPvRmT1_T2_T3_mT4_P12ihipStream_tbEUlT_E1_NS1_11comp_targetILNS1_3genE9ELNS1_11target_archE1100ELNS1_3gpuE3ELNS1_3repE0EEENS1_30default_config_static_selectorELNS0_4arch9wavefront6targetE1EEEvSM_
                                        ; -- End function
	.set _ZN7rocprim17ROCPRIM_400000_NS6detail17trampoline_kernelINS0_14default_configENS1_22reduce_config_selectorIbEEZNS1_11reduce_implILb1ES3_N6hipcub16HIPCUB_304000_NS22TransformInputIteratorIb7NonZeroIdEPdlEEPllNS8_6detail34convert_binary_result_type_wrapperINS8_3SumESD_lEEEE10hipError_tPvRmT1_T2_T3_mT4_P12ihipStream_tbEUlT_E1_NS1_11comp_targetILNS1_3genE9ELNS1_11target_archE1100ELNS1_3gpuE3ELNS1_3repE0EEENS1_30default_config_static_selectorELNS0_4arch9wavefront6targetE1EEEvSM_.num_vgpr, 0
	.set _ZN7rocprim17ROCPRIM_400000_NS6detail17trampoline_kernelINS0_14default_configENS1_22reduce_config_selectorIbEEZNS1_11reduce_implILb1ES3_N6hipcub16HIPCUB_304000_NS22TransformInputIteratorIb7NonZeroIdEPdlEEPllNS8_6detail34convert_binary_result_type_wrapperINS8_3SumESD_lEEEE10hipError_tPvRmT1_T2_T3_mT4_P12ihipStream_tbEUlT_E1_NS1_11comp_targetILNS1_3genE9ELNS1_11target_archE1100ELNS1_3gpuE3ELNS1_3repE0EEENS1_30default_config_static_selectorELNS0_4arch9wavefront6targetE1EEEvSM_.num_agpr, 0
	.set _ZN7rocprim17ROCPRIM_400000_NS6detail17trampoline_kernelINS0_14default_configENS1_22reduce_config_selectorIbEEZNS1_11reduce_implILb1ES3_N6hipcub16HIPCUB_304000_NS22TransformInputIteratorIb7NonZeroIdEPdlEEPllNS8_6detail34convert_binary_result_type_wrapperINS8_3SumESD_lEEEE10hipError_tPvRmT1_T2_T3_mT4_P12ihipStream_tbEUlT_E1_NS1_11comp_targetILNS1_3genE9ELNS1_11target_archE1100ELNS1_3gpuE3ELNS1_3repE0EEENS1_30default_config_static_selectorELNS0_4arch9wavefront6targetE1EEEvSM_.numbered_sgpr, 0
	.set _ZN7rocprim17ROCPRIM_400000_NS6detail17trampoline_kernelINS0_14default_configENS1_22reduce_config_selectorIbEEZNS1_11reduce_implILb1ES3_N6hipcub16HIPCUB_304000_NS22TransformInputIteratorIb7NonZeroIdEPdlEEPllNS8_6detail34convert_binary_result_type_wrapperINS8_3SumESD_lEEEE10hipError_tPvRmT1_T2_T3_mT4_P12ihipStream_tbEUlT_E1_NS1_11comp_targetILNS1_3genE9ELNS1_11target_archE1100ELNS1_3gpuE3ELNS1_3repE0EEENS1_30default_config_static_selectorELNS0_4arch9wavefront6targetE1EEEvSM_.num_named_barrier, 0
	.set _ZN7rocprim17ROCPRIM_400000_NS6detail17trampoline_kernelINS0_14default_configENS1_22reduce_config_selectorIbEEZNS1_11reduce_implILb1ES3_N6hipcub16HIPCUB_304000_NS22TransformInputIteratorIb7NonZeroIdEPdlEEPllNS8_6detail34convert_binary_result_type_wrapperINS8_3SumESD_lEEEE10hipError_tPvRmT1_T2_T3_mT4_P12ihipStream_tbEUlT_E1_NS1_11comp_targetILNS1_3genE9ELNS1_11target_archE1100ELNS1_3gpuE3ELNS1_3repE0EEENS1_30default_config_static_selectorELNS0_4arch9wavefront6targetE1EEEvSM_.private_seg_size, 0
	.set _ZN7rocprim17ROCPRIM_400000_NS6detail17trampoline_kernelINS0_14default_configENS1_22reduce_config_selectorIbEEZNS1_11reduce_implILb1ES3_N6hipcub16HIPCUB_304000_NS22TransformInputIteratorIb7NonZeroIdEPdlEEPllNS8_6detail34convert_binary_result_type_wrapperINS8_3SumESD_lEEEE10hipError_tPvRmT1_T2_T3_mT4_P12ihipStream_tbEUlT_E1_NS1_11comp_targetILNS1_3genE9ELNS1_11target_archE1100ELNS1_3gpuE3ELNS1_3repE0EEENS1_30default_config_static_selectorELNS0_4arch9wavefront6targetE1EEEvSM_.uses_vcc, 0
	.set _ZN7rocprim17ROCPRIM_400000_NS6detail17trampoline_kernelINS0_14default_configENS1_22reduce_config_selectorIbEEZNS1_11reduce_implILb1ES3_N6hipcub16HIPCUB_304000_NS22TransformInputIteratorIb7NonZeroIdEPdlEEPllNS8_6detail34convert_binary_result_type_wrapperINS8_3SumESD_lEEEE10hipError_tPvRmT1_T2_T3_mT4_P12ihipStream_tbEUlT_E1_NS1_11comp_targetILNS1_3genE9ELNS1_11target_archE1100ELNS1_3gpuE3ELNS1_3repE0EEENS1_30default_config_static_selectorELNS0_4arch9wavefront6targetE1EEEvSM_.uses_flat_scratch, 0
	.set _ZN7rocprim17ROCPRIM_400000_NS6detail17trampoline_kernelINS0_14default_configENS1_22reduce_config_selectorIbEEZNS1_11reduce_implILb1ES3_N6hipcub16HIPCUB_304000_NS22TransformInputIteratorIb7NonZeroIdEPdlEEPllNS8_6detail34convert_binary_result_type_wrapperINS8_3SumESD_lEEEE10hipError_tPvRmT1_T2_T3_mT4_P12ihipStream_tbEUlT_E1_NS1_11comp_targetILNS1_3genE9ELNS1_11target_archE1100ELNS1_3gpuE3ELNS1_3repE0EEENS1_30default_config_static_selectorELNS0_4arch9wavefront6targetE1EEEvSM_.has_dyn_sized_stack, 0
	.set _ZN7rocprim17ROCPRIM_400000_NS6detail17trampoline_kernelINS0_14default_configENS1_22reduce_config_selectorIbEEZNS1_11reduce_implILb1ES3_N6hipcub16HIPCUB_304000_NS22TransformInputIteratorIb7NonZeroIdEPdlEEPllNS8_6detail34convert_binary_result_type_wrapperINS8_3SumESD_lEEEE10hipError_tPvRmT1_T2_T3_mT4_P12ihipStream_tbEUlT_E1_NS1_11comp_targetILNS1_3genE9ELNS1_11target_archE1100ELNS1_3gpuE3ELNS1_3repE0EEENS1_30default_config_static_selectorELNS0_4arch9wavefront6targetE1EEEvSM_.has_recursion, 0
	.set _ZN7rocprim17ROCPRIM_400000_NS6detail17trampoline_kernelINS0_14default_configENS1_22reduce_config_selectorIbEEZNS1_11reduce_implILb1ES3_N6hipcub16HIPCUB_304000_NS22TransformInputIteratorIb7NonZeroIdEPdlEEPllNS8_6detail34convert_binary_result_type_wrapperINS8_3SumESD_lEEEE10hipError_tPvRmT1_T2_T3_mT4_P12ihipStream_tbEUlT_E1_NS1_11comp_targetILNS1_3genE9ELNS1_11target_archE1100ELNS1_3gpuE3ELNS1_3repE0EEENS1_30default_config_static_selectorELNS0_4arch9wavefront6targetE1EEEvSM_.has_indirect_call, 0
	.section	.AMDGPU.csdata,"",@progbits
; Kernel info:
; codeLenInByte = 0
; TotalNumSgprs: 4
; NumVgprs: 0
; ScratchSize: 0
; MemoryBound: 0
; FloatMode: 240
; IeeeMode: 1
; LDSByteSize: 0 bytes/workgroup (compile time only)
; SGPRBlocks: 0
; VGPRBlocks: 0
; NumSGPRsForWavesPerEU: 4
; NumVGPRsForWavesPerEU: 1
; Occupancy: 10
; WaveLimiterHint : 0
; COMPUTE_PGM_RSRC2:SCRATCH_EN: 0
; COMPUTE_PGM_RSRC2:USER_SGPR: 6
; COMPUTE_PGM_RSRC2:TRAP_HANDLER: 0
; COMPUTE_PGM_RSRC2:TGID_X_EN: 1
; COMPUTE_PGM_RSRC2:TGID_Y_EN: 0
; COMPUTE_PGM_RSRC2:TGID_Z_EN: 0
; COMPUTE_PGM_RSRC2:TIDIG_COMP_CNT: 0
	.section	.text._ZN7rocprim17ROCPRIM_400000_NS6detail17trampoline_kernelINS0_14default_configENS1_22reduce_config_selectorIbEEZNS1_11reduce_implILb1ES3_N6hipcub16HIPCUB_304000_NS22TransformInputIteratorIb7NonZeroIdEPdlEEPllNS8_6detail34convert_binary_result_type_wrapperINS8_3SumESD_lEEEE10hipError_tPvRmT1_T2_T3_mT4_P12ihipStream_tbEUlT_E1_NS1_11comp_targetILNS1_3genE8ELNS1_11target_archE1030ELNS1_3gpuE2ELNS1_3repE0EEENS1_30default_config_static_selectorELNS0_4arch9wavefront6targetE1EEEvSM_,"axG",@progbits,_ZN7rocprim17ROCPRIM_400000_NS6detail17trampoline_kernelINS0_14default_configENS1_22reduce_config_selectorIbEEZNS1_11reduce_implILb1ES3_N6hipcub16HIPCUB_304000_NS22TransformInputIteratorIb7NonZeroIdEPdlEEPllNS8_6detail34convert_binary_result_type_wrapperINS8_3SumESD_lEEEE10hipError_tPvRmT1_T2_T3_mT4_P12ihipStream_tbEUlT_E1_NS1_11comp_targetILNS1_3genE8ELNS1_11target_archE1030ELNS1_3gpuE2ELNS1_3repE0EEENS1_30default_config_static_selectorELNS0_4arch9wavefront6targetE1EEEvSM_,comdat
	.protected	_ZN7rocprim17ROCPRIM_400000_NS6detail17trampoline_kernelINS0_14default_configENS1_22reduce_config_selectorIbEEZNS1_11reduce_implILb1ES3_N6hipcub16HIPCUB_304000_NS22TransformInputIteratorIb7NonZeroIdEPdlEEPllNS8_6detail34convert_binary_result_type_wrapperINS8_3SumESD_lEEEE10hipError_tPvRmT1_T2_T3_mT4_P12ihipStream_tbEUlT_E1_NS1_11comp_targetILNS1_3genE8ELNS1_11target_archE1030ELNS1_3gpuE2ELNS1_3repE0EEENS1_30default_config_static_selectorELNS0_4arch9wavefront6targetE1EEEvSM_ ; -- Begin function _ZN7rocprim17ROCPRIM_400000_NS6detail17trampoline_kernelINS0_14default_configENS1_22reduce_config_selectorIbEEZNS1_11reduce_implILb1ES3_N6hipcub16HIPCUB_304000_NS22TransformInputIteratorIb7NonZeroIdEPdlEEPllNS8_6detail34convert_binary_result_type_wrapperINS8_3SumESD_lEEEE10hipError_tPvRmT1_T2_T3_mT4_P12ihipStream_tbEUlT_E1_NS1_11comp_targetILNS1_3genE8ELNS1_11target_archE1030ELNS1_3gpuE2ELNS1_3repE0EEENS1_30default_config_static_selectorELNS0_4arch9wavefront6targetE1EEEvSM_
	.globl	_ZN7rocprim17ROCPRIM_400000_NS6detail17trampoline_kernelINS0_14default_configENS1_22reduce_config_selectorIbEEZNS1_11reduce_implILb1ES3_N6hipcub16HIPCUB_304000_NS22TransformInputIteratorIb7NonZeroIdEPdlEEPllNS8_6detail34convert_binary_result_type_wrapperINS8_3SumESD_lEEEE10hipError_tPvRmT1_T2_T3_mT4_P12ihipStream_tbEUlT_E1_NS1_11comp_targetILNS1_3genE8ELNS1_11target_archE1030ELNS1_3gpuE2ELNS1_3repE0EEENS1_30default_config_static_selectorELNS0_4arch9wavefront6targetE1EEEvSM_
	.p2align	8
	.type	_ZN7rocprim17ROCPRIM_400000_NS6detail17trampoline_kernelINS0_14default_configENS1_22reduce_config_selectorIbEEZNS1_11reduce_implILb1ES3_N6hipcub16HIPCUB_304000_NS22TransformInputIteratorIb7NonZeroIdEPdlEEPllNS8_6detail34convert_binary_result_type_wrapperINS8_3SumESD_lEEEE10hipError_tPvRmT1_T2_T3_mT4_P12ihipStream_tbEUlT_E1_NS1_11comp_targetILNS1_3genE8ELNS1_11target_archE1030ELNS1_3gpuE2ELNS1_3repE0EEENS1_30default_config_static_selectorELNS0_4arch9wavefront6targetE1EEEvSM_,@function
_ZN7rocprim17ROCPRIM_400000_NS6detail17trampoline_kernelINS0_14default_configENS1_22reduce_config_selectorIbEEZNS1_11reduce_implILb1ES3_N6hipcub16HIPCUB_304000_NS22TransformInputIteratorIb7NonZeroIdEPdlEEPllNS8_6detail34convert_binary_result_type_wrapperINS8_3SumESD_lEEEE10hipError_tPvRmT1_T2_T3_mT4_P12ihipStream_tbEUlT_E1_NS1_11comp_targetILNS1_3genE8ELNS1_11target_archE1030ELNS1_3gpuE2ELNS1_3repE0EEENS1_30default_config_static_selectorELNS0_4arch9wavefront6targetE1EEEvSM_: ; @_ZN7rocprim17ROCPRIM_400000_NS6detail17trampoline_kernelINS0_14default_configENS1_22reduce_config_selectorIbEEZNS1_11reduce_implILb1ES3_N6hipcub16HIPCUB_304000_NS22TransformInputIteratorIb7NonZeroIdEPdlEEPllNS8_6detail34convert_binary_result_type_wrapperINS8_3SumESD_lEEEE10hipError_tPvRmT1_T2_T3_mT4_P12ihipStream_tbEUlT_E1_NS1_11comp_targetILNS1_3genE8ELNS1_11target_archE1030ELNS1_3gpuE2ELNS1_3repE0EEENS1_30default_config_static_selectorELNS0_4arch9wavefront6targetE1EEEvSM_
; %bb.0:
	.section	.rodata,"a",@progbits
	.p2align	6, 0x0
	.amdhsa_kernel _ZN7rocprim17ROCPRIM_400000_NS6detail17trampoline_kernelINS0_14default_configENS1_22reduce_config_selectorIbEEZNS1_11reduce_implILb1ES3_N6hipcub16HIPCUB_304000_NS22TransformInputIteratorIb7NonZeroIdEPdlEEPllNS8_6detail34convert_binary_result_type_wrapperINS8_3SumESD_lEEEE10hipError_tPvRmT1_T2_T3_mT4_P12ihipStream_tbEUlT_E1_NS1_11comp_targetILNS1_3genE8ELNS1_11target_archE1030ELNS1_3gpuE2ELNS1_3repE0EEENS1_30default_config_static_selectorELNS0_4arch9wavefront6targetE1EEEvSM_
		.amdhsa_group_segment_fixed_size 0
		.amdhsa_private_segment_fixed_size 0
		.amdhsa_kernarg_size 56
		.amdhsa_user_sgpr_count 6
		.amdhsa_user_sgpr_private_segment_buffer 1
		.amdhsa_user_sgpr_dispatch_ptr 0
		.amdhsa_user_sgpr_queue_ptr 0
		.amdhsa_user_sgpr_kernarg_segment_ptr 1
		.amdhsa_user_sgpr_dispatch_id 0
		.amdhsa_user_sgpr_flat_scratch_init 0
		.amdhsa_user_sgpr_private_segment_size 0
		.amdhsa_uses_dynamic_stack 0
		.amdhsa_system_sgpr_private_segment_wavefront_offset 0
		.amdhsa_system_sgpr_workgroup_id_x 1
		.amdhsa_system_sgpr_workgroup_id_y 0
		.amdhsa_system_sgpr_workgroup_id_z 0
		.amdhsa_system_sgpr_workgroup_info 0
		.amdhsa_system_vgpr_workitem_id 0
		.amdhsa_next_free_vgpr 1
		.amdhsa_next_free_sgpr 0
		.amdhsa_reserve_vcc 0
		.amdhsa_reserve_flat_scratch 0
		.amdhsa_float_round_mode_32 0
		.amdhsa_float_round_mode_16_64 0
		.amdhsa_float_denorm_mode_32 3
		.amdhsa_float_denorm_mode_16_64 3
		.amdhsa_dx10_clamp 1
		.amdhsa_ieee_mode 1
		.amdhsa_fp16_overflow 0
		.amdhsa_exception_fp_ieee_invalid_op 0
		.amdhsa_exception_fp_denorm_src 0
		.amdhsa_exception_fp_ieee_div_zero 0
		.amdhsa_exception_fp_ieee_overflow 0
		.amdhsa_exception_fp_ieee_underflow 0
		.amdhsa_exception_fp_ieee_inexact 0
		.amdhsa_exception_int_div_zero 0
	.end_amdhsa_kernel
	.section	.text._ZN7rocprim17ROCPRIM_400000_NS6detail17trampoline_kernelINS0_14default_configENS1_22reduce_config_selectorIbEEZNS1_11reduce_implILb1ES3_N6hipcub16HIPCUB_304000_NS22TransformInputIteratorIb7NonZeroIdEPdlEEPllNS8_6detail34convert_binary_result_type_wrapperINS8_3SumESD_lEEEE10hipError_tPvRmT1_T2_T3_mT4_P12ihipStream_tbEUlT_E1_NS1_11comp_targetILNS1_3genE8ELNS1_11target_archE1030ELNS1_3gpuE2ELNS1_3repE0EEENS1_30default_config_static_selectorELNS0_4arch9wavefront6targetE1EEEvSM_,"axG",@progbits,_ZN7rocprim17ROCPRIM_400000_NS6detail17trampoline_kernelINS0_14default_configENS1_22reduce_config_selectorIbEEZNS1_11reduce_implILb1ES3_N6hipcub16HIPCUB_304000_NS22TransformInputIteratorIb7NonZeroIdEPdlEEPllNS8_6detail34convert_binary_result_type_wrapperINS8_3SumESD_lEEEE10hipError_tPvRmT1_T2_T3_mT4_P12ihipStream_tbEUlT_E1_NS1_11comp_targetILNS1_3genE8ELNS1_11target_archE1030ELNS1_3gpuE2ELNS1_3repE0EEENS1_30default_config_static_selectorELNS0_4arch9wavefront6targetE1EEEvSM_,comdat
.Lfunc_end320:
	.size	_ZN7rocprim17ROCPRIM_400000_NS6detail17trampoline_kernelINS0_14default_configENS1_22reduce_config_selectorIbEEZNS1_11reduce_implILb1ES3_N6hipcub16HIPCUB_304000_NS22TransformInputIteratorIb7NonZeroIdEPdlEEPllNS8_6detail34convert_binary_result_type_wrapperINS8_3SumESD_lEEEE10hipError_tPvRmT1_T2_T3_mT4_P12ihipStream_tbEUlT_E1_NS1_11comp_targetILNS1_3genE8ELNS1_11target_archE1030ELNS1_3gpuE2ELNS1_3repE0EEENS1_30default_config_static_selectorELNS0_4arch9wavefront6targetE1EEEvSM_, .Lfunc_end320-_ZN7rocprim17ROCPRIM_400000_NS6detail17trampoline_kernelINS0_14default_configENS1_22reduce_config_selectorIbEEZNS1_11reduce_implILb1ES3_N6hipcub16HIPCUB_304000_NS22TransformInputIteratorIb7NonZeroIdEPdlEEPllNS8_6detail34convert_binary_result_type_wrapperINS8_3SumESD_lEEEE10hipError_tPvRmT1_T2_T3_mT4_P12ihipStream_tbEUlT_E1_NS1_11comp_targetILNS1_3genE8ELNS1_11target_archE1030ELNS1_3gpuE2ELNS1_3repE0EEENS1_30default_config_static_selectorELNS0_4arch9wavefront6targetE1EEEvSM_
                                        ; -- End function
	.set _ZN7rocprim17ROCPRIM_400000_NS6detail17trampoline_kernelINS0_14default_configENS1_22reduce_config_selectorIbEEZNS1_11reduce_implILb1ES3_N6hipcub16HIPCUB_304000_NS22TransformInputIteratorIb7NonZeroIdEPdlEEPllNS8_6detail34convert_binary_result_type_wrapperINS8_3SumESD_lEEEE10hipError_tPvRmT1_T2_T3_mT4_P12ihipStream_tbEUlT_E1_NS1_11comp_targetILNS1_3genE8ELNS1_11target_archE1030ELNS1_3gpuE2ELNS1_3repE0EEENS1_30default_config_static_selectorELNS0_4arch9wavefront6targetE1EEEvSM_.num_vgpr, 0
	.set _ZN7rocprim17ROCPRIM_400000_NS6detail17trampoline_kernelINS0_14default_configENS1_22reduce_config_selectorIbEEZNS1_11reduce_implILb1ES3_N6hipcub16HIPCUB_304000_NS22TransformInputIteratorIb7NonZeroIdEPdlEEPllNS8_6detail34convert_binary_result_type_wrapperINS8_3SumESD_lEEEE10hipError_tPvRmT1_T2_T3_mT4_P12ihipStream_tbEUlT_E1_NS1_11comp_targetILNS1_3genE8ELNS1_11target_archE1030ELNS1_3gpuE2ELNS1_3repE0EEENS1_30default_config_static_selectorELNS0_4arch9wavefront6targetE1EEEvSM_.num_agpr, 0
	.set _ZN7rocprim17ROCPRIM_400000_NS6detail17trampoline_kernelINS0_14default_configENS1_22reduce_config_selectorIbEEZNS1_11reduce_implILb1ES3_N6hipcub16HIPCUB_304000_NS22TransformInputIteratorIb7NonZeroIdEPdlEEPllNS8_6detail34convert_binary_result_type_wrapperINS8_3SumESD_lEEEE10hipError_tPvRmT1_T2_T3_mT4_P12ihipStream_tbEUlT_E1_NS1_11comp_targetILNS1_3genE8ELNS1_11target_archE1030ELNS1_3gpuE2ELNS1_3repE0EEENS1_30default_config_static_selectorELNS0_4arch9wavefront6targetE1EEEvSM_.numbered_sgpr, 0
	.set _ZN7rocprim17ROCPRIM_400000_NS6detail17trampoline_kernelINS0_14default_configENS1_22reduce_config_selectorIbEEZNS1_11reduce_implILb1ES3_N6hipcub16HIPCUB_304000_NS22TransformInputIteratorIb7NonZeroIdEPdlEEPllNS8_6detail34convert_binary_result_type_wrapperINS8_3SumESD_lEEEE10hipError_tPvRmT1_T2_T3_mT4_P12ihipStream_tbEUlT_E1_NS1_11comp_targetILNS1_3genE8ELNS1_11target_archE1030ELNS1_3gpuE2ELNS1_3repE0EEENS1_30default_config_static_selectorELNS0_4arch9wavefront6targetE1EEEvSM_.num_named_barrier, 0
	.set _ZN7rocprim17ROCPRIM_400000_NS6detail17trampoline_kernelINS0_14default_configENS1_22reduce_config_selectorIbEEZNS1_11reduce_implILb1ES3_N6hipcub16HIPCUB_304000_NS22TransformInputIteratorIb7NonZeroIdEPdlEEPllNS8_6detail34convert_binary_result_type_wrapperINS8_3SumESD_lEEEE10hipError_tPvRmT1_T2_T3_mT4_P12ihipStream_tbEUlT_E1_NS1_11comp_targetILNS1_3genE8ELNS1_11target_archE1030ELNS1_3gpuE2ELNS1_3repE0EEENS1_30default_config_static_selectorELNS0_4arch9wavefront6targetE1EEEvSM_.private_seg_size, 0
	.set _ZN7rocprim17ROCPRIM_400000_NS6detail17trampoline_kernelINS0_14default_configENS1_22reduce_config_selectorIbEEZNS1_11reduce_implILb1ES3_N6hipcub16HIPCUB_304000_NS22TransformInputIteratorIb7NonZeroIdEPdlEEPllNS8_6detail34convert_binary_result_type_wrapperINS8_3SumESD_lEEEE10hipError_tPvRmT1_T2_T3_mT4_P12ihipStream_tbEUlT_E1_NS1_11comp_targetILNS1_3genE8ELNS1_11target_archE1030ELNS1_3gpuE2ELNS1_3repE0EEENS1_30default_config_static_selectorELNS0_4arch9wavefront6targetE1EEEvSM_.uses_vcc, 0
	.set _ZN7rocprim17ROCPRIM_400000_NS6detail17trampoline_kernelINS0_14default_configENS1_22reduce_config_selectorIbEEZNS1_11reduce_implILb1ES3_N6hipcub16HIPCUB_304000_NS22TransformInputIteratorIb7NonZeroIdEPdlEEPllNS8_6detail34convert_binary_result_type_wrapperINS8_3SumESD_lEEEE10hipError_tPvRmT1_T2_T3_mT4_P12ihipStream_tbEUlT_E1_NS1_11comp_targetILNS1_3genE8ELNS1_11target_archE1030ELNS1_3gpuE2ELNS1_3repE0EEENS1_30default_config_static_selectorELNS0_4arch9wavefront6targetE1EEEvSM_.uses_flat_scratch, 0
	.set _ZN7rocprim17ROCPRIM_400000_NS6detail17trampoline_kernelINS0_14default_configENS1_22reduce_config_selectorIbEEZNS1_11reduce_implILb1ES3_N6hipcub16HIPCUB_304000_NS22TransformInputIteratorIb7NonZeroIdEPdlEEPllNS8_6detail34convert_binary_result_type_wrapperINS8_3SumESD_lEEEE10hipError_tPvRmT1_T2_T3_mT4_P12ihipStream_tbEUlT_E1_NS1_11comp_targetILNS1_3genE8ELNS1_11target_archE1030ELNS1_3gpuE2ELNS1_3repE0EEENS1_30default_config_static_selectorELNS0_4arch9wavefront6targetE1EEEvSM_.has_dyn_sized_stack, 0
	.set _ZN7rocprim17ROCPRIM_400000_NS6detail17trampoline_kernelINS0_14default_configENS1_22reduce_config_selectorIbEEZNS1_11reduce_implILb1ES3_N6hipcub16HIPCUB_304000_NS22TransformInputIteratorIb7NonZeroIdEPdlEEPllNS8_6detail34convert_binary_result_type_wrapperINS8_3SumESD_lEEEE10hipError_tPvRmT1_T2_T3_mT4_P12ihipStream_tbEUlT_E1_NS1_11comp_targetILNS1_3genE8ELNS1_11target_archE1030ELNS1_3gpuE2ELNS1_3repE0EEENS1_30default_config_static_selectorELNS0_4arch9wavefront6targetE1EEEvSM_.has_recursion, 0
	.set _ZN7rocprim17ROCPRIM_400000_NS6detail17trampoline_kernelINS0_14default_configENS1_22reduce_config_selectorIbEEZNS1_11reduce_implILb1ES3_N6hipcub16HIPCUB_304000_NS22TransformInputIteratorIb7NonZeroIdEPdlEEPllNS8_6detail34convert_binary_result_type_wrapperINS8_3SumESD_lEEEE10hipError_tPvRmT1_T2_T3_mT4_P12ihipStream_tbEUlT_E1_NS1_11comp_targetILNS1_3genE8ELNS1_11target_archE1030ELNS1_3gpuE2ELNS1_3repE0EEENS1_30default_config_static_selectorELNS0_4arch9wavefront6targetE1EEEvSM_.has_indirect_call, 0
	.section	.AMDGPU.csdata,"",@progbits
; Kernel info:
; codeLenInByte = 0
; TotalNumSgprs: 4
; NumVgprs: 0
; ScratchSize: 0
; MemoryBound: 0
; FloatMode: 240
; IeeeMode: 1
; LDSByteSize: 0 bytes/workgroup (compile time only)
; SGPRBlocks: 0
; VGPRBlocks: 0
; NumSGPRsForWavesPerEU: 4
; NumVGPRsForWavesPerEU: 1
; Occupancy: 10
; WaveLimiterHint : 0
; COMPUTE_PGM_RSRC2:SCRATCH_EN: 0
; COMPUTE_PGM_RSRC2:USER_SGPR: 6
; COMPUTE_PGM_RSRC2:TRAP_HANDLER: 0
; COMPUTE_PGM_RSRC2:TGID_X_EN: 1
; COMPUTE_PGM_RSRC2:TGID_Y_EN: 0
; COMPUTE_PGM_RSRC2:TGID_Z_EN: 0
; COMPUTE_PGM_RSRC2:TIDIG_COMP_CNT: 0
	.section	.text._ZN7rocprim17ROCPRIM_400000_NS6detail17trampoline_kernelINS0_14default_configENS1_25partition_config_selectorILNS1_17partition_subalgoE5ElNS0_10empty_typeEbEEZZNS1_14partition_implILS5_5ELb0ES3_mN6hipcub16HIPCUB_304000_NS21CountingInputIteratorIllEEPS6_NSA_22TransformInputIteratorIb7NonZeroIdEPdlEENS0_5tupleIJPlS6_EEENSJ_IJSD_SD_EEES6_SK_JS6_EEE10hipError_tPvRmT3_T4_T5_T6_T7_T9_mT8_P12ihipStream_tbDpT10_ENKUlT_T0_E_clISt17integral_constantIbLb0EES16_EEDaS11_S12_EUlS11_E_NS1_11comp_targetILNS1_3genE0ELNS1_11target_archE4294967295ELNS1_3gpuE0ELNS1_3repE0EEENS1_30default_config_static_selectorELNS0_4arch9wavefront6targetE1EEEvT1_,"axG",@progbits,_ZN7rocprim17ROCPRIM_400000_NS6detail17trampoline_kernelINS0_14default_configENS1_25partition_config_selectorILNS1_17partition_subalgoE5ElNS0_10empty_typeEbEEZZNS1_14partition_implILS5_5ELb0ES3_mN6hipcub16HIPCUB_304000_NS21CountingInputIteratorIllEEPS6_NSA_22TransformInputIteratorIb7NonZeroIdEPdlEENS0_5tupleIJPlS6_EEENSJ_IJSD_SD_EEES6_SK_JS6_EEE10hipError_tPvRmT3_T4_T5_T6_T7_T9_mT8_P12ihipStream_tbDpT10_ENKUlT_T0_E_clISt17integral_constantIbLb0EES16_EEDaS11_S12_EUlS11_E_NS1_11comp_targetILNS1_3genE0ELNS1_11target_archE4294967295ELNS1_3gpuE0ELNS1_3repE0EEENS1_30default_config_static_selectorELNS0_4arch9wavefront6targetE1EEEvT1_,comdat
	.protected	_ZN7rocprim17ROCPRIM_400000_NS6detail17trampoline_kernelINS0_14default_configENS1_25partition_config_selectorILNS1_17partition_subalgoE5ElNS0_10empty_typeEbEEZZNS1_14partition_implILS5_5ELb0ES3_mN6hipcub16HIPCUB_304000_NS21CountingInputIteratorIllEEPS6_NSA_22TransformInputIteratorIb7NonZeroIdEPdlEENS0_5tupleIJPlS6_EEENSJ_IJSD_SD_EEES6_SK_JS6_EEE10hipError_tPvRmT3_T4_T5_T6_T7_T9_mT8_P12ihipStream_tbDpT10_ENKUlT_T0_E_clISt17integral_constantIbLb0EES16_EEDaS11_S12_EUlS11_E_NS1_11comp_targetILNS1_3genE0ELNS1_11target_archE4294967295ELNS1_3gpuE0ELNS1_3repE0EEENS1_30default_config_static_selectorELNS0_4arch9wavefront6targetE1EEEvT1_ ; -- Begin function _ZN7rocprim17ROCPRIM_400000_NS6detail17trampoline_kernelINS0_14default_configENS1_25partition_config_selectorILNS1_17partition_subalgoE5ElNS0_10empty_typeEbEEZZNS1_14partition_implILS5_5ELb0ES3_mN6hipcub16HIPCUB_304000_NS21CountingInputIteratorIllEEPS6_NSA_22TransformInputIteratorIb7NonZeroIdEPdlEENS0_5tupleIJPlS6_EEENSJ_IJSD_SD_EEES6_SK_JS6_EEE10hipError_tPvRmT3_T4_T5_T6_T7_T9_mT8_P12ihipStream_tbDpT10_ENKUlT_T0_E_clISt17integral_constantIbLb0EES16_EEDaS11_S12_EUlS11_E_NS1_11comp_targetILNS1_3genE0ELNS1_11target_archE4294967295ELNS1_3gpuE0ELNS1_3repE0EEENS1_30default_config_static_selectorELNS0_4arch9wavefront6targetE1EEEvT1_
	.globl	_ZN7rocprim17ROCPRIM_400000_NS6detail17trampoline_kernelINS0_14default_configENS1_25partition_config_selectorILNS1_17partition_subalgoE5ElNS0_10empty_typeEbEEZZNS1_14partition_implILS5_5ELb0ES3_mN6hipcub16HIPCUB_304000_NS21CountingInputIteratorIllEEPS6_NSA_22TransformInputIteratorIb7NonZeroIdEPdlEENS0_5tupleIJPlS6_EEENSJ_IJSD_SD_EEES6_SK_JS6_EEE10hipError_tPvRmT3_T4_T5_T6_T7_T9_mT8_P12ihipStream_tbDpT10_ENKUlT_T0_E_clISt17integral_constantIbLb0EES16_EEDaS11_S12_EUlS11_E_NS1_11comp_targetILNS1_3genE0ELNS1_11target_archE4294967295ELNS1_3gpuE0ELNS1_3repE0EEENS1_30default_config_static_selectorELNS0_4arch9wavefront6targetE1EEEvT1_
	.p2align	8
	.type	_ZN7rocprim17ROCPRIM_400000_NS6detail17trampoline_kernelINS0_14default_configENS1_25partition_config_selectorILNS1_17partition_subalgoE5ElNS0_10empty_typeEbEEZZNS1_14partition_implILS5_5ELb0ES3_mN6hipcub16HIPCUB_304000_NS21CountingInputIteratorIllEEPS6_NSA_22TransformInputIteratorIb7NonZeroIdEPdlEENS0_5tupleIJPlS6_EEENSJ_IJSD_SD_EEES6_SK_JS6_EEE10hipError_tPvRmT3_T4_T5_T6_T7_T9_mT8_P12ihipStream_tbDpT10_ENKUlT_T0_E_clISt17integral_constantIbLb0EES16_EEDaS11_S12_EUlS11_E_NS1_11comp_targetILNS1_3genE0ELNS1_11target_archE4294967295ELNS1_3gpuE0ELNS1_3repE0EEENS1_30default_config_static_selectorELNS0_4arch9wavefront6targetE1EEEvT1_,@function
_ZN7rocprim17ROCPRIM_400000_NS6detail17trampoline_kernelINS0_14default_configENS1_25partition_config_selectorILNS1_17partition_subalgoE5ElNS0_10empty_typeEbEEZZNS1_14partition_implILS5_5ELb0ES3_mN6hipcub16HIPCUB_304000_NS21CountingInputIteratorIllEEPS6_NSA_22TransformInputIteratorIb7NonZeroIdEPdlEENS0_5tupleIJPlS6_EEENSJ_IJSD_SD_EEES6_SK_JS6_EEE10hipError_tPvRmT3_T4_T5_T6_T7_T9_mT8_P12ihipStream_tbDpT10_ENKUlT_T0_E_clISt17integral_constantIbLb0EES16_EEDaS11_S12_EUlS11_E_NS1_11comp_targetILNS1_3genE0ELNS1_11target_archE4294967295ELNS1_3gpuE0ELNS1_3repE0EEENS1_30default_config_static_selectorELNS0_4arch9wavefront6targetE1EEEvT1_: ; @_ZN7rocprim17ROCPRIM_400000_NS6detail17trampoline_kernelINS0_14default_configENS1_25partition_config_selectorILNS1_17partition_subalgoE5ElNS0_10empty_typeEbEEZZNS1_14partition_implILS5_5ELb0ES3_mN6hipcub16HIPCUB_304000_NS21CountingInputIteratorIllEEPS6_NSA_22TransformInputIteratorIb7NonZeroIdEPdlEENS0_5tupleIJPlS6_EEENSJ_IJSD_SD_EEES6_SK_JS6_EEE10hipError_tPvRmT3_T4_T5_T6_T7_T9_mT8_P12ihipStream_tbDpT10_ENKUlT_T0_E_clISt17integral_constantIbLb0EES16_EEDaS11_S12_EUlS11_E_NS1_11comp_targetILNS1_3genE0ELNS1_11target_archE4294967295ELNS1_3gpuE0ELNS1_3repE0EEENS1_30default_config_static_selectorELNS0_4arch9wavefront6targetE1EEEvT1_
; %bb.0:
	.section	.rodata,"a",@progbits
	.p2align	6, 0x0
	.amdhsa_kernel _ZN7rocprim17ROCPRIM_400000_NS6detail17trampoline_kernelINS0_14default_configENS1_25partition_config_selectorILNS1_17partition_subalgoE5ElNS0_10empty_typeEbEEZZNS1_14partition_implILS5_5ELb0ES3_mN6hipcub16HIPCUB_304000_NS21CountingInputIteratorIllEEPS6_NSA_22TransformInputIteratorIb7NonZeroIdEPdlEENS0_5tupleIJPlS6_EEENSJ_IJSD_SD_EEES6_SK_JS6_EEE10hipError_tPvRmT3_T4_T5_T6_T7_T9_mT8_P12ihipStream_tbDpT10_ENKUlT_T0_E_clISt17integral_constantIbLb0EES16_EEDaS11_S12_EUlS11_E_NS1_11comp_targetILNS1_3genE0ELNS1_11target_archE4294967295ELNS1_3gpuE0ELNS1_3repE0EEENS1_30default_config_static_selectorELNS0_4arch9wavefront6targetE1EEEvT1_
		.amdhsa_group_segment_fixed_size 0
		.amdhsa_private_segment_fixed_size 0
		.amdhsa_kernarg_size 120
		.amdhsa_user_sgpr_count 6
		.amdhsa_user_sgpr_private_segment_buffer 1
		.amdhsa_user_sgpr_dispatch_ptr 0
		.amdhsa_user_sgpr_queue_ptr 0
		.amdhsa_user_sgpr_kernarg_segment_ptr 1
		.amdhsa_user_sgpr_dispatch_id 0
		.amdhsa_user_sgpr_flat_scratch_init 0
		.amdhsa_user_sgpr_private_segment_size 0
		.amdhsa_uses_dynamic_stack 0
		.amdhsa_system_sgpr_private_segment_wavefront_offset 0
		.amdhsa_system_sgpr_workgroup_id_x 1
		.amdhsa_system_sgpr_workgroup_id_y 0
		.amdhsa_system_sgpr_workgroup_id_z 0
		.amdhsa_system_sgpr_workgroup_info 0
		.amdhsa_system_vgpr_workitem_id 0
		.amdhsa_next_free_vgpr 1
		.amdhsa_next_free_sgpr 0
		.amdhsa_reserve_vcc 0
		.amdhsa_reserve_flat_scratch 0
		.amdhsa_float_round_mode_32 0
		.amdhsa_float_round_mode_16_64 0
		.amdhsa_float_denorm_mode_32 3
		.amdhsa_float_denorm_mode_16_64 3
		.amdhsa_dx10_clamp 1
		.amdhsa_ieee_mode 1
		.amdhsa_fp16_overflow 0
		.amdhsa_exception_fp_ieee_invalid_op 0
		.amdhsa_exception_fp_denorm_src 0
		.amdhsa_exception_fp_ieee_div_zero 0
		.amdhsa_exception_fp_ieee_overflow 0
		.amdhsa_exception_fp_ieee_underflow 0
		.amdhsa_exception_fp_ieee_inexact 0
		.amdhsa_exception_int_div_zero 0
	.end_amdhsa_kernel
	.section	.text._ZN7rocprim17ROCPRIM_400000_NS6detail17trampoline_kernelINS0_14default_configENS1_25partition_config_selectorILNS1_17partition_subalgoE5ElNS0_10empty_typeEbEEZZNS1_14partition_implILS5_5ELb0ES3_mN6hipcub16HIPCUB_304000_NS21CountingInputIteratorIllEEPS6_NSA_22TransformInputIteratorIb7NonZeroIdEPdlEENS0_5tupleIJPlS6_EEENSJ_IJSD_SD_EEES6_SK_JS6_EEE10hipError_tPvRmT3_T4_T5_T6_T7_T9_mT8_P12ihipStream_tbDpT10_ENKUlT_T0_E_clISt17integral_constantIbLb0EES16_EEDaS11_S12_EUlS11_E_NS1_11comp_targetILNS1_3genE0ELNS1_11target_archE4294967295ELNS1_3gpuE0ELNS1_3repE0EEENS1_30default_config_static_selectorELNS0_4arch9wavefront6targetE1EEEvT1_,"axG",@progbits,_ZN7rocprim17ROCPRIM_400000_NS6detail17trampoline_kernelINS0_14default_configENS1_25partition_config_selectorILNS1_17partition_subalgoE5ElNS0_10empty_typeEbEEZZNS1_14partition_implILS5_5ELb0ES3_mN6hipcub16HIPCUB_304000_NS21CountingInputIteratorIllEEPS6_NSA_22TransformInputIteratorIb7NonZeroIdEPdlEENS0_5tupleIJPlS6_EEENSJ_IJSD_SD_EEES6_SK_JS6_EEE10hipError_tPvRmT3_T4_T5_T6_T7_T9_mT8_P12ihipStream_tbDpT10_ENKUlT_T0_E_clISt17integral_constantIbLb0EES16_EEDaS11_S12_EUlS11_E_NS1_11comp_targetILNS1_3genE0ELNS1_11target_archE4294967295ELNS1_3gpuE0ELNS1_3repE0EEENS1_30default_config_static_selectorELNS0_4arch9wavefront6targetE1EEEvT1_,comdat
.Lfunc_end321:
	.size	_ZN7rocprim17ROCPRIM_400000_NS6detail17trampoline_kernelINS0_14default_configENS1_25partition_config_selectorILNS1_17partition_subalgoE5ElNS0_10empty_typeEbEEZZNS1_14partition_implILS5_5ELb0ES3_mN6hipcub16HIPCUB_304000_NS21CountingInputIteratorIllEEPS6_NSA_22TransformInputIteratorIb7NonZeroIdEPdlEENS0_5tupleIJPlS6_EEENSJ_IJSD_SD_EEES6_SK_JS6_EEE10hipError_tPvRmT3_T4_T5_T6_T7_T9_mT8_P12ihipStream_tbDpT10_ENKUlT_T0_E_clISt17integral_constantIbLb0EES16_EEDaS11_S12_EUlS11_E_NS1_11comp_targetILNS1_3genE0ELNS1_11target_archE4294967295ELNS1_3gpuE0ELNS1_3repE0EEENS1_30default_config_static_selectorELNS0_4arch9wavefront6targetE1EEEvT1_, .Lfunc_end321-_ZN7rocprim17ROCPRIM_400000_NS6detail17trampoline_kernelINS0_14default_configENS1_25partition_config_selectorILNS1_17partition_subalgoE5ElNS0_10empty_typeEbEEZZNS1_14partition_implILS5_5ELb0ES3_mN6hipcub16HIPCUB_304000_NS21CountingInputIteratorIllEEPS6_NSA_22TransformInputIteratorIb7NonZeroIdEPdlEENS0_5tupleIJPlS6_EEENSJ_IJSD_SD_EEES6_SK_JS6_EEE10hipError_tPvRmT3_T4_T5_T6_T7_T9_mT8_P12ihipStream_tbDpT10_ENKUlT_T0_E_clISt17integral_constantIbLb0EES16_EEDaS11_S12_EUlS11_E_NS1_11comp_targetILNS1_3genE0ELNS1_11target_archE4294967295ELNS1_3gpuE0ELNS1_3repE0EEENS1_30default_config_static_selectorELNS0_4arch9wavefront6targetE1EEEvT1_
                                        ; -- End function
	.set _ZN7rocprim17ROCPRIM_400000_NS6detail17trampoline_kernelINS0_14default_configENS1_25partition_config_selectorILNS1_17partition_subalgoE5ElNS0_10empty_typeEbEEZZNS1_14partition_implILS5_5ELb0ES3_mN6hipcub16HIPCUB_304000_NS21CountingInputIteratorIllEEPS6_NSA_22TransformInputIteratorIb7NonZeroIdEPdlEENS0_5tupleIJPlS6_EEENSJ_IJSD_SD_EEES6_SK_JS6_EEE10hipError_tPvRmT3_T4_T5_T6_T7_T9_mT8_P12ihipStream_tbDpT10_ENKUlT_T0_E_clISt17integral_constantIbLb0EES16_EEDaS11_S12_EUlS11_E_NS1_11comp_targetILNS1_3genE0ELNS1_11target_archE4294967295ELNS1_3gpuE0ELNS1_3repE0EEENS1_30default_config_static_selectorELNS0_4arch9wavefront6targetE1EEEvT1_.num_vgpr, 0
	.set _ZN7rocprim17ROCPRIM_400000_NS6detail17trampoline_kernelINS0_14default_configENS1_25partition_config_selectorILNS1_17partition_subalgoE5ElNS0_10empty_typeEbEEZZNS1_14partition_implILS5_5ELb0ES3_mN6hipcub16HIPCUB_304000_NS21CountingInputIteratorIllEEPS6_NSA_22TransformInputIteratorIb7NonZeroIdEPdlEENS0_5tupleIJPlS6_EEENSJ_IJSD_SD_EEES6_SK_JS6_EEE10hipError_tPvRmT3_T4_T5_T6_T7_T9_mT8_P12ihipStream_tbDpT10_ENKUlT_T0_E_clISt17integral_constantIbLb0EES16_EEDaS11_S12_EUlS11_E_NS1_11comp_targetILNS1_3genE0ELNS1_11target_archE4294967295ELNS1_3gpuE0ELNS1_3repE0EEENS1_30default_config_static_selectorELNS0_4arch9wavefront6targetE1EEEvT1_.num_agpr, 0
	.set _ZN7rocprim17ROCPRIM_400000_NS6detail17trampoline_kernelINS0_14default_configENS1_25partition_config_selectorILNS1_17partition_subalgoE5ElNS0_10empty_typeEbEEZZNS1_14partition_implILS5_5ELb0ES3_mN6hipcub16HIPCUB_304000_NS21CountingInputIteratorIllEEPS6_NSA_22TransformInputIteratorIb7NonZeroIdEPdlEENS0_5tupleIJPlS6_EEENSJ_IJSD_SD_EEES6_SK_JS6_EEE10hipError_tPvRmT3_T4_T5_T6_T7_T9_mT8_P12ihipStream_tbDpT10_ENKUlT_T0_E_clISt17integral_constantIbLb0EES16_EEDaS11_S12_EUlS11_E_NS1_11comp_targetILNS1_3genE0ELNS1_11target_archE4294967295ELNS1_3gpuE0ELNS1_3repE0EEENS1_30default_config_static_selectorELNS0_4arch9wavefront6targetE1EEEvT1_.numbered_sgpr, 0
	.set _ZN7rocprim17ROCPRIM_400000_NS6detail17trampoline_kernelINS0_14default_configENS1_25partition_config_selectorILNS1_17partition_subalgoE5ElNS0_10empty_typeEbEEZZNS1_14partition_implILS5_5ELb0ES3_mN6hipcub16HIPCUB_304000_NS21CountingInputIteratorIllEEPS6_NSA_22TransformInputIteratorIb7NonZeroIdEPdlEENS0_5tupleIJPlS6_EEENSJ_IJSD_SD_EEES6_SK_JS6_EEE10hipError_tPvRmT3_T4_T5_T6_T7_T9_mT8_P12ihipStream_tbDpT10_ENKUlT_T0_E_clISt17integral_constantIbLb0EES16_EEDaS11_S12_EUlS11_E_NS1_11comp_targetILNS1_3genE0ELNS1_11target_archE4294967295ELNS1_3gpuE0ELNS1_3repE0EEENS1_30default_config_static_selectorELNS0_4arch9wavefront6targetE1EEEvT1_.num_named_barrier, 0
	.set _ZN7rocprim17ROCPRIM_400000_NS6detail17trampoline_kernelINS0_14default_configENS1_25partition_config_selectorILNS1_17partition_subalgoE5ElNS0_10empty_typeEbEEZZNS1_14partition_implILS5_5ELb0ES3_mN6hipcub16HIPCUB_304000_NS21CountingInputIteratorIllEEPS6_NSA_22TransformInputIteratorIb7NonZeroIdEPdlEENS0_5tupleIJPlS6_EEENSJ_IJSD_SD_EEES6_SK_JS6_EEE10hipError_tPvRmT3_T4_T5_T6_T7_T9_mT8_P12ihipStream_tbDpT10_ENKUlT_T0_E_clISt17integral_constantIbLb0EES16_EEDaS11_S12_EUlS11_E_NS1_11comp_targetILNS1_3genE0ELNS1_11target_archE4294967295ELNS1_3gpuE0ELNS1_3repE0EEENS1_30default_config_static_selectorELNS0_4arch9wavefront6targetE1EEEvT1_.private_seg_size, 0
	.set _ZN7rocprim17ROCPRIM_400000_NS6detail17trampoline_kernelINS0_14default_configENS1_25partition_config_selectorILNS1_17partition_subalgoE5ElNS0_10empty_typeEbEEZZNS1_14partition_implILS5_5ELb0ES3_mN6hipcub16HIPCUB_304000_NS21CountingInputIteratorIllEEPS6_NSA_22TransformInputIteratorIb7NonZeroIdEPdlEENS0_5tupleIJPlS6_EEENSJ_IJSD_SD_EEES6_SK_JS6_EEE10hipError_tPvRmT3_T4_T5_T6_T7_T9_mT8_P12ihipStream_tbDpT10_ENKUlT_T0_E_clISt17integral_constantIbLb0EES16_EEDaS11_S12_EUlS11_E_NS1_11comp_targetILNS1_3genE0ELNS1_11target_archE4294967295ELNS1_3gpuE0ELNS1_3repE0EEENS1_30default_config_static_selectorELNS0_4arch9wavefront6targetE1EEEvT1_.uses_vcc, 0
	.set _ZN7rocprim17ROCPRIM_400000_NS6detail17trampoline_kernelINS0_14default_configENS1_25partition_config_selectorILNS1_17partition_subalgoE5ElNS0_10empty_typeEbEEZZNS1_14partition_implILS5_5ELb0ES3_mN6hipcub16HIPCUB_304000_NS21CountingInputIteratorIllEEPS6_NSA_22TransformInputIteratorIb7NonZeroIdEPdlEENS0_5tupleIJPlS6_EEENSJ_IJSD_SD_EEES6_SK_JS6_EEE10hipError_tPvRmT3_T4_T5_T6_T7_T9_mT8_P12ihipStream_tbDpT10_ENKUlT_T0_E_clISt17integral_constantIbLb0EES16_EEDaS11_S12_EUlS11_E_NS1_11comp_targetILNS1_3genE0ELNS1_11target_archE4294967295ELNS1_3gpuE0ELNS1_3repE0EEENS1_30default_config_static_selectorELNS0_4arch9wavefront6targetE1EEEvT1_.uses_flat_scratch, 0
	.set _ZN7rocprim17ROCPRIM_400000_NS6detail17trampoline_kernelINS0_14default_configENS1_25partition_config_selectorILNS1_17partition_subalgoE5ElNS0_10empty_typeEbEEZZNS1_14partition_implILS5_5ELb0ES3_mN6hipcub16HIPCUB_304000_NS21CountingInputIteratorIllEEPS6_NSA_22TransformInputIteratorIb7NonZeroIdEPdlEENS0_5tupleIJPlS6_EEENSJ_IJSD_SD_EEES6_SK_JS6_EEE10hipError_tPvRmT3_T4_T5_T6_T7_T9_mT8_P12ihipStream_tbDpT10_ENKUlT_T0_E_clISt17integral_constantIbLb0EES16_EEDaS11_S12_EUlS11_E_NS1_11comp_targetILNS1_3genE0ELNS1_11target_archE4294967295ELNS1_3gpuE0ELNS1_3repE0EEENS1_30default_config_static_selectorELNS0_4arch9wavefront6targetE1EEEvT1_.has_dyn_sized_stack, 0
	.set _ZN7rocprim17ROCPRIM_400000_NS6detail17trampoline_kernelINS0_14default_configENS1_25partition_config_selectorILNS1_17partition_subalgoE5ElNS0_10empty_typeEbEEZZNS1_14partition_implILS5_5ELb0ES3_mN6hipcub16HIPCUB_304000_NS21CountingInputIteratorIllEEPS6_NSA_22TransformInputIteratorIb7NonZeroIdEPdlEENS0_5tupleIJPlS6_EEENSJ_IJSD_SD_EEES6_SK_JS6_EEE10hipError_tPvRmT3_T4_T5_T6_T7_T9_mT8_P12ihipStream_tbDpT10_ENKUlT_T0_E_clISt17integral_constantIbLb0EES16_EEDaS11_S12_EUlS11_E_NS1_11comp_targetILNS1_3genE0ELNS1_11target_archE4294967295ELNS1_3gpuE0ELNS1_3repE0EEENS1_30default_config_static_selectorELNS0_4arch9wavefront6targetE1EEEvT1_.has_recursion, 0
	.set _ZN7rocprim17ROCPRIM_400000_NS6detail17trampoline_kernelINS0_14default_configENS1_25partition_config_selectorILNS1_17partition_subalgoE5ElNS0_10empty_typeEbEEZZNS1_14partition_implILS5_5ELb0ES3_mN6hipcub16HIPCUB_304000_NS21CountingInputIteratorIllEEPS6_NSA_22TransformInputIteratorIb7NonZeroIdEPdlEENS0_5tupleIJPlS6_EEENSJ_IJSD_SD_EEES6_SK_JS6_EEE10hipError_tPvRmT3_T4_T5_T6_T7_T9_mT8_P12ihipStream_tbDpT10_ENKUlT_T0_E_clISt17integral_constantIbLb0EES16_EEDaS11_S12_EUlS11_E_NS1_11comp_targetILNS1_3genE0ELNS1_11target_archE4294967295ELNS1_3gpuE0ELNS1_3repE0EEENS1_30default_config_static_selectorELNS0_4arch9wavefront6targetE1EEEvT1_.has_indirect_call, 0
	.section	.AMDGPU.csdata,"",@progbits
; Kernel info:
; codeLenInByte = 0
; TotalNumSgprs: 4
; NumVgprs: 0
; ScratchSize: 0
; MemoryBound: 0
; FloatMode: 240
; IeeeMode: 1
; LDSByteSize: 0 bytes/workgroup (compile time only)
; SGPRBlocks: 0
; VGPRBlocks: 0
; NumSGPRsForWavesPerEU: 4
; NumVGPRsForWavesPerEU: 1
; Occupancy: 10
; WaveLimiterHint : 0
; COMPUTE_PGM_RSRC2:SCRATCH_EN: 0
; COMPUTE_PGM_RSRC2:USER_SGPR: 6
; COMPUTE_PGM_RSRC2:TRAP_HANDLER: 0
; COMPUTE_PGM_RSRC2:TGID_X_EN: 1
; COMPUTE_PGM_RSRC2:TGID_Y_EN: 0
; COMPUTE_PGM_RSRC2:TGID_Z_EN: 0
; COMPUTE_PGM_RSRC2:TIDIG_COMP_CNT: 0
	.section	.text._ZN7rocprim17ROCPRIM_400000_NS6detail17trampoline_kernelINS0_14default_configENS1_25partition_config_selectorILNS1_17partition_subalgoE5ElNS0_10empty_typeEbEEZZNS1_14partition_implILS5_5ELb0ES3_mN6hipcub16HIPCUB_304000_NS21CountingInputIteratorIllEEPS6_NSA_22TransformInputIteratorIb7NonZeroIdEPdlEENS0_5tupleIJPlS6_EEENSJ_IJSD_SD_EEES6_SK_JS6_EEE10hipError_tPvRmT3_T4_T5_T6_T7_T9_mT8_P12ihipStream_tbDpT10_ENKUlT_T0_E_clISt17integral_constantIbLb0EES16_EEDaS11_S12_EUlS11_E_NS1_11comp_targetILNS1_3genE5ELNS1_11target_archE942ELNS1_3gpuE9ELNS1_3repE0EEENS1_30default_config_static_selectorELNS0_4arch9wavefront6targetE1EEEvT1_,"axG",@progbits,_ZN7rocprim17ROCPRIM_400000_NS6detail17trampoline_kernelINS0_14default_configENS1_25partition_config_selectorILNS1_17partition_subalgoE5ElNS0_10empty_typeEbEEZZNS1_14partition_implILS5_5ELb0ES3_mN6hipcub16HIPCUB_304000_NS21CountingInputIteratorIllEEPS6_NSA_22TransformInputIteratorIb7NonZeroIdEPdlEENS0_5tupleIJPlS6_EEENSJ_IJSD_SD_EEES6_SK_JS6_EEE10hipError_tPvRmT3_T4_T5_T6_T7_T9_mT8_P12ihipStream_tbDpT10_ENKUlT_T0_E_clISt17integral_constantIbLb0EES16_EEDaS11_S12_EUlS11_E_NS1_11comp_targetILNS1_3genE5ELNS1_11target_archE942ELNS1_3gpuE9ELNS1_3repE0EEENS1_30default_config_static_selectorELNS0_4arch9wavefront6targetE1EEEvT1_,comdat
	.protected	_ZN7rocprim17ROCPRIM_400000_NS6detail17trampoline_kernelINS0_14default_configENS1_25partition_config_selectorILNS1_17partition_subalgoE5ElNS0_10empty_typeEbEEZZNS1_14partition_implILS5_5ELb0ES3_mN6hipcub16HIPCUB_304000_NS21CountingInputIteratorIllEEPS6_NSA_22TransformInputIteratorIb7NonZeroIdEPdlEENS0_5tupleIJPlS6_EEENSJ_IJSD_SD_EEES6_SK_JS6_EEE10hipError_tPvRmT3_T4_T5_T6_T7_T9_mT8_P12ihipStream_tbDpT10_ENKUlT_T0_E_clISt17integral_constantIbLb0EES16_EEDaS11_S12_EUlS11_E_NS1_11comp_targetILNS1_3genE5ELNS1_11target_archE942ELNS1_3gpuE9ELNS1_3repE0EEENS1_30default_config_static_selectorELNS0_4arch9wavefront6targetE1EEEvT1_ ; -- Begin function _ZN7rocprim17ROCPRIM_400000_NS6detail17trampoline_kernelINS0_14default_configENS1_25partition_config_selectorILNS1_17partition_subalgoE5ElNS0_10empty_typeEbEEZZNS1_14partition_implILS5_5ELb0ES3_mN6hipcub16HIPCUB_304000_NS21CountingInputIteratorIllEEPS6_NSA_22TransformInputIteratorIb7NonZeroIdEPdlEENS0_5tupleIJPlS6_EEENSJ_IJSD_SD_EEES6_SK_JS6_EEE10hipError_tPvRmT3_T4_T5_T6_T7_T9_mT8_P12ihipStream_tbDpT10_ENKUlT_T0_E_clISt17integral_constantIbLb0EES16_EEDaS11_S12_EUlS11_E_NS1_11comp_targetILNS1_3genE5ELNS1_11target_archE942ELNS1_3gpuE9ELNS1_3repE0EEENS1_30default_config_static_selectorELNS0_4arch9wavefront6targetE1EEEvT1_
	.globl	_ZN7rocprim17ROCPRIM_400000_NS6detail17trampoline_kernelINS0_14default_configENS1_25partition_config_selectorILNS1_17partition_subalgoE5ElNS0_10empty_typeEbEEZZNS1_14partition_implILS5_5ELb0ES3_mN6hipcub16HIPCUB_304000_NS21CountingInputIteratorIllEEPS6_NSA_22TransformInputIteratorIb7NonZeroIdEPdlEENS0_5tupleIJPlS6_EEENSJ_IJSD_SD_EEES6_SK_JS6_EEE10hipError_tPvRmT3_T4_T5_T6_T7_T9_mT8_P12ihipStream_tbDpT10_ENKUlT_T0_E_clISt17integral_constantIbLb0EES16_EEDaS11_S12_EUlS11_E_NS1_11comp_targetILNS1_3genE5ELNS1_11target_archE942ELNS1_3gpuE9ELNS1_3repE0EEENS1_30default_config_static_selectorELNS0_4arch9wavefront6targetE1EEEvT1_
	.p2align	8
	.type	_ZN7rocprim17ROCPRIM_400000_NS6detail17trampoline_kernelINS0_14default_configENS1_25partition_config_selectorILNS1_17partition_subalgoE5ElNS0_10empty_typeEbEEZZNS1_14partition_implILS5_5ELb0ES3_mN6hipcub16HIPCUB_304000_NS21CountingInputIteratorIllEEPS6_NSA_22TransformInputIteratorIb7NonZeroIdEPdlEENS0_5tupleIJPlS6_EEENSJ_IJSD_SD_EEES6_SK_JS6_EEE10hipError_tPvRmT3_T4_T5_T6_T7_T9_mT8_P12ihipStream_tbDpT10_ENKUlT_T0_E_clISt17integral_constantIbLb0EES16_EEDaS11_S12_EUlS11_E_NS1_11comp_targetILNS1_3genE5ELNS1_11target_archE942ELNS1_3gpuE9ELNS1_3repE0EEENS1_30default_config_static_selectorELNS0_4arch9wavefront6targetE1EEEvT1_,@function
_ZN7rocprim17ROCPRIM_400000_NS6detail17trampoline_kernelINS0_14default_configENS1_25partition_config_selectorILNS1_17partition_subalgoE5ElNS0_10empty_typeEbEEZZNS1_14partition_implILS5_5ELb0ES3_mN6hipcub16HIPCUB_304000_NS21CountingInputIteratorIllEEPS6_NSA_22TransformInputIteratorIb7NonZeroIdEPdlEENS0_5tupleIJPlS6_EEENSJ_IJSD_SD_EEES6_SK_JS6_EEE10hipError_tPvRmT3_T4_T5_T6_T7_T9_mT8_P12ihipStream_tbDpT10_ENKUlT_T0_E_clISt17integral_constantIbLb0EES16_EEDaS11_S12_EUlS11_E_NS1_11comp_targetILNS1_3genE5ELNS1_11target_archE942ELNS1_3gpuE9ELNS1_3repE0EEENS1_30default_config_static_selectorELNS0_4arch9wavefront6targetE1EEEvT1_: ; @_ZN7rocprim17ROCPRIM_400000_NS6detail17trampoline_kernelINS0_14default_configENS1_25partition_config_selectorILNS1_17partition_subalgoE5ElNS0_10empty_typeEbEEZZNS1_14partition_implILS5_5ELb0ES3_mN6hipcub16HIPCUB_304000_NS21CountingInputIteratorIllEEPS6_NSA_22TransformInputIteratorIb7NonZeroIdEPdlEENS0_5tupleIJPlS6_EEENSJ_IJSD_SD_EEES6_SK_JS6_EEE10hipError_tPvRmT3_T4_T5_T6_T7_T9_mT8_P12ihipStream_tbDpT10_ENKUlT_T0_E_clISt17integral_constantIbLb0EES16_EEDaS11_S12_EUlS11_E_NS1_11comp_targetILNS1_3genE5ELNS1_11target_archE942ELNS1_3gpuE9ELNS1_3repE0EEENS1_30default_config_static_selectorELNS0_4arch9wavefront6targetE1EEEvT1_
; %bb.0:
	.section	.rodata,"a",@progbits
	.p2align	6, 0x0
	.amdhsa_kernel _ZN7rocprim17ROCPRIM_400000_NS6detail17trampoline_kernelINS0_14default_configENS1_25partition_config_selectorILNS1_17partition_subalgoE5ElNS0_10empty_typeEbEEZZNS1_14partition_implILS5_5ELb0ES3_mN6hipcub16HIPCUB_304000_NS21CountingInputIteratorIllEEPS6_NSA_22TransformInputIteratorIb7NonZeroIdEPdlEENS0_5tupleIJPlS6_EEENSJ_IJSD_SD_EEES6_SK_JS6_EEE10hipError_tPvRmT3_T4_T5_T6_T7_T9_mT8_P12ihipStream_tbDpT10_ENKUlT_T0_E_clISt17integral_constantIbLb0EES16_EEDaS11_S12_EUlS11_E_NS1_11comp_targetILNS1_3genE5ELNS1_11target_archE942ELNS1_3gpuE9ELNS1_3repE0EEENS1_30default_config_static_selectorELNS0_4arch9wavefront6targetE1EEEvT1_
		.amdhsa_group_segment_fixed_size 0
		.amdhsa_private_segment_fixed_size 0
		.amdhsa_kernarg_size 120
		.amdhsa_user_sgpr_count 6
		.amdhsa_user_sgpr_private_segment_buffer 1
		.amdhsa_user_sgpr_dispatch_ptr 0
		.amdhsa_user_sgpr_queue_ptr 0
		.amdhsa_user_sgpr_kernarg_segment_ptr 1
		.amdhsa_user_sgpr_dispatch_id 0
		.amdhsa_user_sgpr_flat_scratch_init 0
		.amdhsa_user_sgpr_private_segment_size 0
		.amdhsa_uses_dynamic_stack 0
		.amdhsa_system_sgpr_private_segment_wavefront_offset 0
		.amdhsa_system_sgpr_workgroup_id_x 1
		.amdhsa_system_sgpr_workgroup_id_y 0
		.amdhsa_system_sgpr_workgroup_id_z 0
		.amdhsa_system_sgpr_workgroup_info 0
		.amdhsa_system_vgpr_workitem_id 0
		.amdhsa_next_free_vgpr 1
		.amdhsa_next_free_sgpr 0
		.amdhsa_reserve_vcc 0
		.amdhsa_reserve_flat_scratch 0
		.amdhsa_float_round_mode_32 0
		.amdhsa_float_round_mode_16_64 0
		.amdhsa_float_denorm_mode_32 3
		.amdhsa_float_denorm_mode_16_64 3
		.amdhsa_dx10_clamp 1
		.amdhsa_ieee_mode 1
		.amdhsa_fp16_overflow 0
		.amdhsa_exception_fp_ieee_invalid_op 0
		.amdhsa_exception_fp_denorm_src 0
		.amdhsa_exception_fp_ieee_div_zero 0
		.amdhsa_exception_fp_ieee_overflow 0
		.amdhsa_exception_fp_ieee_underflow 0
		.amdhsa_exception_fp_ieee_inexact 0
		.amdhsa_exception_int_div_zero 0
	.end_amdhsa_kernel
	.section	.text._ZN7rocprim17ROCPRIM_400000_NS6detail17trampoline_kernelINS0_14default_configENS1_25partition_config_selectorILNS1_17partition_subalgoE5ElNS0_10empty_typeEbEEZZNS1_14partition_implILS5_5ELb0ES3_mN6hipcub16HIPCUB_304000_NS21CountingInputIteratorIllEEPS6_NSA_22TransformInputIteratorIb7NonZeroIdEPdlEENS0_5tupleIJPlS6_EEENSJ_IJSD_SD_EEES6_SK_JS6_EEE10hipError_tPvRmT3_T4_T5_T6_T7_T9_mT8_P12ihipStream_tbDpT10_ENKUlT_T0_E_clISt17integral_constantIbLb0EES16_EEDaS11_S12_EUlS11_E_NS1_11comp_targetILNS1_3genE5ELNS1_11target_archE942ELNS1_3gpuE9ELNS1_3repE0EEENS1_30default_config_static_selectorELNS0_4arch9wavefront6targetE1EEEvT1_,"axG",@progbits,_ZN7rocprim17ROCPRIM_400000_NS6detail17trampoline_kernelINS0_14default_configENS1_25partition_config_selectorILNS1_17partition_subalgoE5ElNS0_10empty_typeEbEEZZNS1_14partition_implILS5_5ELb0ES3_mN6hipcub16HIPCUB_304000_NS21CountingInputIteratorIllEEPS6_NSA_22TransformInputIteratorIb7NonZeroIdEPdlEENS0_5tupleIJPlS6_EEENSJ_IJSD_SD_EEES6_SK_JS6_EEE10hipError_tPvRmT3_T4_T5_T6_T7_T9_mT8_P12ihipStream_tbDpT10_ENKUlT_T0_E_clISt17integral_constantIbLb0EES16_EEDaS11_S12_EUlS11_E_NS1_11comp_targetILNS1_3genE5ELNS1_11target_archE942ELNS1_3gpuE9ELNS1_3repE0EEENS1_30default_config_static_selectorELNS0_4arch9wavefront6targetE1EEEvT1_,comdat
.Lfunc_end322:
	.size	_ZN7rocprim17ROCPRIM_400000_NS6detail17trampoline_kernelINS0_14default_configENS1_25partition_config_selectorILNS1_17partition_subalgoE5ElNS0_10empty_typeEbEEZZNS1_14partition_implILS5_5ELb0ES3_mN6hipcub16HIPCUB_304000_NS21CountingInputIteratorIllEEPS6_NSA_22TransformInputIteratorIb7NonZeroIdEPdlEENS0_5tupleIJPlS6_EEENSJ_IJSD_SD_EEES6_SK_JS6_EEE10hipError_tPvRmT3_T4_T5_T6_T7_T9_mT8_P12ihipStream_tbDpT10_ENKUlT_T0_E_clISt17integral_constantIbLb0EES16_EEDaS11_S12_EUlS11_E_NS1_11comp_targetILNS1_3genE5ELNS1_11target_archE942ELNS1_3gpuE9ELNS1_3repE0EEENS1_30default_config_static_selectorELNS0_4arch9wavefront6targetE1EEEvT1_, .Lfunc_end322-_ZN7rocprim17ROCPRIM_400000_NS6detail17trampoline_kernelINS0_14default_configENS1_25partition_config_selectorILNS1_17partition_subalgoE5ElNS0_10empty_typeEbEEZZNS1_14partition_implILS5_5ELb0ES3_mN6hipcub16HIPCUB_304000_NS21CountingInputIteratorIllEEPS6_NSA_22TransformInputIteratorIb7NonZeroIdEPdlEENS0_5tupleIJPlS6_EEENSJ_IJSD_SD_EEES6_SK_JS6_EEE10hipError_tPvRmT3_T4_T5_T6_T7_T9_mT8_P12ihipStream_tbDpT10_ENKUlT_T0_E_clISt17integral_constantIbLb0EES16_EEDaS11_S12_EUlS11_E_NS1_11comp_targetILNS1_3genE5ELNS1_11target_archE942ELNS1_3gpuE9ELNS1_3repE0EEENS1_30default_config_static_selectorELNS0_4arch9wavefront6targetE1EEEvT1_
                                        ; -- End function
	.set _ZN7rocprim17ROCPRIM_400000_NS6detail17trampoline_kernelINS0_14default_configENS1_25partition_config_selectorILNS1_17partition_subalgoE5ElNS0_10empty_typeEbEEZZNS1_14partition_implILS5_5ELb0ES3_mN6hipcub16HIPCUB_304000_NS21CountingInputIteratorIllEEPS6_NSA_22TransformInputIteratorIb7NonZeroIdEPdlEENS0_5tupleIJPlS6_EEENSJ_IJSD_SD_EEES6_SK_JS6_EEE10hipError_tPvRmT3_T4_T5_T6_T7_T9_mT8_P12ihipStream_tbDpT10_ENKUlT_T0_E_clISt17integral_constantIbLb0EES16_EEDaS11_S12_EUlS11_E_NS1_11comp_targetILNS1_3genE5ELNS1_11target_archE942ELNS1_3gpuE9ELNS1_3repE0EEENS1_30default_config_static_selectorELNS0_4arch9wavefront6targetE1EEEvT1_.num_vgpr, 0
	.set _ZN7rocprim17ROCPRIM_400000_NS6detail17trampoline_kernelINS0_14default_configENS1_25partition_config_selectorILNS1_17partition_subalgoE5ElNS0_10empty_typeEbEEZZNS1_14partition_implILS5_5ELb0ES3_mN6hipcub16HIPCUB_304000_NS21CountingInputIteratorIllEEPS6_NSA_22TransformInputIteratorIb7NonZeroIdEPdlEENS0_5tupleIJPlS6_EEENSJ_IJSD_SD_EEES6_SK_JS6_EEE10hipError_tPvRmT3_T4_T5_T6_T7_T9_mT8_P12ihipStream_tbDpT10_ENKUlT_T0_E_clISt17integral_constantIbLb0EES16_EEDaS11_S12_EUlS11_E_NS1_11comp_targetILNS1_3genE5ELNS1_11target_archE942ELNS1_3gpuE9ELNS1_3repE0EEENS1_30default_config_static_selectorELNS0_4arch9wavefront6targetE1EEEvT1_.num_agpr, 0
	.set _ZN7rocprim17ROCPRIM_400000_NS6detail17trampoline_kernelINS0_14default_configENS1_25partition_config_selectorILNS1_17partition_subalgoE5ElNS0_10empty_typeEbEEZZNS1_14partition_implILS5_5ELb0ES3_mN6hipcub16HIPCUB_304000_NS21CountingInputIteratorIllEEPS6_NSA_22TransformInputIteratorIb7NonZeroIdEPdlEENS0_5tupleIJPlS6_EEENSJ_IJSD_SD_EEES6_SK_JS6_EEE10hipError_tPvRmT3_T4_T5_T6_T7_T9_mT8_P12ihipStream_tbDpT10_ENKUlT_T0_E_clISt17integral_constantIbLb0EES16_EEDaS11_S12_EUlS11_E_NS1_11comp_targetILNS1_3genE5ELNS1_11target_archE942ELNS1_3gpuE9ELNS1_3repE0EEENS1_30default_config_static_selectorELNS0_4arch9wavefront6targetE1EEEvT1_.numbered_sgpr, 0
	.set _ZN7rocprim17ROCPRIM_400000_NS6detail17trampoline_kernelINS0_14default_configENS1_25partition_config_selectorILNS1_17partition_subalgoE5ElNS0_10empty_typeEbEEZZNS1_14partition_implILS5_5ELb0ES3_mN6hipcub16HIPCUB_304000_NS21CountingInputIteratorIllEEPS6_NSA_22TransformInputIteratorIb7NonZeroIdEPdlEENS0_5tupleIJPlS6_EEENSJ_IJSD_SD_EEES6_SK_JS6_EEE10hipError_tPvRmT3_T4_T5_T6_T7_T9_mT8_P12ihipStream_tbDpT10_ENKUlT_T0_E_clISt17integral_constantIbLb0EES16_EEDaS11_S12_EUlS11_E_NS1_11comp_targetILNS1_3genE5ELNS1_11target_archE942ELNS1_3gpuE9ELNS1_3repE0EEENS1_30default_config_static_selectorELNS0_4arch9wavefront6targetE1EEEvT1_.num_named_barrier, 0
	.set _ZN7rocprim17ROCPRIM_400000_NS6detail17trampoline_kernelINS0_14default_configENS1_25partition_config_selectorILNS1_17partition_subalgoE5ElNS0_10empty_typeEbEEZZNS1_14partition_implILS5_5ELb0ES3_mN6hipcub16HIPCUB_304000_NS21CountingInputIteratorIllEEPS6_NSA_22TransformInputIteratorIb7NonZeroIdEPdlEENS0_5tupleIJPlS6_EEENSJ_IJSD_SD_EEES6_SK_JS6_EEE10hipError_tPvRmT3_T4_T5_T6_T7_T9_mT8_P12ihipStream_tbDpT10_ENKUlT_T0_E_clISt17integral_constantIbLb0EES16_EEDaS11_S12_EUlS11_E_NS1_11comp_targetILNS1_3genE5ELNS1_11target_archE942ELNS1_3gpuE9ELNS1_3repE0EEENS1_30default_config_static_selectorELNS0_4arch9wavefront6targetE1EEEvT1_.private_seg_size, 0
	.set _ZN7rocprim17ROCPRIM_400000_NS6detail17trampoline_kernelINS0_14default_configENS1_25partition_config_selectorILNS1_17partition_subalgoE5ElNS0_10empty_typeEbEEZZNS1_14partition_implILS5_5ELb0ES3_mN6hipcub16HIPCUB_304000_NS21CountingInputIteratorIllEEPS6_NSA_22TransformInputIteratorIb7NonZeroIdEPdlEENS0_5tupleIJPlS6_EEENSJ_IJSD_SD_EEES6_SK_JS6_EEE10hipError_tPvRmT3_T4_T5_T6_T7_T9_mT8_P12ihipStream_tbDpT10_ENKUlT_T0_E_clISt17integral_constantIbLb0EES16_EEDaS11_S12_EUlS11_E_NS1_11comp_targetILNS1_3genE5ELNS1_11target_archE942ELNS1_3gpuE9ELNS1_3repE0EEENS1_30default_config_static_selectorELNS0_4arch9wavefront6targetE1EEEvT1_.uses_vcc, 0
	.set _ZN7rocprim17ROCPRIM_400000_NS6detail17trampoline_kernelINS0_14default_configENS1_25partition_config_selectorILNS1_17partition_subalgoE5ElNS0_10empty_typeEbEEZZNS1_14partition_implILS5_5ELb0ES3_mN6hipcub16HIPCUB_304000_NS21CountingInputIteratorIllEEPS6_NSA_22TransformInputIteratorIb7NonZeroIdEPdlEENS0_5tupleIJPlS6_EEENSJ_IJSD_SD_EEES6_SK_JS6_EEE10hipError_tPvRmT3_T4_T5_T6_T7_T9_mT8_P12ihipStream_tbDpT10_ENKUlT_T0_E_clISt17integral_constantIbLb0EES16_EEDaS11_S12_EUlS11_E_NS1_11comp_targetILNS1_3genE5ELNS1_11target_archE942ELNS1_3gpuE9ELNS1_3repE0EEENS1_30default_config_static_selectorELNS0_4arch9wavefront6targetE1EEEvT1_.uses_flat_scratch, 0
	.set _ZN7rocprim17ROCPRIM_400000_NS6detail17trampoline_kernelINS0_14default_configENS1_25partition_config_selectorILNS1_17partition_subalgoE5ElNS0_10empty_typeEbEEZZNS1_14partition_implILS5_5ELb0ES3_mN6hipcub16HIPCUB_304000_NS21CountingInputIteratorIllEEPS6_NSA_22TransformInputIteratorIb7NonZeroIdEPdlEENS0_5tupleIJPlS6_EEENSJ_IJSD_SD_EEES6_SK_JS6_EEE10hipError_tPvRmT3_T4_T5_T6_T7_T9_mT8_P12ihipStream_tbDpT10_ENKUlT_T0_E_clISt17integral_constantIbLb0EES16_EEDaS11_S12_EUlS11_E_NS1_11comp_targetILNS1_3genE5ELNS1_11target_archE942ELNS1_3gpuE9ELNS1_3repE0EEENS1_30default_config_static_selectorELNS0_4arch9wavefront6targetE1EEEvT1_.has_dyn_sized_stack, 0
	.set _ZN7rocprim17ROCPRIM_400000_NS6detail17trampoline_kernelINS0_14default_configENS1_25partition_config_selectorILNS1_17partition_subalgoE5ElNS0_10empty_typeEbEEZZNS1_14partition_implILS5_5ELb0ES3_mN6hipcub16HIPCUB_304000_NS21CountingInputIteratorIllEEPS6_NSA_22TransformInputIteratorIb7NonZeroIdEPdlEENS0_5tupleIJPlS6_EEENSJ_IJSD_SD_EEES6_SK_JS6_EEE10hipError_tPvRmT3_T4_T5_T6_T7_T9_mT8_P12ihipStream_tbDpT10_ENKUlT_T0_E_clISt17integral_constantIbLb0EES16_EEDaS11_S12_EUlS11_E_NS1_11comp_targetILNS1_3genE5ELNS1_11target_archE942ELNS1_3gpuE9ELNS1_3repE0EEENS1_30default_config_static_selectorELNS0_4arch9wavefront6targetE1EEEvT1_.has_recursion, 0
	.set _ZN7rocprim17ROCPRIM_400000_NS6detail17trampoline_kernelINS0_14default_configENS1_25partition_config_selectorILNS1_17partition_subalgoE5ElNS0_10empty_typeEbEEZZNS1_14partition_implILS5_5ELb0ES3_mN6hipcub16HIPCUB_304000_NS21CountingInputIteratorIllEEPS6_NSA_22TransformInputIteratorIb7NonZeroIdEPdlEENS0_5tupleIJPlS6_EEENSJ_IJSD_SD_EEES6_SK_JS6_EEE10hipError_tPvRmT3_T4_T5_T6_T7_T9_mT8_P12ihipStream_tbDpT10_ENKUlT_T0_E_clISt17integral_constantIbLb0EES16_EEDaS11_S12_EUlS11_E_NS1_11comp_targetILNS1_3genE5ELNS1_11target_archE942ELNS1_3gpuE9ELNS1_3repE0EEENS1_30default_config_static_selectorELNS0_4arch9wavefront6targetE1EEEvT1_.has_indirect_call, 0
	.section	.AMDGPU.csdata,"",@progbits
; Kernel info:
; codeLenInByte = 0
; TotalNumSgprs: 4
; NumVgprs: 0
; ScratchSize: 0
; MemoryBound: 0
; FloatMode: 240
; IeeeMode: 1
; LDSByteSize: 0 bytes/workgroup (compile time only)
; SGPRBlocks: 0
; VGPRBlocks: 0
; NumSGPRsForWavesPerEU: 4
; NumVGPRsForWavesPerEU: 1
; Occupancy: 10
; WaveLimiterHint : 0
; COMPUTE_PGM_RSRC2:SCRATCH_EN: 0
; COMPUTE_PGM_RSRC2:USER_SGPR: 6
; COMPUTE_PGM_RSRC2:TRAP_HANDLER: 0
; COMPUTE_PGM_RSRC2:TGID_X_EN: 1
; COMPUTE_PGM_RSRC2:TGID_Y_EN: 0
; COMPUTE_PGM_RSRC2:TGID_Z_EN: 0
; COMPUTE_PGM_RSRC2:TIDIG_COMP_CNT: 0
	.section	.text._ZN7rocprim17ROCPRIM_400000_NS6detail17trampoline_kernelINS0_14default_configENS1_25partition_config_selectorILNS1_17partition_subalgoE5ElNS0_10empty_typeEbEEZZNS1_14partition_implILS5_5ELb0ES3_mN6hipcub16HIPCUB_304000_NS21CountingInputIteratorIllEEPS6_NSA_22TransformInputIteratorIb7NonZeroIdEPdlEENS0_5tupleIJPlS6_EEENSJ_IJSD_SD_EEES6_SK_JS6_EEE10hipError_tPvRmT3_T4_T5_T6_T7_T9_mT8_P12ihipStream_tbDpT10_ENKUlT_T0_E_clISt17integral_constantIbLb0EES16_EEDaS11_S12_EUlS11_E_NS1_11comp_targetILNS1_3genE4ELNS1_11target_archE910ELNS1_3gpuE8ELNS1_3repE0EEENS1_30default_config_static_selectorELNS0_4arch9wavefront6targetE1EEEvT1_,"axG",@progbits,_ZN7rocprim17ROCPRIM_400000_NS6detail17trampoline_kernelINS0_14default_configENS1_25partition_config_selectorILNS1_17partition_subalgoE5ElNS0_10empty_typeEbEEZZNS1_14partition_implILS5_5ELb0ES3_mN6hipcub16HIPCUB_304000_NS21CountingInputIteratorIllEEPS6_NSA_22TransformInputIteratorIb7NonZeroIdEPdlEENS0_5tupleIJPlS6_EEENSJ_IJSD_SD_EEES6_SK_JS6_EEE10hipError_tPvRmT3_T4_T5_T6_T7_T9_mT8_P12ihipStream_tbDpT10_ENKUlT_T0_E_clISt17integral_constantIbLb0EES16_EEDaS11_S12_EUlS11_E_NS1_11comp_targetILNS1_3genE4ELNS1_11target_archE910ELNS1_3gpuE8ELNS1_3repE0EEENS1_30default_config_static_selectorELNS0_4arch9wavefront6targetE1EEEvT1_,comdat
	.protected	_ZN7rocprim17ROCPRIM_400000_NS6detail17trampoline_kernelINS0_14default_configENS1_25partition_config_selectorILNS1_17partition_subalgoE5ElNS0_10empty_typeEbEEZZNS1_14partition_implILS5_5ELb0ES3_mN6hipcub16HIPCUB_304000_NS21CountingInputIteratorIllEEPS6_NSA_22TransformInputIteratorIb7NonZeroIdEPdlEENS0_5tupleIJPlS6_EEENSJ_IJSD_SD_EEES6_SK_JS6_EEE10hipError_tPvRmT3_T4_T5_T6_T7_T9_mT8_P12ihipStream_tbDpT10_ENKUlT_T0_E_clISt17integral_constantIbLb0EES16_EEDaS11_S12_EUlS11_E_NS1_11comp_targetILNS1_3genE4ELNS1_11target_archE910ELNS1_3gpuE8ELNS1_3repE0EEENS1_30default_config_static_selectorELNS0_4arch9wavefront6targetE1EEEvT1_ ; -- Begin function _ZN7rocprim17ROCPRIM_400000_NS6detail17trampoline_kernelINS0_14default_configENS1_25partition_config_selectorILNS1_17partition_subalgoE5ElNS0_10empty_typeEbEEZZNS1_14partition_implILS5_5ELb0ES3_mN6hipcub16HIPCUB_304000_NS21CountingInputIteratorIllEEPS6_NSA_22TransformInputIteratorIb7NonZeroIdEPdlEENS0_5tupleIJPlS6_EEENSJ_IJSD_SD_EEES6_SK_JS6_EEE10hipError_tPvRmT3_T4_T5_T6_T7_T9_mT8_P12ihipStream_tbDpT10_ENKUlT_T0_E_clISt17integral_constantIbLb0EES16_EEDaS11_S12_EUlS11_E_NS1_11comp_targetILNS1_3genE4ELNS1_11target_archE910ELNS1_3gpuE8ELNS1_3repE0EEENS1_30default_config_static_selectorELNS0_4arch9wavefront6targetE1EEEvT1_
	.globl	_ZN7rocprim17ROCPRIM_400000_NS6detail17trampoline_kernelINS0_14default_configENS1_25partition_config_selectorILNS1_17partition_subalgoE5ElNS0_10empty_typeEbEEZZNS1_14partition_implILS5_5ELb0ES3_mN6hipcub16HIPCUB_304000_NS21CountingInputIteratorIllEEPS6_NSA_22TransformInputIteratorIb7NonZeroIdEPdlEENS0_5tupleIJPlS6_EEENSJ_IJSD_SD_EEES6_SK_JS6_EEE10hipError_tPvRmT3_T4_T5_T6_T7_T9_mT8_P12ihipStream_tbDpT10_ENKUlT_T0_E_clISt17integral_constantIbLb0EES16_EEDaS11_S12_EUlS11_E_NS1_11comp_targetILNS1_3genE4ELNS1_11target_archE910ELNS1_3gpuE8ELNS1_3repE0EEENS1_30default_config_static_selectorELNS0_4arch9wavefront6targetE1EEEvT1_
	.p2align	8
	.type	_ZN7rocprim17ROCPRIM_400000_NS6detail17trampoline_kernelINS0_14default_configENS1_25partition_config_selectorILNS1_17partition_subalgoE5ElNS0_10empty_typeEbEEZZNS1_14partition_implILS5_5ELb0ES3_mN6hipcub16HIPCUB_304000_NS21CountingInputIteratorIllEEPS6_NSA_22TransformInputIteratorIb7NonZeroIdEPdlEENS0_5tupleIJPlS6_EEENSJ_IJSD_SD_EEES6_SK_JS6_EEE10hipError_tPvRmT3_T4_T5_T6_T7_T9_mT8_P12ihipStream_tbDpT10_ENKUlT_T0_E_clISt17integral_constantIbLb0EES16_EEDaS11_S12_EUlS11_E_NS1_11comp_targetILNS1_3genE4ELNS1_11target_archE910ELNS1_3gpuE8ELNS1_3repE0EEENS1_30default_config_static_selectorELNS0_4arch9wavefront6targetE1EEEvT1_,@function
_ZN7rocprim17ROCPRIM_400000_NS6detail17trampoline_kernelINS0_14default_configENS1_25partition_config_selectorILNS1_17partition_subalgoE5ElNS0_10empty_typeEbEEZZNS1_14partition_implILS5_5ELb0ES3_mN6hipcub16HIPCUB_304000_NS21CountingInputIteratorIllEEPS6_NSA_22TransformInputIteratorIb7NonZeroIdEPdlEENS0_5tupleIJPlS6_EEENSJ_IJSD_SD_EEES6_SK_JS6_EEE10hipError_tPvRmT3_T4_T5_T6_T7_T9_mT8_P12ihipStream_tbDpT10_ENKUlT_T0_E_clISt17integral_constantIbLb0EES16_EEDaS11_S12_EUlS11_E_NS1_11comp_targetILNS1_3genE4ELNS1_11target_archE910ELNS1_3gpuE8ELNS1_3repE0EEENS1_30default_config_static_selectorELNS0_4arch9wavefront6targetE1EEEvT1_: ; @_ZN7rocprim17ROCPRIM_400000_NS6detail17trampoline_kernelINS0_14default_configENS1_25partition_config_selectorILNS1_17partition_subalgoE5ElNS0_10empty_typeEbEEZZNS1_14partition_implILS5_5ELb0ES3_mN6hipcub16HIPCUB_304000_NS21CountingInputIteratorIllEEPS6_NSA_22TransformInputIteratorIb7NonZeroIdEPdlEENS0_5tupleIJPlS6_EEENSJ_IJSD_SD_EEES6_SK_JS6_EEE10hipError_tPvRmT3_T4_T5_T6_T7_T9_mT8_P12ihipStream_tbDpT10_ENKUlT_T0_E_clISt17integral_constantIbLb0EES16_EEDaS11_S12_EUlS11_E_NS1_11comp_targetILNS1_3genE4ELNS1_11target_archE910ELNS1_3gpuE8ELNS1_3repE0EEENS1_30default_config_static_selectorELNS0_4arch9wavefront6targetE1EEEvT1_
; %bb.0:
	.section	.rodata,"a",@progbits
	.p2align	6, 0x0
	.amdhsa_kernel _ZN7rocprim17ROCPRIM_400000_NS6detail17trampoline_kernelINS0_14default_configENS1_25partition_config_selectorILNS1_17partition_subalgoE5ElNS0_10empty_typeEbEEZZNS1_14partition_implILS5_5ELb0ES3_mN6hipcub16HIPCUB_304000_NS21CountingInputIteratorIllEEPS6_NSA_22TransformInputIteratorIb7NonZeroIdEPdlEENS0_5tupleIJPlS6_EEENSJ_IJSD_SD_EEES6_SK_JS6_EEE10hipError_tPvRmT3_T4_T5_T6_T7_T9_mT8_P12ihipStream_tbDpT10_ENKUlT_T0_E_clISt17integral_constantIbLb0EES16_EEDaS11_S12_EUlS11_E_NS1_11comp_targetILNS1_3genE4ELNS1_11target_archE910ELNS1_3gpuE8ELNS1_3repE0EEENS1_30default_config_static_selectorELNS0_4arch9wavefront6targetE1EEEvT1_
		.amdhsa_group_segment_fixed_size 0
		.amdhsa_private_segment_fixed_size 0
		.amdhsa_kernarg_size 120
		.amdhsa_user_sgpr_count 6
		.amdhsa_user_sgpr_private_segment_buffer 1
		.amdhsa_user_sgpr_dispatch_ptr 0
		.amdhsa_user_sgpr_queue_ptr 0
		.amdhsa_user_sgpr_kernarg_segment_ptr 1
		.amdhsa_user_sgpr_dispatch_id 0
		.amdhsa_user_sgpr_flat_scratch_init 0
		.amdhsa_user_sgpr_private_segment_size 0
		.amdhsa_uses_dynamic_stack 0
		.amdhsa_system_sgpr_private_segment_wavefront_offset 0
		.amdhsa_system_sgpr_workgroup_id_x 1
		.amdhsa_system_sgpr_workgroup_id_y 0
		.amdhsa_system_sgpr_workgroup_id_z 0
		.amdhsa_system_sgpr_workgroup_info 0
		.amdhsa_system_vgpr_workitem_id 0
		.amdhsa_next_free_vgpr 1
		.amdhsa_next_free_sgpr 0
		.amdhsa_reserve_vcc 0
		.amdhsa_reserve_flat_scratch 0
		.amdhsa_float_round_mode_32 0
		.amdhsa_float_round_mode_16_64 0
		.amdhsa_float_denorm_mode_32 3
		.amdhsa_float_denorm_mode_16_64 3
		.amdhsa_dx10_clamp 1
		.amdhsa_ieee_mode 1
		.amdhsa_fp16_overflow 0
		.amdhsa_exception_fp_ieee_invalid_op 0
		.amdhsa_exception_fp_denorm_src 0
		.amdhsa_exception_fp_ieee_div_zero 0
		.amdhsa_exception_fp_ieee_overflow 0
		.amdhsa_exception_fp_ieee_underflow 0
		.amdhsa_exception_fp_ieee_inexact 0
		.amdhsa_exception_int_div_zero 0
	.end_amdhsa_kernel
	.section	.text._ZN7rocprim17ROCPRIM_400000_NS6detail17trampoline_kernelINS0_14default_configENS1_25partition_config_selectorILNS1_17partition_subalgoE5ElNS0_10empty_typeEbEEZZNS1_14partition_implILS5_5ELb0ES3_mN6hipcub16HIPCUB_304000_NS21CountingInputIteratorIllEEPS6_NSA_22TransformInputIteratorIb7NonZeroIdEPdlEENS0_5tupleIJPlS6_EEENSJ_IJSD_SD_EEES6_SK_JS6_EEE10hipError_tPvRmT3_T4_T5_T6_T7_T9_mT8_P12ihipStream_tbDpT10_ENKUlT_T0_E_clISt17integral_constantIbLb0EES16_EEDaS11_S12_EUlS11_E_NS1_11comp_targetILNS1_3genE4ELNS1_11target_archE910ELNS1_3gpuE8ELNS1_3repE0EEENS1_30default_config_static_selectorELNS0_4arch9wavefront6targetE1EEEvT1_,"axG",@progbits,_ZN7rocprim17ROCPRIM_400000_NS6detail17trampoline_kernelINS0_14default_configENS1_25partition_config_selectorILNS1_17partition_subalgoE5ElNS0_10empty_typeEbEEZZNS1_14partition_implILS5_5ELb0ES3_mN6hipcub16HIPCUB_304000_NS21CountingInputIteratorIllEEPS6_NSA_22TransformInputIteratorIb7NonZeroIdEPdlEENS0_5tupleIJPlS6_EEENSJ_IJSD_SD_EEES6_SK_JS6_EEE10hipError_tPvRmT3_T4_T5_T6_T7_T9_mT8_P12ihipStream_tbDpT10_ENKUlT_T0_E_clISt17integral_constantIbLb0EES16_EEDaS11_S12_EUlS11_E_NS1_11comp_targetILNS1_3genE4ELNS1_11target_archE910ELNS1_3gpuE8ELNS1_3repE0EEENS1_30default_config_static_selectorELNS0_4arch9wavefront6targetE1EEEvT1_,comdat
.Lfunc_end323:
	.size	_ZN7rocprim17ROCPRIM_400000_NS6detail17trampoline_kernelINS0_14default_configENS1_25partition_config_selectorILNS1_17partition_subalgoE5ElNS0_10empty_typeEbEEZZNS1_14partition_implILS5_5ELb0ES3_mN6hipcub16HIPCUB_304000_NS21CountingInputIteratorIllEEPS6_NSA_22TransformInputIteratorIb7NonZeroIdEPdlEENS0_5tupleIJPlS6_EEENSJ_IJSD_SD_EEES6_SK_JS6_EEE10hipError_tPvRmT3_T4_T5_T6_T7_T9_mT8_P12ihipStream_tbDpT10_ENKUlT_T0_E_clISt17integral_constantIbLb0EES16_EEDaS11_S12_EUlS11_E_NS1_11comp_targetILNS1_3genE4ELNS1_11target_archE910ELNS1_3gpuE8ELNS1_3repE0EEENS1_30default_config_static_selectorELNS0_4arch9wavefront6targetE1EEEvT1_, .Lfunc_end323-_ZN7rocprim17ROCPRIM_400000_NS6detail17trampoline_kernelINS0_14default_configENS1_25partition_config_selectorILNS1_17partition_subalgoE5ElNS0_10empty_typeEbEEZZNS1_14partition_implILS5_5ELb0ES3_mN6hipcub16HIPCUB_304000_NS21CountingInputIteratorIllEEPS6_NSA_22TransformInputIteratorIb7NonZeroIdEPdlEENS0_5tupleIJPlS6_EEENSJ_IJSD_SD_EEES6_SK_JS6_EEE10hipError_tPvRmT3_T4_T5_T6_T7_T9_mT8_P12ihipStream_tbDpT10_ENKUlT_T0_E_clISt17integral_constantIbLb0EES16_EEDaS11_S12_EUlS11_E_NS1_11comp_targetILNS1_3genE4ELNS1_11target_archE910ELNS1_3gpuE8ELNS1_3repE0EEENS1_30default_config_static_selectorELNS0_4arch9wavefront6targetE1EEEvT1_
                                        ; -- End function
	.set _ZN7rocprim17ROCPRIM_400000_NS6detail17trampoline_kernelINS0_14default_configENS1_25partition_config_selectorILNS1_17partition_subalgoE5ElNS0_10empty_typeEbEEZZNS1_14partition_implILS5_5ELb0ES3_mN6hipcub16HIPCUB_304000_NS21CountingInputIteratorIllEEPS6_NSA_22TransformInputIteratorIb7NonZeroIdEPdlEENS0_5tupleIJPlS6_EEENSJ_IJSD_SD_EEES6_SK_JS6_EEE10hipError_tPvRmT3_T4_T5_T6_T7_T9_mT8_P12ihipStream_tbDpT10_ENKUlT_T0_E_clISt17integral_constantIbLb0EES16_EEDaS11_S12_EUlS11_E_NS1_11comp_targetILNS1_3genE4ELNS1_11target_archE910ELNS1_3gpuE8ELNS1_3repE0EEENS1_30default_config_static_selectorELNS0_4arch9wavefront6targetE1EEEvT1_.num_vgpr, 0
	.set _ZN7rocprim17ROCPRIM_400000_NS6detail17trampoline_kernelINS0_14default_configENS1_25partition_config_selectorILNS1_17partition_subalgoE5ElNS0_10empty_typeEbEEZZNS1_14partition_implILS5_5ELb0ES3_mN6hipcub16HIPCUB_304000_NS21CountingInputIteratorIllEEPS6_NSA_22TransformInputIteratorIb7NonZeroIdEPdlEENS0_5tupleIJPlS6_EEENSJ_IJSD_SD_EEES6_SK_JS6_EEE10hipError_tPvRmT3_T4_T5_T6_T7_T9_mT8_P12ihipStream_tbDpT10_ENKUlT_T0_E_clISt17integral_constantIbLb0EES16_EEDaS11_S12_EUlS11_E_NS1_11comp_targetILNS1_3genE4ELNS1_11target_archE910ELNS1_3gpuE8ELNS1_3repE0EEENS1_30default_config_static_selectorELNS0_4arch9wavefront6targetE1EEEvT1_.num_agpr, 0
	.set _ZN7rocprim17ROCPRIM_400000_NS6detail17trampoline_kernelINS0_14default_configENS1_25partition_config_selectorILNS1_17partition_subalgoE5ElNS0_10empty_typeEbEEZZNS1_14partition_implILS5_5ELb0ES3_mN6hipcub16HIPCUB_304000_NS21CountingInputIteratorIllEEPS6_NSA_22TransformInputIteratorIb7NonZeroIdEPdlEENS0_5tupleIJPlS6_EEENSJ_IJSD_SD_EEES6_SK_JS6_EEE10hipError_tPvRmT3_T4_T5_T6_T7_T9_mT8_P12ihipStream_tbDpT10_ENKUlT_T0_E_clISt17integral_constantIbLb0EES16_EEDaS11_S12_EUlS11_E_NS1_11comp_targetILNS1_3genE4ELNS1_11target_archE910ELNS1_3gpuE8ELNS1_3repE0EEENS1_30default_config_static_selectorELNS0_4arch9wavefront6targetE1EEEvT1_.numbered_sgpr, 0
	.set _ZN7rocprim17ROCPRIM_400000_NS6detail17trampoline_kernelINS0_14default_configENS1_25partition_config_selectorILNS1_17partition_subalgoE5ElNS0_10empty_typeEbEEZZNS1_14partition_implILS5_5ELb0ES3_mN6hipcub16HIPCUB_304000_NS21CountingInputIteratorIllEEPS6_NSA_22TransformInputIteratorIb7NonZeroIdEPdlEENS0_5tupleIJPlS6_EEENSJ_IJSD_SD_EEES6_SK_JS6_EEE10hipError_tPvRmT3_T4_T5_T6_T7_T9_mT8_P12ihipStream_tbDpT10_ENKUlT_T0_E_clISt17integral_constantIbLb0EES16_EEDaS11_S12_EUlS11_E_NS1_11comp_targetILNS1_3genE4ELNS1_11target_archE910ELNS1_3gpuE8ELNS1_3repE0EEENS1_30default_config_static_selectorELNS0_4arch9wavefront6targetE1EEEvT1_.num_named_barrier, 0
	.set _ZN7rocprim17ROCPRIM_400000_NS6detail17trampoline_kernelINS0_14default_configENS1_25partition_config_selectorILNS1_17partition_subalgoE5ElNS0_10empty_typeEbEEZZNS1_14partition_implILS5_5ELb0ES3_mN6hipcub16HIPCUB_304000_NS21CountingInputIteratorIllEEPS6_NSA_22TransformInputIteratorIb7NonZeroIdEPdlEENS0_5tupleIJPlS6_EEENSJ_IJSD_SD_EEES6_SK_JS6_EEE10hipError_tPvRmT3_T4_T5_T6_T7_T9_mT8_P12ihipStream_tbDpT10_ENKUlT_T0_E_clISt17integral_constantIbLb0EES16_EEDaS11_S12_EUlS11_E_NS1_11comp_targetILNS1_3genE4ELNS1_11target_archE910ELNS1_3gpuE8ELNS1_3repE0EEENS1_30default_config_static_selectorELNS0_4arch9wavefront6targetE1EEEvT1_.private_seg_size, 0
	.set _ZN7rocprim17ROCPRIM_400000_NS6detail17trampoline_kernelINS0_14default_configENS1_25partition_config_selectorILNS1_17partition_subalgoE5ElNS0_10empty_typeEbEEZZNS1_14partition_implILS5_5ELb0ES3_mN6hipcub16HIPCUB_304000_NS21CountingInputIteratorIllEEPS6_NSA_22TransformInputIteratorIb7NonZeroIdEPdlEENS0_5tupleIJPlS6_EEENSJ_IJSD_SD_EEES6_SK_JS6_EEE10hipError_tPvRmT3_T4_T5_T6_T7_T9_mT8_P12ihipStream_tbDpT10_ENKUlT_T0_E_clISt17integral_constantIbLb0EES16_EEDaS11_S12_EUlS11_E_NS1_11comp_targetILNS1_3genE4ELNS1_11target_archE910ELNS1_3gpuE8ELNS1_3repE0EEENS1_30default_config_static_selectorELNS0_4arch9wavefront6targetE1EEEvT1_.uses_vcc, 0
	.set _ZN7rocprim17ROCPRIM_400000_NS6detail17trampoline_kernelINS0_14default_configENS1_25partition_config_selectorILNS1_17partition_subalgoE5ElNS0_10empty_typeEbEEZZNS1_14partition_implILS5_5ELb0ES3_mN6hipcub16HIPCUB_304000_NS21CountingInputIteratorIllEEPS6_NSA_22TransformInputIteratorIb7NonZeroIdEPdlEENS0_5tupleIJPlS6_EEENSJ_IJSD_SD_EEES6_SK_JS6_EEE10hipError_tPvRmT3_T4_T5_T6_T7_T9_mT8_P12ihipStream_tbDpT10_ENKUlT_T0_E_clISt17integral_constantIbLb0EES16_EEDaS11_S12_EUlS11_E_NS1_11comp_targetILNS1_3genE4ELNS1_11target_archE910ELNS1_3gpuE8ELNS1_3repE0EEENS1_30default_config_static_selectorELNS0_4arch9wavefront6targetE1EEEvT1_.uses_flat_scratch, 0
	.set _ZN7rocprim17ROCPRIM_400000_NS6detail17trampoline_kernelINS0_14default_configENS1_25partition_config_selectorILNS1_17partition_subalgoE5ElNS0_10empty_typeEbEEZZNS1_14partition_implILS5_5ELb0ES3_mN6hipcub16HIPCUB_304000_NS21CountingInputIteratorIllEEPS6_NSA_22TransformInputIteratorIb7NonZeroIdEPdlEENS0_5tupleIJPlS6_EEENSJ_IJSD_SD_EEES6_SK_JS6_EEE10hipError_tPvRmT3_T4_T5_T6_T7_T9_mT8_P12ihipStream_tbDpT10_ENKUlT_T0_E_clISt17integral_constantIbLb0EES16_EEDaS11_S12_EUlS11_E_NS1_11comp_targetILNS1_3genE4ELNS1_11target_archE910ELNS1_3gpuE8ELNS1_3repE0EEENS1_30default_config_static_selectorELNS0_4arch9wavefront6targetE1EEEvT1_.has_dyn_sized_stack, 0
	.set _ZN7rocprim17ROCPRIM_400000_NS6detail17trampoline_kernelINS0_14default_configENS1_25partition_config_selectorILNS1_17partition_subalgoE5ElNS0_10empty_typeEbEEZZNS1_14partition_implILS5_5ELb0ES3_mN6hipcub16HIPCUB_304000_NS21CountingInputIteratorIllEEPS6_NSA_22TransformInputIteratorIb7NonZeroIdEPdlEENS0_5tupleIJPlS6_EEENSJ_IJSD_SD_EEES6_SK_JS6_EEE10hipError_tPvRmT3_T4_T5_T6_T7_T9_mT8_P12ihipStream_tbDpT10_ENKUlT_T0_E_clISt17integral_constantIbLb0EES16_EEDaS11_S12_EUlS11_E_NS1_11comp_targetILNS1_3genE4ELNS1_11target_archE910ELNS1_3gpuE8ELNS1_3repE0EEENS1_30default_config_static_selectorELNS0_4arch9wavefront6targetE1EEEvT1_.has_recursion, 0
	.set _ZN7rocprim17ROCPRIM_400000_NS6detail17trampoline_kernelINS0_14default_configENS1_25partition_config_selectorILNS1_17partition_subalgoE5ElNS0_10empty_typeEbEEZZNS1_14partition_implILS5_5ELb0ES3_mN6hipcub16HIPCUB_304000_NS21CountingInputIteratorIllEEPS6_NSA_22TransformInputIteratorIb7NonZeroIdEPdlEENS0_5tupleIJPlS6_EEENSJ_IJSD_SD_EEES6_SK_JS6_EEE10hipError_tPvRmT3_T4_T5_T6_T7_T9_mT8_P12ihipStream_tbDpT10_ENKUlT_T0_E_clISt17integral_constantIbLb0EES16_EEDaS11_S12_EUlS11_E_NS1_11comp_targetILNS1_3genE4ELNS1_11target_archE910ELNS1_3gpuE8ELNS1_3repE0EEENS1_30default_config_static_selectorELNS0_4arch9wavefront6targetE1EEEvT1_.has_indirect_call, 0
	.section	.AMDGPU.csdata,"",@progbits
; Kernel info:
; codeLenInByte = 0
; TotalNumSgprs: 4
; NumVgprs: 0
; ScratchSize: 0
; MemoryBound: 0
; FloatMode: 240
; IeeeMode: 1
; LDSByteSize: 0 bytes/workgroup (compile time only)
; SGPRBlocks: 0
; VGPRBlocks: 0
; NumSGPRsForWavesPerEU: 4
; NumVGPRsForWavesPerEU: 1
; Occupancy: 10
; WaveLimiterHint : 0
; COMPUTE_PGM_RSRC2:SCRATCH_EN: 0
; COMPUTE_PGM_RSRC2:USER_SGPR: 6
; COMPUTE_PGM_RSRC2:TRAP_HANDLER: 0
; COMPUTE_PGM_RSRC2:TGID_X_EN: 1
; COMPUTE_PGM_RSRC2:TGID_Y_EN: 0
; COMPUTE_PGM_RSRC2:TGID_Z_EN: 0
; COMPUTE_PGM_RSRC2:TIDIG_COMP_CNT: 0
	.section	.text._ZN7rocprim17ROCPRIM_400000_NS6detail17trampoline_kernelINS0_14default_configENS1_25partition_config_selectorILNS1_17partition_subalgoE5ElNS0_10empty_typeEbEEZZNS1_14partition_implILS5_5ELb0ES3_mN6hipcub16HIPCUB_304000_NS21CountingInputIteratorIllEEPS6_NSA_22TransformInputIteratorIb7NonZeroIdEPdlEENS0_5tupleIJPlS6_EEENSJ_IJSD_SD_EEES6_SK_JS6_EEE10hipError_tPvRmT3_T4_T5_T6_T7_T9_mT8_P12ihipStream_tbDpT10_ENKUlT_T0_E_clISt17integral_constantIbLb0EES16_EEDaS11_S12_EUlS11_E_NS1_11comp_targetILNS1_3genE3ELNS1_11target_archE908ELNS1_3gpuE7ELNS1_3repE0EEENS1_30default_config_static_selectorELNS0_4arch9wavefront6targetE1EEEvT1_,"axG",@progbits,_ZN7rocprim17ROCPRIM_400000_NS6detail17trampoline_kernelINS0_14default_configENS1_25partition_config_selectorILNS1_17partition_subalgoE5ElNS0_10empty_typeEbEEZZNS1_14partition_implILS5_5ELb0ES3_mN6hipcub16HIPCUB_304000_NS21CountingInputIteratorIllEEPS6_NSA_22TransformInputIteratorIb7NonZeroIdEPdlEENS0_5tupleIJPlS6_EEENSJ_IJSD_SD_EEES6_SK_JS6_EEE10hipError_tPvRmT3_T4_T5_T6_T7_T9_mT8_P12ihipStream_tbDpT10_ENKUlT_T0_E_clISt17integral_constantIbLb0EES16_EEDaS11_S12_EUlS11_E_NS1_11comp_targetILNS1_3genE3ELNS1_11target_archE908ELNS1_3gpuE7ELNS1_3repE0EEENS1_30default_config_static_selectorELNS0_4arch9wavefront6targetE1EEEvT1_,comdat
	.protected	_ZN7rocprim17ROCPRIM_400000_NS6detail17trampoline_kernelINS0_14default_configENS1_25partition_config_selectorILNS1_17partition_subalgoE5ElNS0_10empty_typeEbEEZZNS1_14partition_implILS5_5ELb0ES3_mN6hipcub16HIPCUB_304000_NS21CountingInputIteratorIllEEPS6_NSA_22TransformInputIteratorIb7NonZeroIdEPdlEENS0_5tupleIJPlS6_EEENSJ_IJSD_SD_EEES6_SK_JS6_EEE10hipError_tPvRmT3_T4_T5_T6_T7_T9_mT8_P12ihipStream_tbDpT10_ENKUlT_T0_E_clISt17integral_constantIbLb0EES16_EEDaS11_S12_EUlS11_E_NS1_11comp_targetILNS1_3genE3ELNS1_11target_archE908ELNS1_3gpuE7ELNS1_3repE0EEENS1_30default_config_static_selectorELNS0_4arch9wavefront6targetE1EEEvT1_ ; -- Begin function _ZN7rocprim17ROCPRIM_400000_NS6detail17trampoline_kernelINS0_14default_configENS1_25partition_config_selectorILNS1_17partition_subalgoE5ElNS0_10empty_typeEbEEZZNS1_14partition_implILS5_5ELb0ES3_mN6hipcub16HIPCUB_304000_NS21CountingInputIteratorIllEEPS6_NSA_22TransformInputIteratorIb7NonZeroIdEPdlEENS0_5tupleIJPlS6_EEENSJ_IJSD_SD_EEES6_SK_JS6_EEE10hipError_tPvRmT3_T4_T5_T6_T7_T9_mT8_P12ihipStream_tbDpT10_ENKUlT_T0_E_clISt17integral_constantIbLb0EES16_EEDaS11_S12_EUlS11_E_NS1_11comp_targetILNS1_3genE3ELNS1_11target_archE908ELNS1_3gpuE7ELNS1_3repE0EEENS1_30default_config_static_selectorELNS0_4arch9wavefront6targetE1EEEvT1_
	.globl	_ZN7rocprim17ROCPRIM_400000_NS6detail17trampoline_kernelINS0_14default_configENS1_25partition_config_selectorILNS1_17partition_subalgoE5ElNS0_10empty_typeEbEEZZNS1_14partition_implILS5_5ELb0ES3_mN6hipcub16HIPCUB_304000_NS21CountingInputIteratorIllEEPS6_NSA_22TransformInputIteratorIb7NonZeroIdEPdlEENS0_5tupleIJPlS6_EEENSJ_IJSD_SD_EEES6_SK_JS6_EEE10hipError_tPvRmT3_T4_T5_T6_T7_T9_mT8_P12ihipStream_tbDpT10_ENKUlT_T0_E_clISt17integral_constantIbLb0EES16_EEDaS11_S12_EUlS11_E_NS1_11comp_targetILNS1_3genE3ELNS1_11target_archE908ELNS1_3gpuE7ELNS1_3repE0EEENS1_30default_config_static_selectorELNS0_4arch9wavefront6targetE1EEEvT1_
	.p2align	8
	.type	_ZN7rocprim17ROCPRIM_400000_NS6detail17trampoline_kernelINS0_14default_configENS1_25partition_config_selectorILNS1_17partition_subalgoE5ElNS0_10empty_typeEbEEZZNS1_14partition_implILS5_5ELb0ES3_mN6hipcub16HIPCUB_304000_NS21CountingInputIteratorIllEEPS6_NSA_22TransformInputIteratorIb7NonZeroIdEPdlEENS0_5tupleIJPlS6_EEENSJ_IJSD_SD_EEES6_SK_JS6_EEE10hipError_tPvRmT3_T4_T5_T6_T7_T9_mT8_P12ihipStream_tbDpT10_ENKUlT_T0_E_clISt17integral_constantIbLb0EES16_EEDaS11_S12_EUlS11_E_NS1_11comp_targetILNS1_3genE3ELNS1_11target_archE908ELNS1_3gpuE7ELNS1_3repE0EEENS1_30default_config_static_selectorELNS0_4arch9wavefront6targetE1EEEvT1_,@function
_ZN7rocprim17ROCPRIM_400000_NS6detail17trampoline_kernelINS0_14default_configENS1_25partition_config_selectorILNS1_17partition_subalgoE5ElNS0_10empty_typeEbEEZZNS1_14partition_implILS5_5ELb0ES3_mN6hipcub16HIPCUB_304000_NS21CountingInputIteratorIllEEPS6_NSA_22TransformInputIteratorIb7NonZeroIdEPdlEENS0_5tupleIJPlS6_EEENSJ_IJSD_SD_EEES6_SK_JS6_EEE10hipError_tPvRmT3_T4_T5_T6_T7_T9_mT8_P12ihipStream_tbDpT10_ENKUlT_T0_E_clISt17integral_constantIbLb0EES16_EEDaS11_S12_EUlS11_E_NS1_11comp_targetILNS1_3genE3ELNS1_11target_archE908ELNS1_3gpuE7ELNS1_3repE0EEENS1_30default_config_static_selectorELNS0_4arch9wavefront6targetE1EEEvT1_: ; @_ZN7rocprim17ROCPRIM_400000_NS6detail17trampoline_kernelINS0_14default_configENS1_25partition_config_selectorILNS1_17partition_subalgoE5ElNS0_10empty_typeEbEEZZNS1_14partition_implILS5_5ELb0ES3_mN6hipcub16HIPCUB_304000_NS21CountingInputIteratorIllEEPS6_NSA_22TransformInputIteratorIb7NonZeroIdEPdlEENS0_5tupleIJPlS6_EEENSJ_IJSD_SD_EEES6_SK_JS6_EEE10hipError_tPvRmT3_T4_T5_T6_T7_T9_mT8_P12ihipStream_tbDpT10_ENKUlT_T0_E_clISt17integral_constantIbLb0EES16_EEDaS11_S12_EUlS11_E_NS1_11comp_targetILNS1_3genE3ELNS1_11target_archE908ELNS1_3gpuE7ELNS1_3repE0EEENS1_30default_config_static_selectorELNS0_4arch9wavefront6targetE1EEEvT1_
; %bb.0:
	.section	.rodata,"a",@progbits
	.p2align	6, 0x0
	.amdhsa_kernel _ZN7rocprim17ROCPRIM_400000_NS6detail17trampoline_kernelINS0_14default_configENS1_25partition_config_selectorILNS1_17partition_subalgoE5ElNS0_10empty_typeEbEEZZNS1_14partition_implILS5_5ELb0ES3_mN6hipcub16HIPCUB_304000_NS21CountingInputIteratorIllEEPS6_NSA_22TransformInputIteratorIb7NonZeroIdEPdlEENS0_5tupleIJPlS6_EEENSJ_IJSD_SD_EEES6_SK_JS6_EEE10hipError_tPvRmT3_T4_T5_T6_T7_T9_mT8_P12ihipStream_tbDpT10_ENKUlT_T0_E_clISt17integral_constantIbLb0EES16_EEDaS11_S12_EUlS11_E_NS1_11comp_targetILNS1_3genE3ELNS1_11target_archE908ELNS1_3gpuE7ELNS1_3repE0EEENS1_30default_config_static_selectorELNS0_4arch9wavefront6targetE1EEEvT1_
		.amdhsa_group_segment_fixed_size 0
		.amdhsa_private_segment_fixed_size 0
		.amdhsa_kernarg_size 120
		.amdhsa_user_sgpr_count 6
		.amdhsa_user_sgpr_private_segment_buffer 1
		.amdhsa_user_sgpr_dispatch_ptr 0
		.amdhsa_user_sgpr_queue_ptr 0
		.amdhsa_user_sgpr_kernarg_segment_ptr 1
		.amdhsa_user_sgpr_dispatch_id 0
		.amdhsa_user_sgpr_flat_scratch_init 0
		.amdhsa_user_sgpr_private_segment_size 0
		.amdhsa_uses_dynamic_stack 0
		.amdhsa_system_sgpr_private_segment_wavefront_offset 0
		.amdhsa_system_sgpr_workgroup_id_x 1
		.amdhsa_system_sgpr_workgroup_id_y 0
		.amdhsa_system_sgpr_workgroup_id_z 0
		.amdhsa_system_sgpr_workgroup_info 0
		.amdhsa_system_vgpr_workitem_id 0
		.amdhsa_next_free_vgpr 1
		.amdhsa_next_free_sgpr 0
		.amdhsa_reserve_vcc 0
		.amdhsa_reserve_flat_scratch 0
		.amdhsa_float_round_mode_32 0
		.amdhsa_float_round_mode_16_64 0
		.amdhsa_float_denorm_mode_32 3
		.amdhsa_float_denorm_mode_16_64 3
		.amdhsa_dx10_clamp 1
		.amdhsa_ieee_mode 1
		.amdhsa_fp16_overflow 0
		.amdhsa_exception_fp_ieee_invalid_op 0
		.amdhsa_exception_fp_denorm_src 0
		.amdhsa_exception_fp_ieee_div_zero 0
		.amdhsa_exception_fp_ieee_overflow 0
		.amdhsa_exception_fp_ieee_underflow 0
		.amdhsa_exception_fp_ieee_inexact 0
		.amdhsa_exception_int_div_zero 0
	.end_amdhsa_kernel
	.section	.text._ZN7rocprim17ROCPRIM_400000_NS6detail17trampoline_kernelINS0_14default_configENS1_25partition_config_selectorILNS1_17partition_subalgoE5ElNS0_10empty_typeEbEEZZNS1_14partition_implILS5_5ELb0ES3_mN6hipcub16HIPCUB_304000_NS21CountingInputIteratorIllEEPS6_NSA_22TransformInputIteratorIb7NonZeroIdEPdlEENS0_5tupleIJPlS6_EEENSJ_IJSD_SD_EEES6_SK_JS6_EEE10hipError_tPvRmT3_T4_T5_T6_T7_T9_mT8_P12ihipStream_tbDpT10_ENKUlT_T0_E_clISt17integral_constantIbLb0EES16_EEDaS11_S12_EUlS11_E_NS1_11comp_targetILNS1_3genE3ELNS1_11target_archE908ELNS1_3gpuE7ELNS1_3repE0EEENS1_30default_config_static_selectorELNS0_4arch9wavefront6targetE1EEEvT1_,"axG",@progbits,_ZN7rocprim17ROCPRIM_400000_NS6detail17trampoline_kernelINS0_14default_configENS1_25partition_config_selectorILNS1_17partition_subalgoE5ElNS0_10empty_typeEbEEZZNS1_14partition_implILS5_5ELb0ES3_mN6hipcub16HIPCUB_304000_NS21CountingInputIteratorIllEEPS6_NSA_22TransformInputIteratorIb7NonZeroIdEPdlEENS0_5tupleIJPlS6_EEENSJ_IJSD_SD_EEES6_SK_JS6_EEE10hipError_tPvRmT3_T4_T5_T6_T7_T9_mT8_P12ihipStream_tbDpT10_ENKUlT_T0_E_clISt17integral_constantIbLb0EES16_EEDaS11_S12_EUlS11_E_NS1_11comp_targetILNS1_3genE3ELNS1_11target_archE908ELNS1_3gpuE7ELNS1_3repE0EEENS1_30default_config_static_selectorELNS0_4arch9wavefront6targetE1EEEvT1_,comdat
.Lfunc_end324:
	.size	_ZN7rocprim17ROCPRIM_400000_NS6detail17trampoline_kernelINS0_14default_configENS1_25partition_config_selectorILNS1_17partition_subalgoE5ElNS0_10empty_typeEbEEZZNS1_14partition_implILS5_5ELb0ES3_mN6hipcub16HIPCUB_304000_NS21CountingInputIteratorIllEEPS6_NSA_22TransformInputIteratorIb7NonZeroIdEPdlEENS0_5tupleIJPlS6_EEENSJ_IJSD_SD_EEES6_SK_JS6_EEE10hipError_tPvRmT3_T4_T5_T6_T7_T9_mT8_P12ihipStream_tbDpT10_ENKUlT_T0_E_clISt17integral_constantIbLb0EES16_EEDaS11_S12_EUlS11_E_NS1_11comp_targetILNS1_3genE3ELNS1_11target_archE908ELNS1_3gpuE7ELNS1_3repE0EEENS1_30default_config_static_selectorELNS0_4arch9wavefront6targetE1EEEvT1_, .Lfunc_end324-_ZN7rocprim17ROCPRIM_400000_NS6detail17trampoline_kernelINS0_14default_configENS1_25partition_config_selectorILNS1_17partition_subalgoE5ElNS0_10empty_typeEbEEZZNS1_14partition_implILS5_5ELb0ES3_mN6hipcub16HIPCUB_304000_NS21CountingInputIteratorIllEEPS6_NSA_22TransformInputIteratorIb7NonZeroIdEPdlEENS0_5tupleIJPlS6_EEENSJ_IJSD_SD_EEES6_SK_JS6_EEE10hipError_tPvRmT3_T4_T5_T6_T7_T9_mT8_P12ihipStream_tbDpT10_ENKUlT_T0_E_clISt17integral_constantIbLb0EES16_EEDaS11_S12_EUlS11_E_NS1_11comp_targetILNS1_3genE3ELNS1_11target_archE908ELNS1_3gpuE7ELNS1_3repE0EEENS1_30default_config_static_selectorELNS0_4arch9wavefront6targetE1EEEvT1_
                                        ; -- End function
	.set _ZN7rocprim17ROCPRIM_400000_NS6detail17trampoline_kernelINS0_14default_configENS1_25partition_config_selectorILNS1_17partition_subalgoE5ElNS0_10empty_typeEbEEZZNS1_14partition_implILS5_5ELb0ES3_mN6hipcub16HIPCUB_304000_NS21CountingInputIteratorIllEEPS6_NSA_22TransformInputIteratorIb7NonZeroIdEPdlEENS0_5tupleIJPlS6_EEENSJ_IJSD_SD_EEES6_SK_JS6_EEE10hipError_tPvRmT3_T4_T5_T6_T7_T9_mT8_P12ihipStream_tbDpT10_ENKUlT_T0_E_clISt17integral_constantIbLb0EES16_EEDaS11_S12_EUlS11_E_NS1_11comp_targetILNS1_3genE3ELNS1_11target_archE908ELNS1_3gpuE7ELNS1_3repE0EEENS1_30default_config_static_selectorELNS0_4arch9wavefront6targetE1EEEvT1_.num_vgpr, 0
	.set _ZN7rocprim17ROCPRIM_400000_NS6detail17trampoline_kernelINS0_14default_configENS1_25partition_config_selectorILNS1_17partition_subalgoE5ElNS0_10empty_typeEbEEZZNS1_14partition_implILS5_5ELb0ES3_mN6hipcub16HIPCUB_304000_NS21CountingInputIteratorIllEEPS6_NSA_22TransformInputIteratorIb7NonZeroIdEPdlEENS0_5tupleIJPlS6_EEENSJ_IJSD_SD_EEES6_SK_JS6_EEE10hipError_tPvRmT3_T4_T5_T6_T7_T9_mT8_P12ihipStream_tbDpT10_ENKUlT_T0_E_clISt17integral_constantIbLb0EES16_EEDaS11_S12_EUlS11_E_NS1_11comp_targetILNS1_3genE3ELNS1_11target_archE908ELNS1_3gpuE7ELNS1_3repE0EEENS1_30default_config_static_selectorELNS0_4arch9wavefront6targetE1EEEvT1_.num_agpr, 0
	.set _ZN7rocprim17ROCPRIM_400000_NS6detail17trampoline_kernelINS0_14default_configENS1_25partition_config_selectorILNS1_17partition_subalgoE5ElNS0_10empty_typeEbEEZZNS1_14partition_implILS5_5ELb0ES3_mN6hipcub16HIPCUB_304000_NS21CountingInputIteratorIllEEPS6_NSA_22TransformInputIteratorIb7NonZeroIdEPdlEENS0_5tupleIJPlS6_EEENSJ_IJSD_SD_EEES6_SK_JS6_EEE10hipError_tPvRmT3_T4_T5_T6_T7_T9_mT8_P12ihipStream_tbDpT10_ENKUlT_T0_E_clISt17integral_constantIbLb0EES16_EEDaS11_S12_EUlS11_E_NS1_11comp_targetILNS1_3genE3ELNS1_11target_archE908ELNS1_3gpuE7ELNS1_3repE0EEENS1_30default_config_static_selectorELNS0_4arch9wavefront6targetE1EEEvT1_.numbered_sgpr, 0
	.set _ZN7rocprim17ROCPRIM_400000_NS6detail17trampoline_kernelINS0_14default_configENS1_25partition_config_selectorILNS1_17partition_subalgoE5ElNS0_10empty_typeEbEEZZNS1_14partition_implILS5_5ELb0ES3_mN6hipcub16HIPCUB_304000_NS21CountingInputIteratorIllEEPS6_NSA_22TransformInputIteratorIb7NonZeroIdEPdlEENS0_5tupleIJPlS6_EEENSJ_IJSD_SD_EEES6_SK_JS6_EEE10hipError_tPvRmT3_T4_T5_T6_T7_T9_mT8_P12ihipStream_tbDpT10_ENKUlT_T0_E_clISt17integral_constantIbLb0EES16_EEDaS11_S12_EUlS11_E_NS1_11comp_targetILNS1_3genE3ELNS1_11target_archE908ELNS1_3gpuE7ELNS1_3repE0EEENS1_30default_config_static_selectorELNS0_4arch9wavefront6targetE1EEEvT1_.num_named_barrier, 0
	.set _ZN7rocprim17ROCPRIM_400000_NS6detail17trampoline_kernelINS0_14default_configENS1_25partition_config_selectorILNS1_17partition_subalgoE5ElNS0_10empty_typeEbEEZZNS1_14partition_implILS5_5ELb0ES3_mN6hipcub16HIPCUB_304000_NS21CountingInputIteratorIllEEPS6_NSA_22TransformInputIteratorIb7NonZeroIdEPdlEENS0_5tupleIJPlS6_EEENSJ_IJSD_SD_EEES6_SK_JS6_EEE10hipError_tPvRmT3_T4_T5_T6_T7_T9_mT8_P12ihipStream_tbDpT10_ENKUlT_T0_E_clISt17integral_constantIbLb0EES16_EEDaS11_S12_EUlS11_E_NS1_11comp_targetILNS1_3genE3ELNS1_11target_archE908ELNS1_3gpuE7ELNS1_3repE0EEENS1_30default_config_static_selectorELNS0_4arch9wavefront6targetE1EEEvT1_.private_seg_size, 0
	.set _ZN7rocprim17ROCPRIM_400000_NS6detail17trampoline_kernelINS0_14default_configENS1_25partition_config_selectorILNS1_17partition_subalgoE5ElNS0_10empty_typeEbEEZZNS1_14partition_implILS5_5ELb0ES3_mN6hipcub16HIPCUB_304000_NS21CountingInputIteratorIllEEPS6_NSA_22TransformInputIteratorIb7NonZeroIdEPdlEENS0_5tupleIJPlS6_EEENSJ_IJSD_SD_EEES6_SK_JS6_EEE10hipError_tPvRmT3_T4_T5_T6_T7_T9_mT8_P12ihipStream_tbDpT10_ENKUlT_T0_E_clISt17integral_constantIbLb0EES16_EEDaS11_S12_EUlS11_E_NS1_11comp_targetILNS1_3genE3ELNS1_11target_archE908ELNS1_3gpuE7ELNS1_3repE0EEENS1_30default_config_static_selectorELNS0_4arch9wavefront6targetE1EEEvT1_.uses_vcc, 0
	.set _ZN7rocprim17ROCPRIM_400000_NS6detail17trampoline_kernelINS0_14default_configENS1_25partition_config_selectorILNS1_17partition_subalgoE5ElNS0_10empty_typeEbEEZZNS1_14partition_implILS5_5ELb0ES3_mN6hipcub16HIPCUB_304000_NS21CountingInputIteratorIllEEPS6_NSA_22TransformInputIteratorIb7NonZeroIdEPdlEENS0_5tupleIJPlS6_EEENSJ_IJSD_SD_EEES6_SK_JS6_EEE10hipError_tPvRmT3_T4_T5_T6_T7_T9_mT8_P12ihipStream_tbDpT10_ENKUlT_T0_E_clISt17integral_constantIbLb0EES16_EEDaS11_S12_EUlS11_E_NS1_11comp_targetILNS1_3genE3ELNS1_11target_archE908ELNS1_3gpuE7ELNS1_3repE0EEENS1_30default_config_static_selectorELNS0_4arch9wavefront6targetE1EEEvT1_.uses_flat_scratch, 0
	.set _ZN7rocprim17ROCPRIM_400000_NS6detail17trampoline_kernelINS0_14default_configENS1_25partition_config_selectorILNS1_17partition_subalgoE5ElNS0_10empty_typeEbEEZZNS1_14partition_implILS5_5ELb0ES3_mN6hipcub16HIPCUB_304000_NS21CountingInputIteratorIllEEPS6_NSA_22TransformInputIteratorIb7NonZeroIdEPdlEENS0_5tupleIJPlS6_EEENSJ_IJSD_SD_EEES6_SK_JS6_EEE10hipError_tPvRmT3_T4_T5_T6_T7_T9_mT8_P12ihipStream_tbDpT10_ENKUlT_T0_E_clISt17integral_constantIbLb0EES16_EEDaS11_S12_EUlS11_E_NS1_11comp_targetILNS1_3genE3ELNS1_11target_archE908ELNS1_3gpuE7ELNS1_3repE0EEENS1_30default_config_static_selectorELNS0_4arch9wavefront6targetE1EEEvT1_.has_dyn_sized_stack, 0
	.set _ZN7rocprim17ROCPRIM_400000_NS6detail17trampoline_kernelINS0_14default_configENS1_25partition_config_selectorILNS1_17partition_subalgoE5ElNS0_10empty_typeEbEEZZNS1_14partition_implILS5_5ELb0ES3_mN6hipcub16HIPCUB_304000_NS21CountingInputIteratorIllEEPS6_NSA_22TransformInputIteratorIb7NonZeroIdEPdlEENS0_5tupleIJPlS6_EEENSJ_IJSD_SD_EEES6_SK_JS6_EEE10hipError_tPvRmT3_T4_T5_T6_T7_T9_mT8_P12ihipStream_tbDpT10_ENKUlT_T0_E_clISt17integral_constantIbLb0EES16_EEDaS11_S12_EUlS11_E_NS1_11comp_targetILNS1_3genE3ELNS1_11target_archE908ELNS1_3gpuE7ELNS1_3repE0EEENS1_30default_config_static_selectorELNS0_4arch9wavefront6targetE1EEEvT1_.has_recursion, 0
	.set _ZN7rocprim17ROCPRIM_400000_NS6detail17trampoline_kernelINS0_14default_configENS1_25partition_config_selectorILNS1_17partition_subalgoE5ElNS0_10empty_typeEbEEZZNS1_14partition_implILS5_5ELb0ES3_mN6hipcub16HIPCUB_304000_NS21CountingInputIteratorIllEEPS6_NSA_22TransformInputIteratorIb7NonZeroIdEPdlEENS0_5tupleIJPlS6_EEENSJ_IJSD_SD_EEES6_SK_JS6_EEE10hipError_tPvRmT3_T4_T5_T6_T7_T9_mT8_P12ihipStream_tbDpT10_ENKUlT_T0_E_clISt17integral_constantIbLb0EES16_EEDaS11_S12_EUlS11_E_NS1_11comp_targetILNS1_3genE3ELNS1_11target_archE908ELNS1_3gpuE7ELNS1_3repE0EEENS1_30default_config_static_selectorELNS0_4arch9wavefront6targetE1EEEvT1_.has_indirect_call, 0
	.section	.AMDGPU.csdata,"",@progbits
; Kernel info:
; codeLenInByte = 0
; TotalNumSgprs: 4
; NumVgprs: 0
; ScratchSize: 0
; MemoryBound: 0
; FloatMode: 240
; IeeeMode: 1
; LDSByteSize: 0 bytes/workgroup (compile time only)
; SGPRBlocks: 0
; VGPRBlocks: 0
; NumSGPRsForWavesPerEU: 4
; NumVGPRsForWavesPerEU: 1
; Occupancy: 10
; WaveLimiterHint : 0
; COMPUTE_PGM_RSRC2:SCRATCH_EN: 0
; COMPUTE_PGM_RSRC2:USER_SGPR: 6
; COMPUTE_PGM_RSRC2:TRAP_HANDLER: 0
; COMPUTE_PGM_RSRC2:TGID_X_EN: 1
; COMPUTE_PGM_RSRC2:TGID_Y_EN: 0
; COMPUTE_PGM_RSRC2:TGID_Z_EN: 0
; COMPUTE_PGM_RSRC2:TIDIG_COMP_CNT: 0
	.section	.text._ZN7rocprim17ROCPRIM_400000_NS6detail17trampoline_kernelINS0_14default_configENS1_25partition_config_selectorILNS1_17partition_subalgoE5ElNS0_10empty_typeEbEEZZNS1_14partition_implILS5_5ELb0ES3_mN6hipcub16HIPCUB_304000_NS21CountingInputIteratorIllEEPS6_NSA_22TransformInputIteratorIb7NonZeroIdEPdlEENS0_5tupleIJPlS6_EEENSJ_IJSD_SD_EEES6_SK_JS6_EEE10hipError_tPvRmT3_T4_T5_T6_T7_T9_mT8_P12ihipStream_tbDpT10_ENKUlT_T0_E_clISt17integral_constantIbLb0EES16_EEDaS11_S12_EUlS11_E_NS1_11comp_targetILNS1_3genE2ELNS1_11target_archE906ELNS1_3gpuE6ELNS1_3repE0EEENS1_30default_config_static_selectorELNS0_4arch9wavefront6targetE1EEEvT1_,"axG",@progbits,_ZN7rocprim17ROCPRIM_400000_NS6detail17trampoline_kernelINS0_14default_configENS1_25partition_config_selectorILNS1_17partition_subalgoE5ElNS0_10empty_typeEbEEZZNS1_14partition_implILS5_5ELb0ES3_mN6hipcub16HIPCUB_304000_NS21CountingInputIteratorIllEEPS6_NSA_22TransformInputIteratorIb7NonZeroIdEPdlEENS0_5tupleIJPlS6_EEENSJ_IJSD_SD_EEES6_SK_JS6_EEE10hipError_tPvRmT3_T4_T5_T6_T7_T9_mT8_P12ihipStream_tbDpT10_ENKUlT_T0_E_clISt17integral_constantIbLb0EES16_EEDaS11_S12_EUlS11_E_NS1_11comp_targetILNS1_3genE2ELNS1_11target_archE906ELNS1_3gpuE6ELNS1_3repE0EEENS1_30default_config_static_selectorELNS0_4arch9wavefront6targetE1EEEvT1_,comdat
	.protected	_ZN7rocprim17ROCPRIM_400000_NS6detail17trampoline_kernelINS0_14default_configENS1_25partition_config_selectorILNS1_17partition_subalgoE5ElNS0_10empty_typeEbEEZZNS1_14partition_implILS5_5ELb0ES3_mN6hipcub16HIPCUB_304000_NS21CountingInputIteratorIllEEPS6_NSA_22TransformInputIteratorIb7NonZeroIdEPdlEENS0_5tupleIJPlS6_EEENSJ_IJSD_SD_EEES6_SK_JS6_EEE10hipError_tPvRmT3_T4_T5_T6_T7_T9_mT8_P12ihipStream_tbDpT10_ENKUlT_T0_E_clISt17integral_constantIbLb0EES16_EEDaS11_S12_EUlS11_E_NS1_11comp_targetILNS1_3genE2ELNS1_11target_archE906ELNS1_3gpuE6ELNS1_3repE0EEENS1_30default_config_static_selectorELNS0_4arch9wavefront6targetE1EEEvT1_ ; -- Begin function _ZN7rocprim17ROCPRIM_400000_NS6detail17trampoline_kernelINS0_14default_configENS1_25partition_config_selectorILNS1_17partition_subalgoE5ElNS0_10empty_typeEbEEZZNS1_14partition_implILS5_5ELb0ES3_mN6hipcub16HIPCUB_304000_NS21CountingInputIteratorIllEEPS6_NSA_22TransformInputIteratorIb7NonZeroIdEPdlEENS0_5tupleIJPlS6_EEENSJ_IJSD_SD_EEES6_SK_JS6_EEE10hipError_tPvRmT3_T4_T5_T6_T7_T9_mT8_P12ihipStream_tbDpT10_ENKUlT_T0_E_clISt17integral_constantIbLb0EES16_EEDaS11_S12_EUlS11_E_NS1_11comp_targetILNS1_3genE2ELNS1_11target_archE906ELNS1_3gpuE6ELNS1_3repE0EEENS1_30default_config_static_selectorELNS0_4arch9wavefront6targetE1EEEvT1_
	.globl	_ZN7rocprim17ROCPRIM_400000_NS6detail17trampoline_kernelINS0_14default_configENS1_25partition_config_selectorILNS1_17partition_subalgoE5ElNS0_10empty_typeEbEEZZNS1_14partition_implILS5_5ELb0ES3_mN6hipcub16HIPCUB_304000_NS21CountingInputIteratorIllEEPS6_NSA_22TransformInputIteratorIb7NonZeroIdEPdlEENS0_5tupleIJPlS6_EEENSJ_IJSD_SD_EEES6_SK_JS6_EEE10hipError_tPvRmT3_T4_T5_T6_T7_T9_mT8_P12ihipStream_tbDpT10_ENKUlT_T0_E_clISt17integral_constantIbLb0EES16_EEDaS11_S12_EUlS11_E_NS1_11comp_targetILNS1_3genE2ELNS1_11target_archE906ELNS1_3gpuE6ELNS1_3repE0EEENS1_30default_config_static_selectorELNS0_4arch9wavefront6targetE1EEEvT1_
	.p2align	8
	.type	_ZN7rocprim17ROCPRIM_400000_NS6detail17trampoline_kernelINS0_14default_configENS1_25partition_config_selectorILNS1_17partition_subalgoE5ElNS0_10empty_typeEbEEZZNS1_14partition_implILS5_5ELb0ES3_mN6hipcub16HIPCUB_304000_NS21CountingInputIteratorIllEEPS6_NSA_22TransformInputIteratorIb7NonZeroIdEPdlEENS0_5tupleIJPlS6_EEENSJ_IJSD_SD_EEES6_SK_JS6_EEE10hipError_tPvRmT3_T4_T5_T6_T7_T9_mT8_P12ihipStream_tbDpT10_ENKUlT_T0_E_clISt17integral_constantIbLb0EES16_EEDaS11_S12_EUlS11_E_NS1_11comp_targetILNS1_3genE2ELNS1_11target_archE906ELNS1_3gpuE6ELNS1_3repE0EEENS1_30default_config_static_selectorELNS0_4arch9wavefront6targetE1EEEvT1_,@function
_ZN7rocprim17ROCPRIM_400000_NS6detail17trampoline_kernelINS0_14default_configENS1_25partition_config_selectorILNS1_17partition_subalgoE5ElNS0_10empty_typeEbEEZZNS1_14partition_implILS5_5ELb0ES3_mN6hipcub16HIPCUB_304000_NS21CountingInputIteratorIllEEPS6_NSA_22TransformInputIteratorIb7NonZeroIdEPdlEENS0_5tupleIJPlS6_EEENSJ_IJSD_SD_EEES6_SK_JS6_EEE10hipError_tPvRmT3_T4_T5_T6_T7_T9_mT8_P12ihipStream_tbDpT10_ENKUlT_T0_E_clISt17integral_constantIbLb0EES16_EEDaS11_S12_EUlS11_E_NS1_11comp_targetILNS1_3genE2ELNS1_11target_archE906ELNS1_3gpuE6ELNS1_3repE0EEENS1_30default_config_static_selectorELNS0_4arch9wavefront6targetE1EEEvT1_: ; @_ZN7rocprim17ROCPRIM_400000_NS6detail17trampoline_kernelINS0_14default_configENS1_25partition_config_selectorILNS1_17partition_subalgoE5ElNS0_10empty_typeEbEEZZNS1_14partition_implILS5_5ELb0ES3_mN6hipcub16HIPCUB_304000_NS21CountingInputIteratorIllEEPS6_NSA_22TransformInputIteratorIb7NonZeroIdEPdlEENS0_5tupleIJPlS6_EEENSJ_IJSD_SD_EEES6_SK_JS6_EEE10hipError_tPvRmT3_T4_T5_T6_T7_T9_mT8_P12ihipStream_tbDpT10_ENKUlT_T0_E_clISt17integral_constantIbLb0EES16_EEDaS11_S12_EUlS11_E_NS1_11comp_targetILNS1_3genE2ELNS1_11target_archE906ELNS1_3gpuE6ELNS1_3repE0EEENS1_30default_config_static_selectorELNS0_4arch9wavefront6targetE1EEEvT1_
; %bb.0:
	s_load_dwordx4 s[0:3], s[4:5], 0x8
	s_load_dwordx2 s[8:9], s[4:5], 0x58
	s_load_dwordx4 s[12:15], s[4:5], 0x48
	s_load_dwordx2 s[18:19], s[4:5], 0x20
	s_load_dword s7, s[4:5], 0x70
	s_waitcnt lgkmcnt(0)
	s_add_u32 s22, s2, s0
	s_addc_u32 s23, s3, s1
	s_load_dwordx2 s[10:11], s[14:15], 0x0
	s_mul_i32 s0, s6, 0x700
	s_add_i32 s16, s7, -1
	s_mulk_i32 s7, 0x700
	s_add_u32 s14, s2, s7
	s_addc_u32 s15, s3, 0
	v_mov_b32_e32 v1, s14
	v_mov_b32_e32 v2, s15
	v_cmp_le_u64_e32 vcc, s[8:9], v[1:2]
	s_cmp_eq_u32 s6, s16
	s_cselect_b64 s[14:15], -1, 0
	s_and_b64 s[16:17], s[14:15], vcc
	s_xor_b64 s[16:17], s[16:17], -1
	s_mov_b32 s1, 0
	s_mov_b64 s[20:21], -1
	s_and_b64 vcc, exec, s[16:17]
	s_cbranch_vccz .LBB325_2
; %bb.1:
	s_add_u32 s9, s22, s0
	s_addc_u32 s20, s23, 0
	v_mov_b32_e32 v2, s20
	v_add_co_u32_e32 v1, vcc, s9, v0
	v_addc_co_u32_e32 v2, vcc, 0, v2, vcc
	v_add_co_u32_e32 v3, vcc, 0x100, v1
	v_addc_co_u32_e32 v4, vcc, 0, v2, vcc
	;; [unrolled: 2-line block ×6, first 2 shown]
	v_add_co_u32_e32 v13, vcc, 0x600, v1
	v_lshlrev_b32_e32 v15, 3, v0
	v_addc_co_u32_e32 v14, vcc, 0, v2, vcc
	ds_write2st64_b64 v15, v[1:2], v[3:4] offset1:4
	ds_write2st64_b64 v15, v[5:6], v[7:8] offset0:8 offset1:12
	ds_write2st64_b64 v15, v[9:10], v[11:12] offset0:16 offset1:20
	ds_write_b64 v15, v[13:14] offset:12288
	s_waitcnt lgkmcnt(0)
	s_barrier
	s_mov_b64 s[20:21], 0
.LBB325_2:
	s_andn2_b64 vcc, exec, s[20:21]
	s_cbranch_vccnz .LBB325_4
; %bb.3:
	s_add_u32 s9, s22, s0
	s_addc_u32 s20, s23, 0
	v_mov_b32_e32 v2, s20
	v_add_co_u32_e32 v1, vcc, s9, v0
	v_addc_co_u32_e32 v2, vcc, 0, v2, vcc
	v_or_b32_e32 v3, 0x100, v0
	v_mov_b32_e32 v4, s20
	v_add_co_u32_e32 v3, vcc, s9, v3
	v_addc_co_u32_e32 v4, vcc, 0, v4, vcc
	v_or_b32_e32 v5, 0x200, v0
	;; [unrolled: 4-line block ×6, first 2 shown]
	v_mov_b32_e32 v14, s20
	v_add_co_u32_e32 v13, vcc, s9, v13
	v_lshlrev_b32_e32 v15, 3, v0
	v_addc_co_u32_e32 v14, vcc, 0, v14, vcc
	ds_write2st64_b64 v15, v[1:2], v[3:4] offset1:4
	ds_write2st64_b64 v15, v[5:6], v[7:8] offset0:8 offset1:12
	ds_write2st64_b64 v15, v[9:10], v[11:12] offset0:16 offset1:20
	ds_write_b64 v15, v[13:14] offset:12288
	s_waitcnt lgkmcnt(0)
	s_barrier
.LBB325_4:
	v_mul_u32_u24_e32 v1, 7, v0
	v_lshlrev_b32_e32 v13, 3, v1
	s_waitcnt lgkmcnt(0)
	ds_read_b64 v[21:22], v13 offset:48
	ds_read2_b64 v[1:4], v13 offset0:4 offset1:5
	ds_read2_b64 v[5:8], v13 offset0:2 offset1:3
	ds_read2_b64 v[9:12], v13 offset1:1
	s_lshl_b64 s[20:21], s[2:3], 3
	s_add_u32 s3, s18, s20
	s_addc_u32 s9, s19, s21
	s_lshl_b64 s[0:1], s[0:1], 3
	s_add_u32 s0, s3, s0
	s_addc_u32 s1, s9, s1
	s_mov_b64 s[20:21], -1
	s_and_b64 vcc, exec, s[16:17]
	s_waitcnt lgkmcnt(0)
	s_barrier
	s_cbranch_vccz .LBB325_6
; %bb.5:
	v_lshlrev_b32_e32 v20, 3, v0
	v_mov_b32_e32 v14, s1
	v_add_co_u32_e32 v31, vcc, s0, v20
	v_addc_co_u32_e32 v32, vcc, 0, v14, vcc
	v_add_co_u32_e32 v14, vcc, 0x1000, v31
	v_addc_co_u32_e32 v15, vcc, 0, v32, vcc
	global_load_dwordx2 v[16:17], v20, s[0:1]
	global_load_dwordx2 v[18:19], v20, s[0:1] offset:2048
	global_load_dwordx2 v[23:24], v[14:15], off
	global_load_dwordx2 v[25:26], v[14:15], off offset:2048
	v_add_co_u32_e32 v14, vcc, 0x2000, v31
	v_addc_co_u32_e32 v15, vcc, 0, v32, vcc
	global_load_dwordx2 v[27:28], v[14:15], off
	global_load_dwordx2 v[29:30], v[14:15], off offset:2048
	v_add_co_u32_e32 v14, vcc, 0x3000, v31
	v_addc_co_u32_e32 v15, vcc, 0, v32, vcc
	global_load_dwordx2 v[14:15], v[14:15], off
	s_mov_b64 s[20:21], 0
	s_waitcnt vmcnt(6)
	v_cmp_neq_f64_e32 vcc, 0, v[16:17]
	v_cndmask_b32_e64 v16, 0, 1, vcc
	s_waitcnt vmcnt(5)
	v_cmp_neq_f64_e32 vcc, 0, v[18:19]
	v_cndmask_b32_e64 v17, 0, 1, vcc
	s_waitcnt vmcnt(4)
	v_cmp_neq_f64_e32 vcc, 0, v[23:24]
	ds_write_b8 v0, v16
	ds_write_b8 v0, v17 offset:256
	v_cndmask_b32_e64 v16, 0, 1, vcc
	s_waitcnt vmcnt(3)
	v_cmp_neq_f64_e32 vcc, 0, v[25:26]
	v_cndmask_b32_e64 v17, 0, 1, vcc
	s_waitcnt vmcnt(2)
	v_cmp_neq_f64_e32 vcc, 0, v[27:28]
	ds_write_b8 v0, v16 offset:512
	ds_write_b8 v0, v17 offset:768
	v_cndmask_b32_e64 v18, 0, 1, vcc
	s_waitcnt vmcnt(1)
	v_cmp_neq_f64_e32 vcc, 0, v[29:30]
	v_cndmask_b32_e64 v19, 0, 1, vcc
	s_waitcnt vmcnt(0)
	v_cmp_neq_f64_e32 vcc, 0, v[14:15]
	v_cndmask_b32_e64 v14, 0, 1, vcc
	ds_write_b8 v0, v18 offset:1024
	ds_write_b8 v0, v19 offset:1280
	;; [unrolled: 1-line block ×3, first 2 shown]
	s_waitcnt lgkmcnt(0)
	s_barrier
.LBB325_6:
	s_load_dwordx2 s[18:19], s[4:5], 0x68
	s_andn2_b64 vcc, exec, s[20:21]
	s_cbranch_vccnz .LBB325_22
; %bb.7:
	s_add_i32 s7, s7, s2
	s_sub_i32 s7, s8, s7
	s_addk_i32 s7, 0x700
	v_mov_b32_e32 v14, 0
	v_cmp_gt_u32_e32 vcc, s7, v0
	s_mov_b32 s8, 0
	v_mov_b32_e32 v16, v14
	v_mov_b32_e32 v15, v14
	s_and_saveexec_b64 s[2:3], vcc
	s_cbranch_execz .LBB325_9
; %bb.8:
	v_lshlrev_b32_e32 v14, 3, v0
	global_load_dwordx2 v[14:15], v14, s[0:1]
	v_mov_b32_e32 v16, s8
	s_waitcnt vmcnt(0)
	v_cmp_neq_f64_e32 vcc, 0, v[14:15]
	v_cndmask_b32_e64 v14, 0, 1, vcc
	v_mov_b32_e32 v15, v14
.LBB325_9:
	s_or_b64 exec, exec, s[2:3]
	v_or_b32_e32 v17, 0x100, v0
	v_cmp_gt_u32_e32 vcc, s7, v17
	s_and_saveexec_b64 s[2:3], vcc
	s_cbranch_execz .LBB325_11
; %bb.10:
	v_lshlrev_b32_e32 v17, 3, v0
	global_load_dwordx2 v[17:18], v17, s[0:1] offset:2048
	v_mov_b32_e32 v20, 8
	s_movk_i32 s8, 0xff
	v_lshrrev_b32_e32 v19, 24, v14
	v_lshrrev_b32_sdwa v20, v20, v16 dst_sel:BYTE_1 dst_unused:UNUSED_PAD src0_sel:DWORD src1_sel:DWORD
	v_bfe_u32 v23, v16, 16, 8
	v_lshlrev_b16_e32 v19, 8, v19
	v_and_b32_sdwa v24, v14, s8 dst_sel:DWORD dst_unused:UNUSED_PAD src0_sel:WORD_1 src1_sel:DWORD
	v_or_b32_sdwa v16, v16, v20 dst_sel:DWORD dst_unused:UNUSED_PAD src0_sel:BYTE_0 src1_sel:DWORD
	v_or_b32_sdwa v19, v24, v19 dst_sel:WORD_1 dst_unused:UNUSED_PAD src0_sel:DWORD src1_sel:DWORD
	v_and_b32_e32 v16, 0xffff, v16
	v_lshl_or_b32 v16, v23, 16, v16
	s_waitcnt vmcnt(0)
	v_cmp_neq_f64_e32 vcc, 0, v[17:18]
	v_cndmask_b32_e64 v17, 0, 1, vcc
	v_lshlrev_b16_e32 v17, 8, v17
	v_or_b32_sdwa v14, v14, v17 dst_sel:DWORD dst_unused:UNUSED_PAD src0_sel:BYTE_0 src1_sel:DWORD
	v_or_b32_sdwa v14, v14, v19 dst_sel:DWORD dst_unused:UNUSED_PAD src0_sel:WORD_0 src1_sel:DWORD
.LBB325_11:
	s_or_b64 exec, exec, s[2:3]
	v_or_b32_e32 v17, 0x200, v0
	v_cmp_gt_u32_e32 vcc, s7, v17
	s_and_saveexec_b64 s[2:3], vcc
	s_cbranch_execz .LBB325_13
; %bb.12:
	v_lshlrev_b32_e32 v17, 3, v17
	global_load_dwordx2 v[17:18], v17, s[0:1]
	v_mov_b32_e32 v19, 8
	v_lshrrev_b32_e32 v23, 24, v14
	v_lshrrev_b32_sdwa v19, v19, v16 dst_sel:BYTE_1 dst_unused:UNUSED_PAD src0_sel:DWORD src1_sel:DWORD
	v_bfe_u32 v20, v16, 16, 8
	s_mov_b32 s8, 0xc0c0104
	v_lshlrev_b16_e32 v23, 8, v23
	v_or_b32_sdwa v16, v16, v19 dst_sel:DWORD dst_unused:UNUSED_PAD src0_sel:BYTE_0 src1_sel:DWORD
	v_and_b32_e32 v16, 0xffff, v16
	v_perm_b32 v14, v14, v14, s8
	v_lshl_or_b32 v16, v20, 16, v16
	s_waitcnt vmcnt(0)
	v_cmp_neq_f64_e32 vcc, 0, v[17:18]
	v_cndmask_b32_e64 v17, 0, 1, vcc
	v_or_b32_sdwa v17, v17, v23 dst_sel:WORD_1 dst_unused:UNUSED_PAD src0_sel:DWORD src1_sel:DWORD
	v_or_b32_e32 v14, v14, v17
.LBB325_13:
	s_or_b64 exec, exec, s[2:3]
	v_or_b32_e32 v17, 0x300, v0
	v_cmp_gt_u32_e32 vcc, s7, v17
	s_and_saveexec_b64 s[2:3], vcc
	s_cbranch_execz .LBB325_15
; %bb.14:
	v_lshlrev_b32_e32 v17, 3, v17
	global_load_dwordx2 v[17:18], v17, s[0:1]
	v_mov_b32_e32 v19, 8
	s_movk_i32 s8, 0xff
	v_lshrrev_b32_sdwa v19, v19, v16 dst_sel:BYTE_1 dst_unused:UNUSED_PAD src0_sel:DWORD src1_sel:DWORD
	v_bfe_u32 v20, v16, 16, 8
	s_mov_b32 s9, 0xc0c0104
	v_and_b32_sdwa v23, v14, s8 dst_sel:DWORD dst_unused:UNUSED_PAD src0_sel:WORD_1 src1_sel:DWORD
	v_or_b32_sdwa v16, v16, v19 dst_sel:DWORD dst_unused:UNUSED_PAD src0_sel:BYTE_0 src1_sel:DWORD
	v_and_b32_e32 v16, 0xffff, v16
	v_perm_b32 v14, v14, v14, s9
	v_lshl_or_b32 v16, v20, 16, v16
	s_waitcnt vmcnt(0)
	v_cmp_neq_f64_e32 vcc, 0, v[17:18]
	v_cndmask_b32_e64 v17, 0, 1, vcc
	v_lshlrev_b16_e32 v17, 8, v17
	v_or_b32_sdwa v17, v23, v17 dst_sel:WORD_1 dst_unused:UNUSED_PAD src0_sel:DWORD src1_sel:DWORD
	v_or_b32_e32 v14, v14, v17
.LBB325_15:
	s_or_b64 exec, exec, s[2:3]
	v_or_b32_e32 v17, 0x400, v0
	v_cmp_gt_u32_e32 vcc, s7, v17
	s_and_saveexec_b64 s[2:3], vcc
	s_cbranch_execz .LBB325_17
; %bb.16:
	v_lshlrev_b32_e32 v17, 3, v17
	global_load_dwordx2 v[17:18], v17, s[0:1]
	v_mov_b32_e32 v19, 8
	v_bfe_u32 v20, v16, 16, 8
	v_lshrrev_b32_sdwa v16, v19, v16 dst_sel:BYTE_1 dst_unused:UNUSED_PAD src0_sel:DWORD src1_sel:DWORD
	s_mov_b32 s8, 0x3020104
	v_perm_b32 v14, v14, v14, s8
	s_waitcnt vmcnt(0)
	v_cmp_neq_f64_e32 vcc, 0, v[17:18]
	v_cndmask_b32_e64 v17, 0, 1, vcc
	v_or_b32_e32 v16, v17, v16
	v_and_b32_e32 v16, 0xffff, v16
	v_lshl_or_b32 v16, v20, 16, v16
.LBB325_17:
	s_or_b64 exec, exec, s[2:3]
	v_or_b32_e32 v17, 0x500, v0
	v_cmp_gt_u32_e32 vcc, s7, v17
	s_and_saveexec_b64 s[2:3], vcc
	s_cbranch_execz .LBB325_19
; %bb.18:
	v_lshlrev_b32_e32 v17, 3, v17
	global_load_dwordx2 v[17:18], v17, s[0:1]
	v_bfe_u32 v19, v16, 16, 8
	s_mov_b32 s8, 0x3020104
	v_perm_b32 v14, v14, v14, s8
	s_waitcnt vmcnt(0)
	v_cmp_neq_f64_e32 vcc, 0, v[17:18]
	v_cndmask_b32_e64 v17, 0, 1, vcc
	v_lshlrev_b16_e32 v17, 8, v17
	v_or_b32_sdwa v16, v16, v17 dst_sel:DWORD dst_unused:UNUSED_PAD src0_sel:BYTE_0 src1_sel:DWORD
	v_and_b32_e32 v16, 0xffff, v16
	v_lshl_or_b32 v16, v19, 16, v16
.LBB325_19:
	s_or_b64 exec, exec, s[2:3]
	v_or_b32_e32 v17, 0x600, v0
	v_cmp_gt_u32_e32 vcc, s7, v17
	s_and_saveexec_b64 s[2:3], vcc
	s_cbranch_execz .LBB325_21
; %bb.20:
	v_lshlrev_b32_e32 v17, 3, v17
	global_load_dwordx2 v[17:18], v17, s[0:1]
	v_mov_b32_e32 v19, 8
	v_lshrrev_b32_sdwa v19, v19, v16 dst_sel:BYTE_1 dst_unused:UNUSED_PAD src0_sel:DWORD src1_sel:DWORD
	v_or_b32_sdwa v16, v16, v19 dst_sel:DWORD dst_unused:UNUSED_PAD src0_sel:BYTE_0 src1_sel:DWORD
	s_mov_b32 s0, 0x3020104
	v_and_b32_e32 v16, 0xffff, v16
	v_perm_b32 v14, v14, v14, s0
	s_waitcnt vmcnt(0)
	v_cmp_neq_f64_e32 vcc, 0, v[17:18]
	v_cndmask_b32_e64 v17, 0, 1, vcc
	v_lshl_or_b32 v16, v17, 16, v16
.LBB325_21:
	s_or_b64 exec, exec, s[2:3]
	ds_write_b8 v0, v15
	v_lshrrev_b32_e32 v15, 8, v14
	ds_write_b8 v0, v15 offset:256
	ds_write_b8_d16_hi v0, v14 offset:512
	v_lshrrev_b32_e32 v14, 24, v14
	ds_write_b8 v0, v14 offset:768
	ds_write_b8 v0, v16 offset:1024
	v_lshrrev_b32_e32 v14, 8, v16
	ds_write_b8 v0, v14 offset:1280
	ds_write_b8_d16_hi v0, v16 offset:1536
	s_waitcnt lgkmcnt(0)
	s_barrier
.LBB325_22:
	s_movk_i32 s0, 0xffcf
	v_mad_i32_i24 v43, v0, s0, v13
	s_waitcnt lgkmcnt(0)
	ds_read_u8 v13, v43
	ds_read_u8 v15, v43 offset:1
	ds_read_u8 v16, v43 offset:2
	;; [unrolled: 1-line block ×6, first 2 shown]
	s_waitcnt lgkmcnt(6)
	v_and_b32_e32 v41, 1, v13
	s_waitcnt lgkmcnt(5)
	v_and_b32_e32 v40, 1, v15
	;; [unrolled: 2-line block ×4, first 2 shown]
	v_add3_u32 v13, v40, v41, v39
	s_waitcnt lgkmcnt(2)
	v_and_b32_e32 v37, 1, v18
	v_add_co_u32_e32 v13, vcc, v13, v38
	v_addc_co_u32_e64 v15, s[0:1], 0, 0, vcc
	v_add_co_u32_e32 v13, vcc, v13, v37
	s_waitcnt lgkmcnt(1)
	v_and_b32_e32 v36, 1, v19
	v_addc_co_u32_e32 v15, vcc, 0, v15, vcc
	v_add_co_u32_e32 v13, vcc, v13, v36
	s_waitcnt lgkmcnt(0)
	v_and_b32_e32 v35, 1, v20
	v_addc_co_u32_e32 v15, vcc, 0, v15, vcc
	v_add_co_u32_e32 v23, vcc, v13, v35
	v_mbcnt_lo_u32_b32 v13, -1, 0
	v_mbcnt_hi_u32_b32 v42, -1, v13
	v_and_b32_e32 v44, 15, v42
	s_cmp_lg_u32 s6, 0
	v_mov_b32_e32 v14, 0
	v_addc_co_u32_e32 v24, vcc, 0, v15, vcc
	v_cmp_ne_u32_e64 s[0:1], 0, v44
	s_barrier
	s_cbranch_scc0 .LBB325_78
; %bb.23:
	v_mov_b32_e32 v15, v23
	v_mov_b32_dpp v13, v23 row_shr:1 row_mask:0xf bank_mask:0xf
	v_mov_b32_dpp v18, v14 row_shr:1 row_mask:0xf bank_mask:0xf
	v_mov_b32_e32 v17, v23
	v_mov_b32_e32 v16, v24
	s_and_saveexec_b64 s[2:3], s[0:1]
; %bb.24:
	v_add_co_u32_e32 v17, vcc, v23, v13
	v_addc_co_u32_e32 v14, vcc, 0, v24, vcc
	v_add_co_u32_e32 v13, vcc, 0, v17
	v_addc_co_u32_e32 v14, vcc, v18, v14, vcc
	v_mov_b32_e32 v16, v14
	v_mov_b32_e32 v15, v13
; %bb.25:
	s_or_b64 exec, exec, s[2:3]
	v_mov_b32_dpp v13, v17 row_shr:2 row_mask:0xf bank_mask:0xf
	v_mov_b32_dpp v18, v14 row_shr:2 row_mask:0xf bank_mask:0xf
	v_cmp_lt_u32_e32 vcc, 1, v44
	s_and_saveexec_b64 s[2:3], vcc
; %bb.26:
	v_add_co_u32_e32 v17, vcc, v15, v13
	v_addc_co_u32_e32 v14, vcc, 0, v16, vcc
	v_add_co_u32_e32 v13, vcc, 0, v17
	v_addc_co_u32_e32 v14, vcc, v18, v14, vcc
	v_mov_b32_e32 v16, v14
	v_mov_b32_e32 v15, v13
; %bb.27:
	s_or_b64 exec, exec, s[2:3]
	v_mov_b32_dpp v13, v17 row_shr:4 row_mask:0xf bank_mask:0xf
	v_mov_b32_dpp v18, v14 row_shr:4 row_mask:0xf bank_mask:0xf
	v_cmp_lt_u32_e32 vcc, 3, v44
	s_and_saveexec_b64 s[2:3], vcc
	;; [unrolled: 13-line block ×3, first 2 shown]
; %bb.30:
	v_add_co_u32_e32 v17, vcc, v15, v13
	v_addc_co_u32_e32 v14, vcc, 0, v16, vcc
	v_add_co_u32_e32 v13, vcc, 0, v17
	v_addc_co_u32_e32 v14, vcc, v18, v14, vcc
	v_mov_b32_e32 v16, v14
	v_mov_b32_e32 v15, v13
; %bb.31:
	s_or_b64 exec, exec, s[2:3]
	v_and_b32_e32 v19, 16, v42
	v_mov_b32_dpp v13, v17 row_bcast:15 row_mask:0xf bank_mask:0xf
	v_mov_b32_dpp v18, v14 row_bcast:15 row_mask:0xf bank_mask:0xf
	v_cmp_ne_u32_e32 vcc, 0, v19
	s_and_saveexec_b64 s[2:3], vcc
; %bb.32:
	v_add_co_u32_e32 v17, vcc, v15, v13
	v_addc_co_u32_e32 v14, vcc, 0, v16, vcc
	v_add_co_u32_e32 v13, vcc, 0, v17
	v_addc_co_u32_e32 v14, vcc, v18, v14, vcc
	v_mov_b32_e32 v16, v14
	v_mov_b32_e32 v15, v13
; %bb.33:
	s_or_b64 exec, exec, s[2:3]
	v_mov_b32_dpp v13, v17 row_bcast:31 row_mask:0xf bank_mask:0xf
	v_mov_b32_dpp v18, v14 row_bcast:31 row_mask:0xf bank_mask:0xf
	v_cmp_lt_u32_e32 vcc, 31, v42
	s_and_saveexec_b64 s[2:3], vcc
; %bb.34:
	v_add_co_u32_e32 v17, vcc, v15, v13
	v_addc_co_u32_e32 v14, vcc, 0, v16, vcc
	v_add_co_u32_e32 v13, vcc, 0, v17
	v_addc_co_u32_e32 v14, vcc, v18, v14, vcc
	v_mov_b32_e32 v16, v14
	v_mov_b32_e32 v15, v13
; %bb.35:
	s_or_b64 exec, exec, s[2:3]
	v_or_b32_e32 v18, 63, v0
	v_lshrrev_b32_e32 v13, 6, v0
	v_cmp_eq_u32_e32 vcc, v0, v18
	s_and_saveexec_b64 s[2:3], vcc
; %bb.36:
	v_lshlrev_b32_e32 v18, 3, v13
	ds_write_b64 v18, v[15:16]
; %bb.37:
	s_or_b64 exec, exec, s[2:3]
	v_cmp_gt_u32_e32 vcc, 4, v0
	s_waitcnt lgkmcnt(0)
	s_barrier
	s_and_saveexec_b64 s[2:3], vcc
	s_cbranch_execz .LBB325_41
; %bb.38:
	v_lshlrev_b32_e32 v18, 3, v0
	ds_read_b64 v[15:16], v18
	v_and_b32_e32 v19, 3, v42
	v_cmp_ne_u32_e32 vcc, 0, v19
	s_waitcnt lgkmcnt(0)
	v_mov_b32_dpp v26, v15 row_shr:1 row_mask:0xf bank_mask:0xf
	v_mov_b32_dpp v25, v16 row_shr:1 row_mask:0xf bank_mask:0xf
	v_mov_b32_e32 v20, v15
	s_and_saveexec_b64 s[8:9], vcc
; %bb.39:
	v_add_co_u32_e32 v20, vcc, v15, v26
	v_addc_co_u32_e32 v16, vcc, 0, v16, vcc
	v_add_co_u32_e32 v15, vcc, 0, v20
	v_addc_co_u32_e32 v16, vcc, v25, v16, vcc
; %bb.40:
	s_or_b64 exec, exec, s[8:9]
	v_mov_b32_dpp v20, v20 row_shr:2 row_mask:0xf bank_mask:0xf
	v_add_co_u32_e32 v20, vcc, v15, v20
	v_addc_co_u32_e32 v26, vcc, 0, v16, vcc
	v_mov_b32_dpp v25, v16 row_shr:2 row_mask:0xf bank_mask:0xf
	v_add_co_u32_e32 v20, vcc, 0, v20
	v_addc_co_u32_e32 v25, vcc, v26, v25, vcc
	v_cmp_lt_u32_e32 vcc, 1, v19
	v_cndmask_b32_e32 v16, v16, v25, vcc
	v_cndmask_b32_e32 v15, v15, v20, vcc
	ds_write_b64 v18, v[15:16]
.LBB325_41:
	s_or_b64 exec, exec, s[2:3]
	v_cmp_gt_u32_e32 vcc, 64, v0
	v_cmp_lt_u32_e64 s[2:3], 63, v0
	s_waitcnt lgkmcnt(0)
	s_barrier
                                        ; implicit-def: $vgpr25_vgpr26
	s_and_saveexec_b64 s[8:9], s[2:3]
	s_cbranch_execz .LBB325_43
; %bb.42:
	v_lshl_add_u32 v13, v13, 3, -8
	ds_read_b64 v[25:26], v13
	s_waitcnt lgkmcnt(0)
	v_add_co_u32_e64 v17, s[2:3], v17, v25
	v_addc_co_u32_e64 v14, s[2:3], v14, v26, s[2:3]
.LBB325_43:
	s_or_b64 exec, exec, s[8:9]
	v_subrev_co_u32_e64 v13, s[2:3], 1, v42
	v_and_b32_e32 v15, 64, v42
	v_cmp_lt_i32_e64 s[8:9], v13, v15
	v_cndmask_b32_e64 v13, v13, v42, s[8:9]
	v_lshlrev_b32_e32 v13, 2, v13
	ds_bpermute_b32 v33, v13, v17
	ds_bpermute_b32 v34, v13, v14
	s_and_saveexec_b64 s[8:9], vcc
	s_cbranch_execz .LBB325_83
; %bb.44:
	v_mov_b32_e32 v16, 0
	ds_read_b64 v[13:14], v16 offset:24
	s_and_saveexec_b64 s[20:21], s[2:3]
	s_cbranch_execz .LBB325_46
; %bb.45:
	s_add_i32 s22, s6, 64
	s_mov_b32 s23, 0
	s_lshl_b64 s[22:23], s[22:23], 4
	s_add_u32 s22, s18, s22
	s_addc_u32 s23, s19, s23
	v_mov_b32_e32 v17, s22
	v_mov_b32_e32 v15, 1
	;; [unrolled: 1-line block ×3, first 2 shown]
	s_waitcnt lgkmcnt(0)
	;;#ASMSTART
	global_store_dwordx4 v[17:18], v[13:16] off	
s_waitcnt vmcnt(0)
	;;#ASMEND
.LBB325_46:
	s_or_b64 exec, exec, s[20:21]
	v_xad_u32 v27, v42, -1, s6
	v_add_u32_e32 v15, 64, v27
	v_lshlrev_b64 v[17:18], 4, v[15:16]
	v_mov_b32_e32 v15, s19
	v_add_co_u32_e32 v28, vcc, s18, v17
	v_addc_co_u32_e32 v29, vcc, v15, v18, vcc
	;;#ASMSTART
	global_load_dwordx4 v[17:20], v[28:29] off glc	
s_waitcnt vmcnt(0)
	;;#ASMEND
	v_cmp_eq_u16_sdwa s[22:23], v19, v16 src0_sel:BYTE_0 src1_sel:DWORD
	s_and_saveexec_b64 s[20:21], s[22:23]
	s_cbranch_execz .LBB325_50
; %bb.47:
	s_mov_b64 s[22:23], 0
	v_mov_b32_e32 v15, 0
.LBB325_48:                             ; =>This Inner Loop Header: Depth=1
	;;#ASMSTART
	global_load_dwordx4 v[17:20], v[28:29] off glc	
s_waitcnt vmcnt(0)
	;;#ASMEND
	v_cmp_ne_u16_sdwa s[24:25], v19, v15 src0_sel:BYTE_0 src1_sel:DWORD
	s_or_b64 s[22:23], s[24:25], s[22:23]
	s_andn2_b64 exec, exec, s[22:23]
	s_cbranch_execnz .LBB325_48
; %bb.49:
	s_or_b64 exec, exec, s[22:23]
.LBB325_50:
	s_or_b64 exec, exec, s[20:21]
	v_and_b32_e32 v45, 63, v42
	v_mov_b32_e32 v15, 2
	v_lshlrev_b64 v[29:30], v42, -1
	v_cmp_ne_u32_e32 vcc, 63, v45
	v_cmp_eq_u16_sdwa s[20:21], v19, v15 src0_sel:BYTE_0 src1_sel:DWORD
	v_addc_co_u32_e32 v20, vcc, 0, v42, vcc
	v_and_b32_e32 v15, s21, v30
	v_lshlrev_b32_e32 v46, 2, v20
	v_or_b32_e32 v15, 0x80000000, v15
	ds_bpermute_b32 v28, v46, v17
	ds_bpermute_b32 v20, v46, v18
	v_and_b32_e32 v16, s20, v29
	v_ffbl_b32_e32 v15, v15
	v_add_u32_e32 v15, 32, v15
	v_ffbl_b32_e32 v16, v16
	v_min_u32_e32 v15, v16, v15
	v_cmp_lt_u32_e32 vcc, v45, v15
	v_mov_b32_e32 v16, v17
	s_and_saveexec_b64 s[20:21], vcc
	s_cbranch_execz .LBB325_52
; %bb.51:
	s_waitcnt lgkmcnt(1)
	v_add_co_u32_e32 v16, vcc, v17, v28
	v_addc_co_u32_e32 v18, vcc, 0, v18, vcc
	v_add_co_u32_e32 v17, vcc, 0, v16
	s_waitcnt lgkmcnt(0)
	v_addc_co_u32_e32 v18, vcc, v20, v18, vcc
.LBB325_52:
	s_or_b64 exec, exec, s[20:21]
	v_cmp_gt_u32_e32 vcc, 62, v45
	s_waitcnt lgkmcnt(0)
	v_cndmask_b32_e64 v20, 0, 2, vcc
	v_add_lshl_u32 v47, v20, v42, 2
	ds_bpermute_b32 v28, v47, v16
	ds_bpermute_b32 v20, v47, v18
	v_add_u32_e32 v48, 2, v45
	v_cmp_le_u32_e32 vcc, v48, v15
	s_and_saveexec_b64 s[20:21], vcc
	s_cbranch_execz .LBB325_54
; %bb.53:
	s_waitcnt lgkmcnt(1)
	v_add_co_u32_e32 v16, vcc, v17, v28
	v_addc_co_u32_e32 v18, vcc, 0, v18, vcc
	v_add_co_u32_e32 v17, vcc, 0, v16
	s_waitcnt lgkmcnt(0)
	v_addc_co_u32_e32 v18, vcc, v20, v18, vcc
.LBB325_54:
	s_or_b64 exec, exec, s[20:21]
	v_cmp_gt_u32_e32 vcc, 60, v45
	s_waitcnt lgkmcnt(0)
	v_cndmask_b32_e64 v20, 0, 4, vcc
	v_add_lshl_u32 v49, v20, v42, 2
	ds_bpermute_b32 v28, v49, v16
	ds_bpermute_b32 v20, v49, v18
	v_add_u32_e32 v50, 4, v45
	v_cmp_le_u32_e32 vcc, v50, v15
	;; [unrolled: 19-line block ×4, first 2 shown]
	s_and_saveexec_b64 s[20:21], vcc
	s_cbranch_execz .LBB325_60
; %bb.59:
	s_waitcnt lgkmcnt(1)
	v_add_co_u32_e32 v16, vcc, v17, v28
	v_addc_co_u32_e32 v18, vcc, 0, v18, vcc
	v_add_co_u32_e32 v17, vcc, 0, v16
	s_waitcnt lgkmcnt(0)
	v_addc_co_u32_e32 v18, vcc, v20, v18, vcc
.LBB325_60:
	s_or_b64 exec, exec, s[20:21]
	s_waitcnt lgkmcnt(0)
	v_mov_b32_e32 v20, 0x80
	v_lshl_or_b32 v55, v42, 2, v20
	ds_bpermute_b32 v16, v55, v16
	ds_bpermute_b32 v20, v55, v18
	v_add_u32_e32 v56, 32, v45
	v_mov_b32_e32 v28, 0
	v_mov_b32_e32 v57, 2
	s_waitcnt lgkmcnt(1)
	v_add_co_u32_e32 v16, vcc, v17, v16
	v_addc_co_u32_e32 v31, vcc, 0, v18, vcc
	v_add_co_u32_e32 v16, vcc, 0, v16
	s_waitcnt lgkmcnt(0)
	v_addc_co_u32_e32 v20, vcc, v31, v20, vcc
	v_cmp_gt_u32_e32 vcc, v56, v15
	v_cndmask_b32_e32 v18, v20, v18, vcc
	v_cndmask_b32_e32 v17, v16, v17, vcc
	s_branch .LBB325_63
.LBB325_61:                             ;   in Loop: Header=BB325_63 Depth=1
	s_or_b64 exec, exec, s[20:21]
	ds_bpermute_b32 v31, v55, v31
	s_waitcnt lgkmcnt(1)
	ds_bpermute_b32 v32, v55, v18
	v_subrev_u32_e32 v27, 64, v27
	s_mov_b64 s[20:21], 0
	s_waitcnt lgkmcnt(1)
	v_add_co_u32_e32 v31, vcc, v17, v31
	v_addc_co_u32_e32 v58, vcc, 0, v18, vcc
	v_add_co_u32_e32 v31, vcc, 0, v31
	s_waitcnt lgkmcnt(0)
	v_addc_co_u32_e32 v32, vcc, v58, v32, vcc
	v_cmp_gt_u32_e32 vcc, v56, v20
	v_cndmask_b32_e32 v17, v31, v17, vcc
	v_cndmask_b32_e32 v18, v32, v18, vcc
	v_add_co_u32_e32 v17, vcc, v17, v15
	v_addc_co_u32_e32 v18, vcc, v18, v16, vcc
.LBB325_62:                             ;   in Loop: Header=BB325_63 Depth=1
	s_and_b64 vcc, exec, s[20:21]
	s_cbranch_vccnz .LBB325_79
.LBB325_63:                             ; =>This Loop Header: Depth=1
                                        ;     Child Loop BB325_66 Depth 2
	v_mov_b32_e32 v15, v17
	v_cmp_ne_u16_sdwa s[20:21], v19, v57 src0_sel:BYTE_0 src1_sel:DWORD
	v_mov_b32_e32 v16, v18
	s_cmp_lg_u64 s[20:21], exec
	s_mov_b64 s[20:21], -1
                                        ; implicit-def: $vgpr17_vgpr18
                                        ; implicit-def: $vgpr19
	s_cbranch_scc1 .LBB325_62
; %bb.64:                               ;   in Loop: Header=BB325_63 Depth=1
	v_lshlrev_b64 v[17:18], 4, v[27:28]
	v_mov_b32_e32 v19, s19
	v_add_co_u32_e32 v31, vcc, s18, v17
	v_addc_co_u32_e32 v32, vcc, v19, v18, vcc
	;;#ASMSTART
	global_load_dwordx4 v[17:20], v[31:32] off glc	
s_waitcnt vmcnt(0)
	;;#ASMEND
	v_cmp_eq_u16_sdwa s[22:23], v19, v28 src0_sel:BYTE_0 src1_sel:DWORD
	s_and_saveexec_b64 s[20:21], s[22:23]
	s_cbranch_execz .LBB325_68
; %bb.65:                               ;   in Loop: Header=BB325_63 Depth=1
	s_mov_b64 s[22:23], 0
.LBB325_66:                             ;   Parent Loop BB325_63 Depth=1
                                        ; =>  This Inner Loop Header: Depth=2
	;;#ASMSTART
	global_load_dwordx4 v[17:20], v[31:32] off glc	
s_waitcnt vmcnt(0)
	;;#ASMEND
	v_cmp_ne_u16_sdwa s[24:25], v19, v28 src0_sel:BYTE_0 src1_sel:DWORD
	s_or_b64 s[22:23], s[24:25], s[22:23]
	s_andn2_b64 exec, exec, s[22:23]
	s_cbranch_execnz .LBB325_66
; %bb.67:                               ;   in Loop: Header=BB325_63 Depth=1
	s_or_b64 exec, exec, s[22:23]
.LBB325_68:                             ;   in Loop: Header=BB325_63 Depth=1
	s_or_b64 exec, exec, s[20:21]
	v_cmp_eq_u16_sdwa s[20:21], v19, v57 src0_sel:BYTE_0 src1_sel:DWORD
	v_and_b32_e32 v20, s21, v30
	v_or_b32_e32 v20, 0x80000000, v20
	ds_bpermute_b32 v58, v46, v17
	ds_bpermute_b32 v32, v46, v18
	v_and_b32_e32 v31, s20, v29
	v_ffbl_b32_e32 v20, v20
	v_add_u32_e32 v20, 32, v20
	v_ffbl_b32_e32 v31, v31
	v_min_u32_e32 v20, v31, v20
	v_cmp_lt_u32_e32 vcc, v45, v20
	v_mov_b32_e32 v31, v17
	s_and_saveexec_b64 s[20:21], vcc
	s_cbranch_execz .LBB325_70
; %bb.69:                               ;   in Loop: Header=BB325_63 Depth=1
	s_waitcnt lgkmcnt(1)
	v_add_co_u32_e32 v31, vcc, v17, v58
	v_addc_co_u32_e32 v18, vcc, 0, v18, vcc
	v_add_co_u32_e32 v17, vcc, 0, v31
	s_waitcnt lgkmcnt(0)
	v_addc_co_u32_e32 v18, vcc, v32, v18, vcc
.LBB325_70:                             ;   in Loop: Header=BB325_63 Depth=1
	s_or_b64 exec, exec, s[20:21]
	s_waitcnt lgkmcnt(1)
	ds_bpermute_b32 v58, v47, v31
	s_waitcnt lgkmcnt(1)
	ds_bpermute_b32 v32, v47, v18
	v_cmp_le_u32_e32 vcc, v48, v20
	s_and_saveexec_b64 s[20:21], vcc
	s_cbranch_execz .LBB325_72
; %bb.71:                               ;   in Loop: Header=BB325_63 Depth=1
	s_waitcnt lgkmcnt(1)
	v_add_co_u32_e32 v31, vcc, v17, v58
	v_addc_co_u32_e32 v18, vcc, 0, v18, vcc
	v_add_co_u32_e32 v17, vcc, 0, v31
	s_waitcnt lgkmcnt(0)
	v_addc_co_u32_e32 v18, vcc, v32, v18, vcc
.LBB325_72:                             ;   in Loop: Header=BB325_63 Depth=1
	s_or_b64 exec, exec, s[20:21]
	s_waitcnt lgkmcnt(1)
	ds_bpermute_b32 v58, v49, v31
	s_waitcnt lgkmcnt(1)
	ds_bpermute_b32 v32, v49, v18
	v_cmp_le_u32_e32 vcc, v50, v20
	;; [unrolled: 16-line block ×4, first 2 shown]
	s_and_saveexec_b64 s[20:21], vcc
	s_cbranch_execz .LBB325_61
; %bb.77:                               ;   in Loop: Header=BB325_63 Depth=1
	s_waitcnt lgkmcnt(1)
	v_add_co_u32_e32 v31, vcc, v17, v58
	v_addc_co_u32_e32 v18, vcc, 0, v18, vcc
	v_add_co_u32_e32 v17, vcc, 0, v31
	s_waitcnt lgkmcnt(0)
	v_addc_co_u32_e32 v18, vcc, v32, v18, vcc
	s_branch .LBB325_61
.LBB325_78:
                                        ; implicit-def: $vgpr19_vgpr20
                                        ; implicit-def: $vgpr17_vgpr18
                                        ; implicit-def: $vgpr25_vgpr26
                                        ; implicit-def: $vgpr27_vgpr28
                                        ; implicit-def: $vgpr29_vgpr30
                                        ; implicit-def: $vgpr31_vgpr32
                                        ; implicit-def: $vgpr33_vgpr34
                                        ; implicit-def: $vgpr15_vgpr16
	s_load_dwordx2 s[2:3], s[4:5], 0x30
	s_cbranch_execnz .LBB325_84
	s_branch .LBB325_105
.LBB325_79:
	s_and_saveexec_b64 s[20:21], s[2:3]
	s_cbranch_execz .LBB325_81
; %bb.80:
	s_add_i32 s6, s6, 64
	s_mov_b32 s7, 0
	s_lshl_b64 s[6:7], s[6:7], 4
	s_add_u32 s6, s18, s6
	s_addc_u32 s7, s19, s7
	v_add_co_u32_e32 v17, vcc, v15, v13
	v_mov_b32_e32 v28, s7
	v_addc_co_u32_e32 v18, vcc, v16, v14, vcc
	v_mov_b32_e32 v19, 2
	v_mov_b32_e32 v20, 0
	;; [unrolled: 1-line block ×3, first 2 shown]
	;;#ASMSTART
	global_store_dwordx4 v[27:28], v[17:20] off	
s_waitcnt vmcnt(0)
	;;#ASMEND
	ds_write_b128 v20, v[13:16] offset:14336
.LBB325_81:
	s_or_b64 exec, exec, s[20:21]
	v_cmp_eq_u32_e32 vcc, 0, v0
	s_and_b64 exec, exec, vcc
; %bb.82:
	v_mov_b32_e32 v13, 0
	ds_write_b64 v13, v[15:16] offset:24
.LBB325_83:
	s_or_b64 exec, exec, s[8:9]
	v_mov_b32_e32 v19, 0
	s_waitcnt lgkmcnt(0)
	s_barrier
	ds_read_b64 v[13:14], v19 offset:24
	v_cndmask_b32_e64 v15, v33, v25, s[2:3]
	v_cmp_ne_u32_e32 vcc, 0, v0
	v_cndmask_b32_e64 v16, v34, v26, s[2:3]
	v_cndmask_b32_e32 v15, 0, v15, vcc
	v_cndmask_b32_e32 v16, 0, v16, vcc
	s_waitcnt lgkmcnt(0)
	v_add_co_u32_e32 v33, vcc, v13, v15
	v_addc_co_u32_e32 v34, vcc, v14, v16, vcc
	v_add_co_u32_e32 v31, vcc, v33, v41
	v_addc_co_u32_e32 v32, vcc, 0, v34, vcc
	v_add_co_u32_e32 v29, vcc, v31, v40
	v_addc_co_u32_e32 v30, vcc, 0, v32, vcc
	v_add_co_u32_e32 v27, vcc, v29, v39
	v_addc_co_u32_e32 v28, vcc, 0, v30, vcc
	v_add_co_u32_e32 v25, vcc, v27, v38
	v_addc_co_u32_e32 v26, vcc, 0, v28, vcc
	s_barrier
	ds_read_b128 v[13:16], v19 offset:14336
	v_add_co_u32_e32 v17, vcc, v25, v37
	v_addc_co_u32_e32 v18, vcc, 0, v26, vcc
	v_add_co_u32_e32 v19, vcc, v17, v36
	v_addc_co_u32_e32 v20, vcc, 0, v18, vcc
	s_load_dwordx2 s[2:3], s[4:5], 0x30
	s_branch .LBB325_105
.LBB325_84:
	s_waitcnt lgkmcnt(0)
	v_mov_b32_e32 v14, 0
	v_mov_b32_dpp v16, v23 row_shr:1 row_mask:0xf bank_mask:0xf
	v_mov_b32_e32 v15, v23
	v_mov_b32_dpp v13, v14 row_shr:1 row_mask:0xf bank_mask:0xf
	s_and_saveexec_b64 s[4:5], s[0:1]
; %bb.85:
	v_add_co_u32_e32 v15, vcc, v23, v16
	v_addc_co_u32_e32 v14, vcc, 0, v24, vcc
	v_add_co_u32_e32 v23, vcc, 0, v15
	v_addc_co_u32_e32 v24, vcc, v13, v14, vcc
	v_mov_b32_e32 v14, v24
; %bb.86:
	s_or_b64 exec, exec, s[4:5]
	v_mov_b32_dpp v13, v15 row_shr:2 row_mask:0xf bank_mask:0xf
	v_mov_b32_dpp v16, v14 row_shr:2 row_mask:0xf bank_mask:0xf
	v_cmp_lt_u32_e32 vcc, 1, v44
	s_and_saveexec_b64 s[0:1], vcc
; %bb.87:
	v_add_co_u32_e32 v15, vcc, v23, v13
	v_addc_co_u32_e32 v14, vcc, 0, v24, vcc
	v_add_co_u32_e32 v13, vcc, 0, v15
	v_addc_co_u32_e32 v14, vcc, v16, v14, vcc
	v_mov_b32_e32 v24, v14
	v_mov_b32_e32 v23, v13
; %bb.88:
	s_or_b64 exec, exec, s[0:1]
	v_mov_b32_dpp v13, v15 row_shr:4 row_mask:0xf bank_mask:0xf
	v_mov_b32_dpp v16, v14 row_shr:4 row_mask:0xf bank_mask:0xf
	v_cmp_lt_u32_e32 vcc, 3, v44
	s_and_saveexec_b64 s[0:1], vcc
; %bb.89:
	v_add_co_u32_e32 v15, vcc, v23, v13
	v_addc_co_u32_e32 v14, vcc, 0, v24, vcc
	v_add_co_u32_e32 v13, vcc, 0, v15
	v_addc_co_u32_e32 v14, vcc, v16, v14, vcc
	v_mov_b32_e32 v24, v14
	;; [unrolled: 13-line block ×3, first 2 shown]
	v_mov_b32_e32 v23, v13
; %bb.92:
	s_or_b64 exec, exec, s[0:1]
	v_and_b32_e32 v17, 16, v42
	v_mov_b32_dpp v16, v15 row_bcast:15 row_mask:0xf bank_mask:0xf
	v_mov_b32_dpp v13, v14 row_bcast:15 row_mask:0xf bank_mask:0xf
	v_cmp_ne_u32_e32 vcc, 0, v17
	s_and_saveexec_b64 s[0:1], vcc
; %bb.93:
	v_add_co_u32_e32 v15, vcc, v23, v16
	v_addc_co_u32_e32 v14, vcc, 0, v24, vcc
	v_add_co_u32_e32 v23, vcc, 0, v15
	v_addc_co_u32_e32 v24, vcc, v13, v14, vcc
	v_mov_b32_e32 v14, v24
; %bb.94:
	s_or_b64 exec, exec, s[0:1]
	v_mov_b32_dpp v13, v15 row_bcast:31 row_mask:0xf bank_mask:0xf
	v_add_co_u32_e32 v13, vcc, v23, v13
	v_addc_co_u32_e32 v15, vcc, 0, v24, vcc
	v_mov_b32_dpp v14, v14 row_bcast:31 row_mask:0xf bank_mask:0xf
	v_add_co_u32_e32 v13, vcc, 0, v13
	v_addc_co_u32_e32 v14, vcc, v15, v14, vcc
	v_cmp_lt_u32_e32 vcc, 31, v42
	v_or_b32_e32 v15, 63, v0
	v_cndmask_b32_e32 v14, v24, v14, vcc
	v_cndmask_b32_e32 v13, v23, v13, vcc
	v_lshrrev_b32_e32 v19, 6, v0
	v_cmp_eq_u32_e32 vcc, v0, v15
	s_and_saveexec_b64 s[0:1], vcc
; %bb.95:
	v_lshlrev_b32_e32 v15, 3, v19
	ds_write_b64 v15, v[13:14]
; %bb.96:
	s_or_b64 exec, exec, s[0:1]
	v_cmp_gt_u32_e32 vcc, 4, v0
	s_waitcnt lgkmcnt(0)
	s_barrier
	s_and_saveexec_b64 s[0:1], vcc
	s_cbranch_execz .LBB325_100
; %bb.97:
	v_add_u32_e32 v17, v43, v0
	ds_read_b64 v[15:16], v17
	v_and_b32_e32 v18, 3, v42
	v_cmp_ne_u32_e32 vcc, 0, v18
	s_waitcnt lgkmcnt(0)
	v_mov_b32_dpp v24, v15 row_shr:1 row_mask:0xf bank_mask:0xf
	v_mov_b32_dpp v23, v16 row_shr:1 row_mask:0xf bank_mask:0xf
	v_mov_b32_e32 v20, v15
	s_and_saveexec_b64 s[4:5], vcc
; %bb.98:
	v_add_co_u32_e32 v20, vcc, v15, v24
	v_addc_co_u32_e32 v16, vcc, 0, v16, vcc
	v_add_co_u32_e32 v15, vcc, 0, v20
	v_addc_co_u32_e32 v16, vcc, v23, v16, vcc
; %bb.99:
	s_or_b64 exec, exec, s[4:5]
	v_mov_b32_dpp v20, v20 row_shr:2 row_mask:0xf bank_mask:0xf
	v_add_co_u32_e32 v20, vcc, v15, v20
	v_addc_co_u32_e32 v24, vcc, 0, v16, vcc
	v_mov_b32_dpp v23, v16 row_shr:2 row_mask:0xf bank_mask:0xf
	v_add_co_u32_e32 v20, vcc, 0, v20
	v_addc_co_u32_e32 v23, vcc, v24, v23, vcc
	v_cmp_lt_u32_e32 vcc, 1, v18
	v_cndmask_b32_e32 v16, v16, v23, vcc
	v_cndmask_b32_e32 v15, v15, v20, vcc
	ds_write_b64 v17, v[15:16]
.LBB325_100:
	s_or_b64 exec, exec, s[0:1]
	v_mov_b32_e32 v17, 0
	v_mov_b32_e32 v18, 0
	v_cmp_lt_u32_e32 vcc, 63, v0
	s_waitcnt lgkmcnt(0)
	s_barrier
	s_and_saveexec_b64 s[0:1], vcc
; %bb.101:
	v_lshl_add_u32 v15, v19, 3, -8
	ds_read_b64 v[17:18], v15
; %bb.102:
	s_or_b64 exec, exec, s[0:1]
	s_waitcnt lgkmcnt(0)
	v_add_co_u32_e32 v13, vcc, v17, v13
	v_addc_co_u32_e32 v14, vcc, v18, v14, vcc
	v_subrev_co_u32_e32 v15, vcc, 1, v42
	v_and_b32_e32 v16, 64, v42
	v_cmp_lt_i32_e64 s[0:1], v15, v16
	v_cndmask_b32_e64 v15, v15, v42, s[0:1]
	v_lshlrev_b32_e32 v15, 2, v15
	v_mov_b32_e32 v16, 0
	ds_bpermute_b32 v19, v15, v13
	ds_bpermute_b32 v20, v15, v14
	ds_read_b64 v[13:14], v16 offset:24
	v_cmp_eq_u32_e64 s[0:1], 0, v0
	s_and_saveexec_b64 s[4:5], s[0:1]
	s_cbranch_execz .LBB325_104
; %bb.103:
	s_add_u32 s6, s18, 0x400
	s_addc_u32 s7, s19, 0
	v_mov_b32_e32 v24, s7
	v_mov_b32_e32 v15, 2
	;; [unrolled: 1-line block ×3, first 2 shown]
	s_waitcnt lgkmcnt(0)
	;;#ASMSTART
	global_store_dwordx4 v[23:24], v[13:16] off	
s_waitcnt vmcnt(0)
	;;#ASMEND
.LBB325_104:
	s_or_b64 exec, exec, s[4:5]
	s_waitcnt lgkmcnt(2)
	v_cndmask_b32_e32 v15, v19, v17, vcc
	s_waitcnt lgkmcnt(1)
	v_cndmask_b32_e32 v16, v20, v18, vcc
	v_cndmask_b32_e64 v33, v15, 0, s[0:1]
	v_cndmask_b32_e64 v34, v16, 0, s[0:1]
	v_add_co_u32_e32 v31, vcc, v33, v41
	v_addc_co_u32_e32 v32, vcc, 0, v34, vcc
	v_add_co_u32_e32 v29, vcc, v31, v40
	v_addc_co_u32_e32 v30, vcc, 0, v32, vcc
	;; [unrolled: 2-line block ×5, first 2 shown]
	v_add_co_u32_e32 v19, vcc, v17, v36
	v_mov_b32_e32 v15, 0
	v_addc_co_u32_e32 v20, vcc, 0, v18, vcc
	s_waitcnt lgkmcnt(0)
	s_barrier
	v_mov_b32_e32 v16, 0
.LBB325_105:
	s_mov_b64 s[0:1], 0x101
	s_waitcnt lgkmcnt(0)
	v_cmp_gt_u64_e32 vcc, s[0:1], v[13:14]
	s_mov_b64 s[4:5], -1
	v_cmp_eq_u32_e64 s[0:1], 1, v41
	s_cbranch_vccnz .LBB325_109
; %bb.106:
	s_and_b64 vcc, exec, s[4:5]
	s_cbranch_vccnz .LBB325_124
.LBB325_107:
	v_cmp_eq_u32_e32 vcc, 0, v0
	s_and_b64 s[0:1], vcc, s[14:15]
	s_and_saveexec_b64 s[2:3], s[0:1]
	s_cbranch_execnz .LBB325_135
.LBB325_108:
	s_endpgm
.LBB325_109:
	v_add_co_u32_e32 v23, vcc, v15, v13
	v_addc_co_u32_e32 v24, vcc, v16, v14, vcc
	v_cmp_lt_u64_e32 vcc, v[33:34], v[23:24]
	s_or_b64 s[4:5], s[16:17], vcc
	s_and_b64 s[4:5], s[4:5], s[0:1]
	s_and_saveexec_b64 s[0:1], s[4:5]
	s_cbranch_execz .LBB325_111
; %bb.110:
	s_lshl_b64 s[4:5], s[10:11], 3
	s_add_u32 s4, s2, s4
	v_lshlrev_b64 v[42:43], 3, v[33:34]
	s_addc_u32 s5, s3, s5
	v_mov_b32_e32 v34, s5
	v_add_co_u32_e32 v42, vcc, s4, v42
	v_addc_co_u32_e32 v43, vcc, v34, v43, vcc
	global_store_dwordx2 v[42:43], v[9:10], off
.LBB325_111:
	s_or_b64 exec, exec, s[0:1]
	v_cmp_lt_u64_e32 vcc, v[31:32], v[23:24]
	s_or_b64 s[0:1], s[16:17], vcc
	v_cmp_eq_u32_e32 vcc, 1, v40
	s_and_b64 s[4:5], s[0:1], vcc
	s_and_saveexec_b64 s[0:1], s[4:5]
	s_cbranch_execz .LBB325_113
; %bb.112:
	s_lshl_b64 s[4:5], s[10:11], 3
	s_add_u32 s4, s2, s4
	v_lshlrev_b64 v[42:43], 3, v[31:32]
	s_addc_u32 s5, s3, s5
	v_mov_b32_e32 v32, s5
	v_add_co_u32_e32 v42, vcc, s4, v42
	v_addc_co_u32_e32 v43, vcc, v32, v43, vcc
	global_store_dwordx2 v[42:43], v[11:12], off
.LBB325_113:
	s_or_b64 exec, exec, s[0:1]
	v_cmp_lt_u64_e32 vcc, v[29:30], v[23:24]
	s_or_b64 s[0:1], s[16:17], vcc
	v_cmp_eq_u32_e32 vcc, 1, v39
	s_and_b64 s[4:5], s[0:1], vcc
	;; [unrolled: 17-line block ×6, first 2 shown]
	s_and_saveexec_b64 s[0:1], s[4:5]
	s_cbranch_execz .LBB325_123
; %bb.122:
	s_lshl_b64 s[4:5], s[10:11], 3
	s_add_u32 s4, s2, s4
	v_lshlrev_b64 v[23:24], 3, v[19:20]
	s_addc_u32 s5, s3, s5
	v_mov_b32_e32 v18, s5
	v_add_co_u32_e32 v23, vcc, s4, v23
	v_addc_co_u32_e32 v24, vcc, v18, v24, vcc
	global_store_dwordx2 v[23:24], v[21:22], off
.LBB325_123:
	s_or_b64 exec, exec, s[0:1]
	s_branch .LBB325_107
.LBB325_124:
	v_cmp_eq_u32_e32 vcc, 1, v41
	s_and_saveexec_b64 s[0:1], vcc
	s_cbranch_execnz .LBB325_136
; %bb.125:
	s_or_b64 exec, exec, s[0:1]
	v_cmp_eq_u32_e32 vcc, 1, v40
	s_and_saveexec_b64 s[0:1], vcc
	s_cbranch_execnz .LBB325_137
.LBB325_126:
	s_or_b64 exec, exec, s[0:1]
	v_cmp_eq_u32_e32 vcc, 1, v39
	s_and_saveexec_b64 s[0:1], vcc
	s_cbranch_execnz .LBB325_138
.LBB325_127:
	s_or_b64 exec, exec, s[0:1]
	v_cmp_eq_u32_e32 vcc, 1, v38
	s_and_saveexec_b64 s[0:1], vcc
	s_cbranch_execnz .LBB325_139
.LBB325_128:
	s_or_b64 exec, exec, s[0:1]
	v_cmp_eq_u32_e32 vcc, 1, v37
	s_and_saveexec_b64 s[0:1], vcc
	s_cbranch_execnz .LBB325_140
.LBB325_129:
	s_or_b64 exec, exec, s[0:1]
	v_cmp_eq_u32_e32 vcc, 1, v36
	s_and_saveexec_b64 s[0:1], vcc
	s_cbranch_execnz .LBB325_141
.LBB325_130:
	s_or_b64 exec, exec, s[0:1]
	v_cmp_eq_u32_e32 vcc, 1, v35
	s_and_saveexec_b64 s[0:1], vcc
.LBB325_131:
	v_sub_u32_e32 v1, v19, v15
	v_lshlrev_b32_e32 v1, 3, v1
	ds_write_b64 v1, v[21:22]
.LBB325_132:
	s_or_b64 exec, exec, s[0:1]
	v_lshlrev_b64 v[4:5], 3, v[15:16]
	v_mov_b32_e32 v2, s3
	v_add_co_u32_e32 v4, vcc, s2, v4
	v_mov_b32_e32 v3, 0
	v_addc_co_u32_e32 v2, vcc, v2, v5, vcc
	s_lshl_b64 s[0:1], s[10:11], 3
	v_mov_b32_e32 v1, v3
	v_mov_b32_e32 v5, s1
	v_add_co_u32_e32 v6, vcc, s0, v4
	v_addc_co_u32_e32 v7, vcc, v2, v5, vcc
	v_mov_b32_e32 v5, v1
	v_or_b32_e32 v2, 0x100, v0
	s_mov_b64 s[2:3], 0
	v_mov_b32_e32 v4, v0
	s_waitcnt vmcnt(0) lgkmcnt(0)
	s_barrier
.LBB325_133:                            ; =>This Inner Loop Header: Depth=1
	v_lshlrev_b32_e32 v1, 3, v4
	ds_read_b64 v[10:11], v1
	v_lshlrev_b64 v[8:9], 3, v[4:5]
	v_cmp_le_u64_e32 vcc, v[13:14], v[2:3]
	v_mov_b32_e32 v5, v3
	v_add_co_u32_e64 v8, s[0:1], v6, v8
	v_mov_b32_e32 v4, v2
	v_add_u32_e32 v2, 0x100, v2
	v_addc_co_u32_e64 v9, s[0:1], v7, v9, s[0:1]
	s_or_b64 s[2:3], vcc, s[2:3]
	s_waitcnt lgkmcnt(0)
	global_store_dwordx2 v[8:9], v[10:11], off
	s_andn2_b64 exec, exec, s[2:3]
	s_cbranch_execnz .LBB325_133
; %bb.134:
	s_or_b64 exec, exec, s[2:3]
	v_cmp_eq_u32_e32 vcc, 0, v0
	s_and_b64 s[0:1], vcc, s[14:15]
	s_and_saveexec_b64 s[2:3], s[0:1]
	s_cbranch_execz .LBB325_108
.LBB325_135:
	v_add_co_u32_e32 v0, vcc, v15, v13
	v_addc_co_u32_e32 v1, vcc, v16, v14, vcc
	v_mov_b32_e32 v3, s11
	v_add_co_u32_e32 v0, vcc, s10, v0
	v_mov_b32_e32 v2, 0
	v_addc_co_u32_e32 v1, vcc, v1, v3, vcc
	global_store_dwordx2 v2, v[0:1], s[12:13]
	s_endpgm
.LBB325_136:
	v_sub_u32_e32 v18, v33, v15
	v_lshlrev_b32_e32 v18, 3, v18
	ds_write_b64 v18, v[9:10]
	s_or_b64 exec, exec, s[0:1]
	v_cmp_eq_u32_e32 vcc, 1, v40
	s_and_saveexec_b64 s[0:1], vcc
	s_cbranch_execz .LBB325_126
.LBB325_137:
	v_sub_u32_e32 v9, v31, v15
	v_lshlrev_b32_e32 v9, 3, v9
	ds_write_b64 v9, v[11:12]
	s_or_b64 exec, exec, s[0:1]
	v_cmp_eq_u32_e32 vcc, 1, v39
	s_and_saveexec_b64 s[0:1], vcc
	s_cbranch_execz .LBB325_127
.LBB325_138:
	v_sub_u32_e32 v9, v29, v15
	v_lshlrev_b32_e32 v9, 3, v9
	ds_write_b64 v9, v[5:6]
	s_or_b64 exec, exec, s[0:1]
	v_cmp_eq_u32_e32 vcc, 1, v38
	s_and_saveexec_b64 s[0:1], vcc
	s_cbranch_execz .LBB325_128
.LBB325_139:
	v_sub_u32_e32 v5, v27, v15
	v_lshlrev_b32_e32 v5, 3, v5
	ds_write_b64 v5, v[7:8]
	s_or_b64 exec, exec, s[0:1]
	v_cmp_eq_u32_e32 vcc, 1, v37
	s_and_saveexec_b64 s[0:1], vcc
	s_cbranch_execz .LBB325_129
.LBB325_140:
	v_sub_u32_e32 v5, v25, v15
	v_lshlrev_b32_e32 v5, 3, v5
	ds_write_b64 v5, v[1:2]
	s_or_b64 exec, exec, s[0:1]
	v_cmp_eq_u32_e32 vcc, 1, v36
	s_and_saveexec_b64 s[0:1], vcc
	s_cbranch_execz .LBB325_130
.LBB325_141:
	v_sub_u32_e32 v1, v17, v15
	v_lshlrev_b32_e32 v1, 3, v1
	ds_write_b64 v1, v[3:4]
	s_or_b64 exec, exec, s[0:1]
	v_cmp_eq_u32_e32 vcc, 1, v35
	s_and_saveexec_b64 s[0:1], vcc
	s_cbranch_execnz .LBB325_131
	s_branch .LBB325_132
	.section	.rodata,"a",@progbits
	.p2align	6, 0x0
	.amdhsa_kernel _ZN7rocprim17ROCPRIM_400000_NS6detail17trampoline_kernelINS0_14default_configENS1_25partition_config_selectorILNS1_17partition_subalgoE5ElNS0_10empty_typeEbEEZZNS1_14partition_implILS5_5ELb0ES3_mN6hipcub16HIPCUB_304000_NS21CountingInputIteratorIllEEPS6_NSA_22TransformInputIteratorIb7NonZeroIdEPdlEENS0_5tupleIJPlS6_EEENSJ_IJSD_SD_EEES6_SK_JS6_EEE10hipError_tPvRmT3_T4_T5_T6_T7_T9_mT8_P12ihipStream_tbDpT10_ENKUlT_T0_E_clISt17integral_constantIbLb0EES16_EEDaS11_S12_EUlS11_E_NS1_11comp_targetILNS1_3genE2ELNS1_11target_archE906ELNS1_3gpuE6ELNS1_3repE0EEENS1_30default_config_static_selectorELNS0_4arch9wavefront6targetE1EEEvT1_
		.amdhsa_group_segment_fixed_size 14352
		.amdhsa_private_segment_fixed_size 0
		.amdhsa_kernarg_size 120
		.amdhsa_user_sgpr_count 6
		.amdhsa_user_sgpr_private_segment_buffer 1
		.amdhsa_user_sgpr_dispatch_ptr 0
		.amdhsa_user_sgpr_queue_ptr 0
		.amdhsa_user_sgpr_kernarg_segment_ptr 1
		.amdhsa_user_sgpr_dispatch_id 0
		.amdhsa_user_sgpr_flat_scratch_init 0
		.amdhsa_user_sgpr_private_segment_size 0
		.amdhsa_uses_dynamic_stack 0
		.amdhsa_system_sgpr_private_segment_wavefront_offset 0
		.amdhsa_system_sgpr_workgroup_id_x 1
		.amdhsa_system_sgpr_workgroup_id_y 0
		.amdhsa_system_sgpr_workgroup_id_z 0
		.amdhsa_system_sgpr_workgroup_info 0
		.amdhsa_system_vgpr_workitem_id 0
		.amdhsa_next_free_vgpr 59
		.amdhsa_next_free_sgpr 98
		.amdhsa_reserve_vcc 1
		.amdhsa_reserve_flat_scratch 0
		.amdhsa_float_round_mode_32 0
		.amdhsa_float_round_mode_16_64 0
		.amdhsa_float_denorm_mode_32 3
		.amdhsa_float_denorm_mode_16_64 3
		.amdhsa_dx10_clamp 1
		.amdhsa_ieee_mode 1
		.amdhsa_fp16_overflow 0
		.amdhsa_exception_fp_ieee_invalid_op 0
		.amdhsa_exception_fp_denorm_src 0
		.amdhsa_exception_fp_ieee_div_zero 0
		.amdhsa_exception_fp_ieee_overflow 0
		.amdhsa_exception_fp_ieee_underflow 0
		.amdhsa_exception_fp_ieee_inexact 0
		.amdhsa_exception_int_div_zero 0
	.end_amdhsa_kernel
	.section	.text._ZN7rocprim17ROCPRIM_400000_NS6detail17trampoline_kernelINS0_14default_configENS1_25partition_config_selectorILNS1_17partition_subalgoE5ElNS0_10empty_typeEbEEZZNS1_14partition_implILS5_5ELb0ES3_mN6hipcub16HIPCUB_304000_NS21CountingInputIteratorIllEEPS6_NSA_22TransformInputIteratorIb7NonZeroIdEPdlEENS0_5tupleIJPlS6_EEENSJ_IJSD_SD_EEES6_SK_JS6_EEE10hipError_tPvRmT3_T4_T5_T6_T7_T9_mT8_P12ihipStream_tbDpT10_ENKUlT_T0_E_clISt17integral_constantIbLb0EES16_EEDaS11_S12_EUlS11_E_NS1_11comp_targetILNS1_3genE2ELNS1_11target_archE906ELNS1_3gpuE6ELNS1_3repE0EEENS1_30default_config_static_selectorELNS0_4arch9wavefront6targetE1EEEvT1_,"axG",@progbits,_ZN7rocprim17ROCPRIM_400000_NS6detail17trampoline_kernelINS0_14default_configENS1_25partition_config_selectorILNS1_17partition_subalgoE5ElNS0_10empty_typeEbEEZZNS1_14partition_implILS5_5ELb0ES3_mN6hipcub16HIPCUB_304000_NS21CountingInputIteratorIllEEPS6_NSA_22TransformInputIteratorIb7NonZeroIdEPdlEENS0_5tupleIJPlS6_EEENSJ_IJSD_SD_EEES6_SK_JS6_EEE10hipError_tPvRmT3_T4_T5_T6_T7_T9_mT8_P12ihipStream_tbDpT10_ENKUlT_T0_E_clISt17integral_constantIbLb0EES16_EEDaS11_S12_EUlS11_E_NS1_11comp_targetILNS1_3genE2ELNS1_11target_archE906ELNS1_3gpuE6ELNS1_3repE0EEENS1_30default_config_static_selectorELNS0_4arch9wavefront6targetE1EEEvT1_,comdat
.Lfunc_end325:
	.size	_ZN7rocprim17ROCPRIM_400000_NS6detail17trampoline_kernelINS0_14default_configENS1_25partition_config_selectorILNS1_17partition_subalgoE5ElNS0_10empty_typeEbEEZZNS1_14partition_implILS5_5ELb0ES3_mN6hipcub16HIPCUB_304000_NS21CountingInputIteratorIllEEPS6_NSA_22TransformInputIteratorIb7NonZeroIdEPdlEENS0_5tupleIJPlS6_EEENSJ_IJSD_SD_EEES6_SK_JS6_EEE10hipError_tPvRmT3_T4_T5_T6_T7_T9_mT8_P12ihipStream_tbDpT10_ENKUlT_T0_E_clISt17integral_constantIbLb0EES16_EEDaS11_S12_EUlS11_E_NS1_11comp_targetILNS1_3genE2ELNS1_11target_archE906ELNS1_3gpuE6ELNS1_3repE0EEENS1_30default_config_static_selectorELNS0_4arch9wavefront6targetE1EEEvT1_, .Lfunc_end325-_ZN7rocprim17ROCPRIM_400000_NS6detail17trampoline_kernelINS0_14default_configENS1_25partition_config_selectorILNS1_17partition_subalgoE5ElNS0_10empty_typeEbEEZZNS1_14partition_implILS5_5ELb0ES3_mN6hipcub16HIPCUB_304000_NS21CountingInputIteratorIllEEPS6_NSA_22TransformInputIteratorIb7NonZeroIdEPdlEENS0_5tupleIJPlS6_EEENSJ_IJSD_SD_EEES6_SK_JS6_EEE10hipError_tPvRmT3_T4_T5_T6_T7_T9_mT8_P12ihipStream_tbDpT10_ENKUlT_T0_E_clISt17integral_constantIbLb0EES16_EEDaS11_S12_EUlS11_E_NS1_11comp_targetILNS1_3genE2ELNS1_11target_archE906ELNS1_3gpuE6ELNS1_3repE0EEENS1_30default_config_static_selectorELNS0_4arch9wavefront6targetE1EEEvT1_
                                        ; -- End function
	.set _ZN7rocprim17ROCPRIM_400000_NS6detail17trampoline_kernelINS0_14default_configENS1_25partition_config_selectorILNS1_17partition_subalgoE5ElNS0_10empty_typeEbEEZZNS1_14partition_implILS5_5ELb0ES3_mN6hipcub16HIPCUB_304000_NS21CountingInputIteratorIllEEPS6_NSA_22TransformInputIteratorIb7NonZeroIdEPdlEENS0_5tupleIJPlS6_EEENSJ_IJSD_SD_EEES6_SK_JS6_EEE10hipError_tPvRmT3_T4_T5_T6_T7_T9_mT8_P12ihipStream_tbDpT10_ENKUlT_T0_E_clISt17integral_constantIbLb0EES16_EEDaS11_S12_EUlS11_E_NS1_11comp_targetILNS1_3genE2ELNS1_11target_archE906ELNS1_3gpuE6ELNS1_3repE0EEENS1_30default_config_static_selectorELNS0_4arch9wavefront6targetE1EEEvT1_.num_vgpr, 59
	.set _ZN7rocprim17ROCPRIM_400000_NS6detail17trampoline_kernelINS0_14default_configENS1_25partition_config_selectorILNS1_17partition_subalgoE5ElNS0_10empty_typeEbEEZZNS1_14partition_implILS5_5ELb0ES3_mN6hipcub16HIPCUB_304000_NS21CountingInputIteratorIllEEPS6_NSA_22TransformInputIteratorIb7NonZeroIdEPdlEENS0_5tupleIJPlS6_EEENSJ_IJSD_SD_EEES6_SK_JS6_EEE10hipError_tPvRmT3_T4_T5_T6_T7_T9_mT8_P12ihipStream_tbDpT10_ENKUlT_T0_E_clISt17integral_constantIbLb0EES16_EEDaS11_S12_EUlS11_E_NS1_11comp_targetILNS1_3genE2ELNS1_11target_archE906ELNS1_3gpuE6ELNS1_3repE0EEENS1_30default_config_static_selectorELNS0_4arch9wavefront6targetE1EEEvT1_.num_agpr, 0
	.set _ZN7rocprim17ROCPRIM_400000_NS6detail17trampoline_kernelINS0_14default_configENS1_25partition_config_selectorILNS1_17partition_subalgoE5ElNS0_10empty_typeEbEEZZNS1_14partition_implILS5_5ELb0ES3_mN6hipcub16HIPCUB_304000_NS21CountingInputIteratorIllEEPS6_NSA_22TransformInputIteratorIb7NonZeroIdEPdlEENS0_5tupleIJPlS6_EEENSJ_IJSD_SD_EEES6_SK_JS6_EEE10hipError_tPvRmT3_T4_T5_T6_T7_T9_mT8_P12ihipStream_tbDpT10_ENKUlT_T0_E_clISt17integral_constantIbLb0EES16_EEDaS11_S12_EUlS11_E_NS1_11comp_targetILNS1_3genE2ELNS1_11target_archE906ELNS1_3gpuE6ELNS1_3repE0EEENS1_30default_config_static_selectorELNS0_4arch9wavefront6targetE1EEEvT1_.numbered_sgpr, 26
	.set _ZN7rocprim17ROCPRIM_400000_NS6detail17trampoline_kernelINS0_14default_configENS1_25partition_config_selectorILNS1_17partition_subalgoE5ElNS0_10empty_typeEbEEZZNS1_14partition_implILS5_5ELb0ES3_mN6hipcub16HIPCUB_304000_NS21CountingInputIteratorIllEEPS6_NSA_22TransformInputIteratorIb7NonZeroIdEPdlEENS0_5tupleIJPlS6_EEENSJ_IJSD_SD_EEES6_SK_JS6_EEE10hipError_tPvRmT3_T4_T5_T6_T7_T9_mT8_P12ihipStream_tbDpT10_ENKUlT_T0_E_clISt17integral_constantIbLb0EES16_EEDaS11_S12_EUlS11_E_NS1_11comp_targetILNS1_3genE2ELNS1_11target_archE906ELNS1_3gpuE6ELNS1_3repE0EEENS1_30default_config_static_selectorELNS0_4arch9wavefront6targetE1EEEvT1_.num_named_barrier, 0
	.set _ZN7rocprim17ROCPRIM_400000_NS6detail17trampoline_kernelINS0_14default_configENS1_25partition_config_selectorILNS1_17partition_subalgoE5ElNS0_10empty_typeEbEEZZNS1_14partition_implILS5_5ELb0ES3_mN6hipcub16HIPCUB_304000_NS21CountingInputIteratorIllEEPS6_NSA_22TransformInputIteratorIb7NonZeroIdEPdlEENS0_5tupleIJPlS6_EEENSJ_IJSD_SD_EEES6_SK_JS6_EEE10hipError_tPvRmT3_T4_T5_T6_T7_T9_mT8_P12ihipStream_tbDpT10_ENKUlT_T0_E_clISt17integral_constantIbLb0EES16_EEDaS11_S12_EUlS11_E_NS1_11comp_targetILNS1_3genE2ELNS1_11target_archE906ELNS1_3gpuE6ELNS1_3repE0EEENS1_30default_config_static_selectorELNS0_4arch9wavefront6targetE1EEEvT1_.private_seg_size, 0
	.set _ZN7rocprim17ROCPRIM_400000_NS6detail17trampoline_kernelINS0_14default_configENS1_25partition_config_selectorILNS1_17partition_subalgoE5ElNS0_10empty_typeEbEEZZNS1_14partition_implILS5_5ELb0ES3_mN6hipcub16HIPCUB_304000_NS21CountingInputIteratorIllEEPS6_NSA_22TransformInputIteratorIb7NonZeroIdEPdlEENS0_5tupleIJPlS6_EEENSJ_IJSD_SD_EEES6_SK_JS6_EEE10hipError_tPvRmT3_T4_T5_T6_T7_T9_mT8_P12ihipStream_tbDpT10_ENKUlT_T0_E_clISt17integral_constantIbLb0EES16_EEDaS11_S12_EUlS11_E_NS1_11comp_targetILNS1_3genE2ELNS1_11target_archE906ELNS1_3gpuE6ELNS1_3repE0EEENS1_30default_config_static_selectorELNS0_4arch9wavefront6targetE1EEEvT1_.uses_vcc, 1
	.set _ZN7rocprim17ROCPRIM_400000_NS6detail17trampoline_kernelINS0_14default_configENS1_25partition_config_selectorILNS1_17partition_subalgoE5ElNS0_10empty_typeEbEEZZNS1_14partition_implILS5_5ELb0ES3_mN6hipcub16HIPCUB_304000_NS21CountingInputIteratorIllEEPS6_NSA_22TransformInputIteratorIb7NonZeroIdEPdlEENS0_5tupleIJPlS6_EEENSJ_IJSD_SD_EEES6_SK_JS6_EEE10hipError_tPvRmT3_T4_T5_T6_T7_T9_mT8_P12ihipStream_tbDpT10_ENKUlT_T0_E_clISt17integral_constantIbLb0EES16_EEDaS11_S12_EUlS11_E_NS1_11comp_targetILNS1_3genE2ELNS1_11target_archE906ELNS1_3gpuE6ELNS1_3repE0EEENS1_30default_config_static_selectorELNS0_4arch9wavefront6targetE1EEEvT1_.uses_flat_scratch, 0
	.set _ZN7rocprim17ROCPRIM_400000_NS6detail17trampoline_kernelINS0_14default_configENS1_25partition_config_selectorILNS1_17partition_subalgoE5ElNS0_10empty_typeEbEEZZNS1_14partition_implILS5_5ELb0ES3_mN6hipcub16HIPCUB_304000_NS21CountingInputIteratorIllEEPS6_NSA_22TransformInputIteratorIb7NonZeroIdEPdlEENS0_5tupleIJPlS6_EEENSJ_IJSD_SD_EEES6_SK_JS6_EEE10hipError_tPvRmT3_T4_T5_T6_T7_T9_mT8_P12ihipStream_tbDpT10_ENKUlT_T0_E_clISt17integral_constantIbLb0EES16_EEDaS11_S12_EUlS11_E_NS1_11comp_targetILNS1_3genE2ELNS1_11target_archE906ELNS1_3gpuE6ELNS1_3repE0EEENS1_30default_config_static_selectorELNS0_4arch9wavefront6targetE1EEEvT1_.has_dyn_sized_stack, 0
	.set _ZN7rocprim17ROCPRIM_400000_NS6detail17trampoline_kernelINS0_14default_configENS1_25partition_config_selectorILNS1_17partition_subalgoE5ElNS0_10empty_typeEbEEZZNS1_14partition_implILS5_5ELb0ES3_mN6hipcub16HIPCUB_304000_NS21CountingInputIteratorIllEEPS6_NSA_22TransformInputIteratorIb7NonZeroIdEPdlEENS0_5tupleIJPlS6_EEENSJ_IJSD_SD_EEES6_SK_JS6_EEE10hipError_tPvRmT3_T4_T5_T6_T7_T9_mT8_P12ihipStream_tbDpT10_ENKUlT_T0_E_clISt17integral_constantIbLb0EES16_EEDaS11_S12_EUlS11_E_NS1_11comp_targetILNS1_3genE2ELNS1_11target_archE906ELNS1_3gpuE6ELNS1_3repE0EEENS1_30default_config_static_selectorELNS0_4arch9wavefront6targetE1EEEvT1_.has_recursion, 0
	.set _ZN7rocprim17ROCPRIM_400000_NS6detail17trampoline_kernelINS0_14default_configENS1_25partition_config_selectorILNS1_17partition_subalgoE5ElNS0_10empty_typeEbEEZZNS1_14partition_implILS5_5ELb0ES3_mN6hipcub16HIPCUB_304000_NS21CountingInputIteratorIllEEPS6_NSA_22TransformInputIteratorIb7NonZeroIdEPdlEENS0_5tupleIJPlS6_EEENSJ_IJSD_SD_EEES6_SK_JS6_EEE10hipError_tPvRmT3_T4_T5_T6_T7_T9_mT8_P12ihipStream_tbDpT10_ENKUlT_T0_E_clISt17integral_constantIbLb0EES16_EEDaS11_S12_EUlS11_E_NS1_11comp_targetILNS1_3genE2ELNS1_11target_archE906ELNS1_3gpuE6ELNS1_3repE0EEENS1_30default_config_static_selectorELNS0_4arch9wavefront6targetE1EEEvT1_.has_indirect_call, 0
	.section	.AMDGPU.csdata,"",@progbits
; Kernel info:
; codeLenInByte = 5972
; TotalNumSgprs: 30
; NumVgprs: 59
; ScratchSize: 0
; MemoryBound: 0
; FloatMode: 240
; IeeeMode: 1
; LDSByteSize: 14352 bytes/workgroup (compile time only)
; SGPRBlocks: 12
; VGPRBlocks: 14
; NumSGPRsForWavesPerEU: 102
; NumVGPRsForWavesPerEU: 59
; Occupancy: 4
; WaveLimiterHint : 1
; COMPUTE_PGM_RSRC2:SCRATCH_EN: 0
; COMPUTE_PGM_RSRC2:USER_SGPR: 6
; COMPUTE_PGM_RSRC2:TRAP_HANDLER: 0
; COMPUTE_PGM_RSRC2:TGID_X_EN: 1
; COMPUTE_PGM_RSRC2:TGID_Y_EN: 0
; COMPUTE_PGM_RSRC2:TGID_Z_EN: 0
; COMPUTE_PGM_RSRC2:TIDIG_COMP_CNT: 0
	.section	.text._ZN7rocprim17ROCPRIM_400000_NS6detail17trampoline_kernelINS0_14default_configENS1_25partition_config_selectorILNS1_17partition_subalgoE5ElNS0_10empty_typeEbEEZZNS1_14partition_implILS5_5ELb0ES3_mN6hipcub16HIPCUB_304000_NS21CountingInputIteratorIllEEPS6_NSA_22TransformInputIteratorIb7NonZeroIdEPdlEENS0_5tupleIJPlS6_EEENSJ_IJSD_SD_EEES6_SK_JS6_EEE10hipError_tPvRmT3_T4_T5_T6_T7_T9_mT8_P12ihipStream_tbDpT10_ENKUlT_T0_E_clISt17integral_constantIbLb0EES16_EEDaS11_S12_EUlS11_E_NS1_11comp_targetILNS1_3genE10ELNS1_11target_archE1200ELNS1_3gpuE4ELNS1_3repE0EEENS1_30default_config_static_selectorELNS0_4arch9wavefront6targetE1EEEvT1_,"axG",@progbits,_ZN7rocprim17ROCPRIM_400000_NS6detail17trampoline_kernelINS0_14default_configENS1_25partition_config_selectorILNS1_17partition_subalgoE5ElNS0_10empty_typeEbEEZZNS1_14partition_implILS5_5ELb0ES3_mN6hipcub16HIPCUB_304000_NS21CountingInputIteratorIllEEPS6_NSA_22TransformInputIteratorIb7NonZeroIdEPdlEENS0_5tupleIJPlS6_EEENSJ_IJSD_SD_EEES6_SK_JS6_EEE10hipError_tPvRmT3_T4_T5_T6_T7_T9_mT8_P12ihipStream_tbDpT10_ENKUlT_T0_E_clISt17integral_constantIbLb0EES16_EEDaS11_S12_EUlS11_E_NS1_11comp_targetILNS1_3genE10ELNS1_11target_archE1200ELNS1_3gpuE4ELNS1_3repE0EEENS1_30default_config_static_selectorELNS0_4arch9wavefront6targetE1EEEvT1_,comdat
	.protected	_ZN7rocprim17ROCPRIM_400000_NS6detail17trampoline_kernelINS0_14default_configENS1_25partition_config_selectorILNS1_17partition_subalgoE5ElNS0_10empty_typeEbEEZZNS1_14partition_implILS5_5ELb0ES3_mN6hipcub16HIPCUB_304000_NS21CountingInputIteratorIllEEPS6_NSA_22TransformInputIteratorIb7NonZeroIdEPdlEENS0_5tupleIJPlS6_EEENSJ_IJSD_SD_EEES6_SK_JS6_EEE10hipError_tPvRmT3_T4_T5_T6_T7_T9_mT8_P12ihipStream_tbDpT10_ENKUlT_T0_E_clISt17integral_constantIbLb0EES16_EEDaS11_S12_EUlS11_E_NS1_11comp_targetILNS1_3genE10ELNS1_11target_archE1200ELNS1_3gpuE4ELNS1_3repE0EEENS1_30default_config_static_selectorELNS0_4arch9wavefront6targetE1EEEvT1_ ; -- Begin function _ZN7rocprim17ROCPRIM_400000_NS6detail17trampoline_kernelINS0_14default_configENS1_25partition_config_selectorILNS1_17partition_subalgoE5ElNS0_10empty_typeEbEEZZNS1_14partition_implILS5_5ELb0ES3_mN6hipcub16HIPCUB_304000_NS21CountingInputIteratorIllEEPS6_NSA_22TransformInputIteratorIb7NonZeroIdEPdlEENS0_5tupleIJPlS6_EEENSJ_IJSD_SD_EEES6_SK_JS6_EEE10hipError_tPvRmT3_T4_T5_T6_T7_T9_mT8_P12ihipStream_tbDpT10_ENKUlT_T0_E_clISt17integral_constantIbLb0EES16_EEDaS11_S12_EUlS11_E_NS1_11comp_targetILNS1_3genE10ELNS1_11target_archE1200ELNS1_3gpuE4ELNS1_3repE0EEENS1_30default_config_static_selectorELNS0_4arch9wavefront6targetE1EEEvT1_
	.globl	_ZN7rocprim17ROCPRIM_400000_NS6detail17trampoline_kernelINS0_14default_configENS1_25partition_config_selectorILNS1_17partition_subalgoE5ElNS0_10empty_typeEbEEZZNS1_14partition_implILS5_5ELb0ES3_mN6hipcub16HIPCUB_304000_NS21CountingInputIteratorIllEEPS6_NSA_22TransformInputIteratorIb7NonZeroIdEPdlEENS0_5tupleIJPlS6_EEENSJ_IJSD_SD_EEES6_SK_JS6_EEE10hipError_tPvRmT3_T4_T5_T6_T7_T9_mT8_P12ihipStream_tbDpT10_ENKUlT_T0_E_clISt17integral_constantIbLb0EES16_EEDaS11_S12_EUlS11_E_NS1_11comp_targetILNS1_3genE10ELNS1_11target_archE1200ELNS1_3gpuE4ELNS1_3repE0EEENS1_30default_config_static_selectorELNS0_4arch9wavefront6targetE1EEEvT1_
	.p2align	8
	.type	_ZN7rocprim17ROCPRIM_400000_NS6detail17trampoline_kernelINS0_14default_configENS1_25partition_config_selectorILNS1_17partition_subalgoE5ElNS0_10empty_typeEbEEZZNS1_14partition_implILS5_5ELb0ES3_mN6hipcub16HIPCUB_304000_NS21CountingInputIteratorIllEEPS6_NSA_22TransformInputIteratorIb7NonZeroIdEPdlEENS0_5tupleIJPlS6_EEENSJ_IJSD_SD_EEES6_SK_JS6_EEE10hipError_tPvRmT3_T4_T5_T6_T7_T9_mT8_P12ihipStream_tbDpT10_ENKUlT_T0_E_clISt17integral_constantIbLb0EES16_EEDaS11_S12_EUlS11_E_NS1_11comp_targetILNS1_3genE10ELNS1_11target_archE1200ELNS1_3gpuE4ELNS1_3repE0EEENS1_30default_config_static_selectorELNS0_4arch9wavefront6targetE1EEEvT1_,@function
_ZN7rocprim17ROCPRIM_400000_NS6detail17trampoline_kernelINS0_14default_configENS1_25partition_config_selectorILNS1_17partition_subalgoE5ElNS0_10empty_typeEbEEZZNS1_14partition_implILS5_5ELb0ES3_mN6hipcub16HIPCUB_304000_NS21CountingInputIteratorIllEEPS6_NSA_22TransformInputIteratorIb7NonZeroIdEPdlEENS0_5tupleIJPlS6_EEENSJ_IJSD_SD_EEES6_SK_JS6_EEE10hipError_tPvRmT3_T4_T5_T6_T7_T9_mT8_P12ihipStream_tbDpT10_ENKUlT_T0_E_clISt17integral_constantIbLb0EES16_EEDaS11_S12_EUlS11_E_NS1_11comp_targetILNS1_3genE10ELNS1_11target_archE1200ELNS1_3gpuE4ELNS1_3repE0EEENS1_30default_config_static_selectorELNS0_4arch9wavefront6targetE1EEEvT1_: ; @_ZN7rocprim17ROCPRIM_400000_NS6detail17trampoline_kernelINS0_14default_configENS1_25partition_config_selectorILNS1_17partition_subalgoE5ElNS0_10empty_typeEbEEZZNS1_14partition_implILS5_5ELb0ES3_mN6hipcub16HIPCUB_304000_NS21CountingInputIteratorIllEEPS6_NSA_22TransformInputIteratorIb7NonZeroIdEPdlEENS0_5tupleIJPlS6_EEENSJ_IJSD_SD_EEES6_SK_JS6_EEE10hipError_tPvRmT3_T4_T5_T6_T7_T9_mT8_P12ihipStream_tbDpT10_ENKUlT_T0_E_clISt17integral_constantIbLb0EES16_EEDaS11_S12_EUlS11_E_NS1_11comp_targetILNS1_3genE10ELNS1_11target_archE1200ELNS1_3gpuE4ELNS1_3repE0EEENS1_30default_config_static_selectorELNS0_4arch9wavefront6targetE1EEEvT1_
; %bb.0:
	.section	.rodata,"a",@progbits
	.p2align	6, 0x0
	.amdhsa_kernel _ZN7rocprim17ROCPRIM_400000_NS6detail17trampoline_kernelINS0_14default_configENS1_25partition_config_selectorILNS1_17partition_subalgoE5ElNS0_10empty_typeEbEEZZNS1_14partition_implILS5_5ELb0ES3_mN6hipcub16HIPCUB_304000_NS21CountingInputIteratorIllEEPS6_NSA_22TransformInputIteratorIb7NonZeroIdEPdlEENS0_5tupleIJPlS6_EEENSJ_IJSD_SD_EEES6_SK_JS6_EEE10hipError_tPvRmT3_T4_T5_T6_T7_T9_mT8_P12ihipStream_tbDpT10_ENKUlT_T0_E_clISt17integral_constantIbLb0EES16_EEDaS11_S12_EUlS11_E_NS1_11comp_targetILNS1_3genE10ELNS1_11target_archE1200ELNS1_3gpuE4ELNS1_3repE0EEENS1_30default_config_static_selectorELNS0_4arch9wavefront6targetE1EEEvT1_
		.amdhsa_group_segment_fixed_size 0
		.amdhsa_private_segment_fixed_size 0
		.amdhsa_kernarg_size 120
		.amdhsa_user_sgpr_count 6
		.amdhsa_user_sgpr_private_segment_buffer 1
		.amdhsa_user_sgpr_dispatch_ptr 0
		.amdhsa_user_sgpr_queue_ptr 0
		.amdhsa_user_sgpr_kernarg_segment_ptr 1
		.amdhsa_user_sgpr_dispatch_id 0
		.amdhsa_user_sgpr_flat_scratch_init 0
		.amdhsa_user_sgpr_private_segment_size 0
		.amdhsa_uses_dynamic_stack 0
		.amdhsa_system_sgpr_private_segment_wavefront_offset 0
		.amdhsa_system_sgpr_workgroup_id_x 1
		.amdhsa_system_sgpr_workgroup_id_y 0
		.amdhsa_system_sgpr_workgroup_id_z 0
		.amdhsa_system_sgpr_workgroup_info 0
		.amdhsa_system_vgpr_workitem_id 0
		.amdhsa_next_free_vgpr 1
		.amdhsa_next_free_sgpr 0
		.amdhsa_reserve_vcc 0
		.amdhsa_reserve_flat_scratch 0
		.amdhsa_float_round_mode_32 0
		.amdhsa_float_round_mode_16_64 0
		.amdhsa_float_denorm_mode_32 3
		.amdhsa_float_denorm_mode_16_64 3
		.amdhsa_dx10_clamp 1
		.amdhsa_ieee_mode 1
		.amdhsa_fp16_overflow 0
		.amdhsa_exception_fp_ieee_invalid_op 0
		.amdhsa_exception_fp_denorm_src 0
		.amdhsa_exception_fp_ieee_div_zero 0
		.amdhsa_exception_fp_ieee_overflow 0
		.amdhsa_exception_fp_ieee_underflow 0
		.amdhsa_exception_fp_ieee_inexact 0
		.amdhsa_exception_int_div_zero 0
	.end_amdhsa_kernel
	.section	.text._ZN7rocprim17ROCPRIM_400000_NS6detail17trampoline_kernelINS0_14default_configENS1_25partition_config_selectorILNS1_17partition_subalgoE5ElNS0_10empty_typeEbEEZZNS1_14partition_implILS5_5ELb0ES3_mN6hipcub16HIPCUB_304000_NS21CountingInputIteratorIllEEPS6_NSA_22TransformInputIteratorIb7NonZeroIdEPdlEENS0_5tupleIJPlS6_EEENSJ_IJSD_SD_EEES6_SK_JS6_EEE10hipError_tPvRmT3_T4_T5_T6_T7_T9_mT8_P12ihipStream_tbDpT10_ENKUlT_T0_E_clISt17integral_constantIbLb0EES16_EEDaS11_S12_EUlS11_E_NS1_11comp_targetILNS1_3genE10ELNS1_11target_archE1200ELNS1_3gpuE4ELNS1_3repE0EEENS1_30default_config_static_selectorELNS0_4arch9wavefront6targetE1EEEvT1_,"axG",@progbits,_ZN7rocprim17ROCPRIM_400000_NS6detail17trampoline_kernelINS0_14default_configENS1_25partition_config_selectorILNS1_17partition_subalgoE5ElNS0_10empty_typeEbEEZZNS1_14partition_implILS5_5ELb0ES3_mN6hipcub16HIPCUB_304000_NS21CountingInputIteratorIllEEPS6_NSA_22TransformInputIteratorIb7NonZeroIdEPdlEENS0_5tupleIJPlS6_EEENSJ_IJSD_SD_EEES6_SK_JS6_EEE10hipError_tPvRmT3_T4_T5_T6_T7_T9_mT8_P12ihipStream_tbDpT10_ENKUlT_T0_E_clISt17integral_constantIbLb0EES16_EEDaS11_S12_EUlS11_E_NS1_11comp_targetILNS1_3genE10ELNS1_11target_archE1200ELNS1_3gpuE4ELNS1_3repE0EEENS1_30default_config_static_selectorELNS0_4arch9wavefront6targetE1EEEvT1_,comdat
.Lfunc_end326:
	.size	_ZN7rocprim17ROCPRIM_400000_NS6detail17trampoline_kernelINS0_14default_configENS1_25partition_config_selectorILNS1_17partition_subalgoE5ElNS0_10empty_typeEbEEZZNS1_14partition_implILS5_5ELb0ES3_mN6hipcub16HIPCUB_304000_NS21CountingInputIteratorIllEEPS6_NSA_22TransformInputIteratorIb7NonZeroIdEPdlEENS0_5tupleIJPlS6_EEENSJ_IJSD_SD_EEES6_SK_JS6_EEE10hipError_tPvRmT3_T4_T5_T6_T7_T9_mT8_P12ihipStream_tbDpT10_ENKUlT_T0_E_clISt17integral_constantIbLb0EES16_EEDaS11_S12_EUlS11_E_NS1_11comp_targetILNS1_3genE10ELNS1_11target_archE1200ELNS1_3gpuE4ELNS1_3repE0EEENS1_30default_config_static_selectorELNS0_4arch9wavefront6targetE1EEEvT1_, .Lfunc_end326-_ZN7rocprim17ROCPRIM_400000_NS6detail17trampoline_kernelINS0_14default_configENS1_25partition_config_selectorILNS1_17partition_subalgoE5ElNS0_10empty_typeEbEEZZNS1_14partition_implILS5_5ELb0ES3_mN6hipcub16HIPCUB_304000_NS21CountingInputIteratorIllEEPS6_NSA_22TransformInputIteratorIb7NonZeroIdEPdlEENS0_5tupleIJPlS6_EEENSJ_IJSD_SD_EEES6_SK_JS6_EEE10hipError_tPvRmT3_T4_T5_T6_T7_T9_mT8_P12ihipStream_tbDpT10_ENKUlT_T0_E_clISt17integral_constantIbLb0EES16_EEDaS11_S12_EUlS11_E_NS1_11comp_targetILNS1_3genE10ELNS1_11target_archE1200ELNS1_3gpuE4ELNS1_3repE0EEENS1_30default_config_static_selectorELNS0_4arch9wavefront6targetE1EEEvT1_
                                        ; -- End function
	.set _ZN7rocprim17ROCPRIM_400000_NS6detail17trampoline_kernelINS0_14default_configENS1_25partition_config_selectorILNS1_17partition_subalgoE5ElNS0_10empty_typeEbEEZZNS1_14partition_implILS5_5ELb0ES3_mN6hipcub16HIPCUB_304000_NS21CountingInputIteratorIllEEPS6_NSA_22TransformInputIteratorIb7NonZeroIdEPdlEENS0_5tupleIJPlS6_EEENSJ_IJSD_SD_EEES6_SK_JS6_EEE10hipError_tPvRmT3_T4_T5_T6_T7_T9_mT8_P12ihipStream_tbDpT10_ENKUlT_T0_E_clISt17integral_constantIbLb0EES16_EEDaS11_S12_EUlS11_E_NS1_11comp_targetILNS1_3genE10ELNS1_11target_archE1200ELNS1_3gpuE4ELNS1_3repE0EEENS1_30default_config_static_selectorELNS0_4arch9wavefront6targetE1EEEvT1_.num_vgpr, 0
	.set _ZN7rocprim17ROCPRIM_400000_NS6detail17trampoline_kernelINS0_14default_configENS1_25partition_config_selectorILNS1_17partition_subalgoE5ElNS0_10empty_typeEbEEZZNS1_14partition_implILS5_5ELb0ES3_mN6hipcub16HIPCUB_304000_NS21CountingInputIteratorIllEEPS6_NSA_22TransformInputIteratorIb7NonZeroIdEPdlEENS0_5tupleIJPlS6_EEENSJ_IJSD_SD_EEES6_SK_JS6_EEE10hipError_tPvRmT3_T4_T5_T6_T7_T9_mT8_P12ihipStream_tbDpT10_ENKUlT_T0_E_clISt17integral_constantIbLb0EES16_EEDaS11_S12_EUlS11_E_NS1_11comp_targetILNS1_3genE10ELNS1_11target_archE1200ELNS1_3gpuE4ELNS1_3repE0EEENS1_30default_config_static_selectorELNS0_4arch9wavefront6targetE1EEEvT1_.num_agpr, 0
	.set _ZN7rocprim17ROCPRIM_400000_NS6detail17trampoline_kernelINS0_14default_configENS1_25partition_config_selectorILNS1_17partition_subalgoE5ElNS0_10empty_typeEbEEZZNS1_14partition_implILS5_5ELb0ES3_mN6hipcub16HIPCUB_304000_NS21CountingInputIteratorIllEEPS6_NSA_22TransformInputIteratorIb7NonZeroIdEPdlEENS0_5tupleIJPlS6_EEENSJ_IJSD_SD_EEES6_SK_JS6_EEE10hipError_tPvRmT3_T4_T5_T6_T7_T9_mT8_P12ihipStream_tbDpT10_ENKUlT_T0_E_clISt17integral_constantIbLb0EES16_EEDaS11_S12_EUlS11_E_NS1_11comp_targetILNS1_3genE10ELNS1_11target_archE1200ELNS1_3gpuE4ELNS1_3repE0EEENS1_30default_config_static_selectorELNS0_4arch9wavefront6targetE1EEEvT1_.numbered_sgpr, 0
	.set _ZN7rocprim17ROCPRIM_400000_NS6detail17trampoline_kernelINS0_14default_configENS1_25partition_config_selectorILNS1_17partition_subalgoE5ElNS0_10empty_typeEbEEZZNS1_14partition_implILS5_5ELb0ES3_mN6hipcub16HIPCUB_304000_NS21CountingInputIteratorIllEEPS6_NSA_22TransformInputIteratorIb7NonZeroIdEPdlEENS0_5tupleIJPlS6_EEENSJ_IJSD_SD_EEES6_SK_JS6_EEE10hipError_tPvRmT3_T4_T5_T6_T7_T9_mT8_P12ihipStream_tbDpT10_ENKUlT_T0_E_clISt17integral_constantIbLb0EES16_EEDaS11_S12_EUlS11_E_NS1_11comp_targetILNS1_3genE10ELNS1_11target_archE1200ELNS1_3gpuE4ELNS1_3repE0EEENS1_30default_config_static_selectorELNS0_4arch9wavefront6targetE1EEEvT1_.num_named_barrier, 0
	.set _ZN7rocprim17ROCPRIM_400000_NS6detail17trampoline_kernelINS0_14default_configENS1_25partition_config_selectorILNS1_17partition_subalgoE5ElNS0_10empty_typeEbEEZZNS1_14partition_implILS5_5ELb0ES3_mN6hipcub16HIPCUB_304000_NS21CountingInputIteratorIllEEPS6_NSA_22TransformInputIteratorIb7NonZeroIdEPdlEENS0_5tupleIJPlS6_EEENSJ_IJSD_SD_EEES6_SK_JS6_EEE10hipError_tPvRmT3_T4_T5_T6_T7_T9_mT8_P12ihipStream_tbDpT10_ENKUlT_T0_E_clISt17integral_constantIbLb0EES16_EEDaS11_S12_EUlS11_E_NS1_11comp_targetILNS1_3genE10ELNS1_11target_archE1200ELNS1_3gpuE4ELNS1_3repE0EEENS1_30default_config_static_selectorELNS0_4arch9wavefront6targetE1EEEvT1_.private_seg_size, 0
	.set _ZN7rocprim17ROCPRIM_400000_NS6detail17trampoline_kernelINS0_14default_configENS1_25partition_config_selectorILNS1_17partition_subalgoE5ElNS0_10empty_typeEbEEZZNS1_14partition_implILS5_5ELb0ES3_mN6hipcub16HIPCUB_304000_NS21CountingInputIteratorIllEEPS6_NSA_22TransformInputIteratorIb7NonZeroIdEPdlEENS0_5tupleIJPlS6_EEENSJ_IJSD_SD_EEES6_SK_JS6_EEE10hipError_tPvRmT3_T4_T5_T6_T7_T9_mT8_P12ihipStream_tbDpT10_ENKUlT_T0_E_clISt17integral_constantIbLb0EES16_EEDaS11_S12_EUlS11_E_NS1_11comp_targetILNS1_3genE10ELNS1_11target_archE1200ELNS1_3gpuE4ELNS1_3repE0EEENS1_30default_config_static_selectorELNS0_4arch9wavefront6targetE1EEEvT1_.uses_vcc, 0
	.set _ZN7rocprim17ROCPRIM_400000_NS6detail17trampoline_kernelINS0_14default_configENS1_25partition_config_selectorILNS1_17partition_subalgoE5ElNS0_10empty_typeEbEEZZNS1_14partition_implILS5_5ELb0ES3_mN6hipcub16HIPCUB_304000_NS21CountingInputIteratorIllEEPS6_NSA_22TransformInputIteratorIb7NonZeroIdEPdlEENS0_5tupleIJPlS6_EEENSJ_IJSD_SD_EEES6_SK_JS6_EEE10hipError_tPvRmT3_T4_T5_T6_T7_T9_mT8_P12ihipStream_tbDpT10_ENKUlT_T0_E_clISt17integral_constantIbLb0EES16_EEDaS11_S12_EUlS11_E_NS1_11comp_targetILNS1_3genE10ELNS1_11target_archE1200ELNS1_3gpuE4ELNS1_3repE0EEENS1_30default_config_static_selectorELNS0_4arch9wavefront6targetE1EEEvT1_.uses_flat_scratch, 0
	.set _ZN7rocprim17ROCPRIM_400000_NS6detail17trampoline_kernelINS0_14default_configENS1_25partition_config_selectorILNS1_17partition_subalgoE5ElNS0_10empty_typeEbEEZZNS1_14partition_implILS5_5ELb0ES3_mN6hipcub16HIPCUB_304000_NS21CountingInputIteratorIllEEPS6_NSA_22TransformInputIteratorIb7NonZeroIdEPdlEENS0_5tupleIJPlS6_EEENSJ_IJSD_SD_EEES6_SK_JS6_EEE10hipError_tPvRmT3_T4_T5_T6_T7_T9_mT8_P12ihipStream_tbDpT10_ENKUlT_T0_E_clISt17integral_constantIbLb0EES16_EEDaS11_S12_EUlS11_E_NS1_11comp_targetILNS1_3genE10ELNS1_11target_archE1200ELNS1_3gpuE4ELNS1_3repE0EEENS1_30default_config_static_selectorELNS0_4arch9wavefront6targetE1EEEvT1_.has_dyn_sized_stack, 0
	.set _ZN7rocprim17ROCPRIM_400000_NS6detail17trampoline_kernelINS0_14default_configENS1_25partition_config_selectorILNS1_17partition_subalgoE5ElNS0_10empty_typeEbEEZZNS1_14partition_implILS5_5ELb0ES3_mN6hipcub16HIPCUB_304000_NS21CountingInputIteratorIllEEPS6_NSA_22TransformInputIteratorIb7NonZeroIdEPdlEENS0_5tupleIJPlS6_EEENSJ_IJSD_SD_EEES6_SK_JS6_EEE10hipError_tPvRmT3_T4_T5_T6_T7_T9_mT8_P12ihipStream_tbDpT10_ENKUlT_T0_E_clISt17integral_constantIbLb0EES16_EEDaS11_S12_EUlS11_E_NS1_11comp_targetILNS1_3genE10ELNS1_11target_archE1200ELNS1_3gpuE4ELNS1_3repE0EEENS1_30default_config_static_selectorELNS0_4arch9wavefront6targetE1EEEvT1_.has_recursion, 0
	.set _ZN7rocprim17ROCPRIM_400000_NS6detail17trampoline_kernelINS0_14default_configENS1_25partition_config_selectorILNS1_17partition_subalgoE5ElNS0_10empty_typeEbEEZZNS1_14partition_implILS5_5ELb0ES3_mN6hipcub16HIPCUB_304000_NS21CountingInputIteratorIllEEPS6_NSA_22TransformInputIteratorIb7NonZeroIdEPdlEENS0_5tupleIJPlS6_EEENSJ_IJSD_SD_EEES6_SK_JS6_EEE10hipError_tPvRmT3_T4_T5_T6_T7_T9_mT8_P12ihipStream_tbDpT10_ENKUlT_T0_E_clISt17integral_constantIbLb0EES16_EEDaS11_S12_EUlS11_E_NS1_11comp_targetILNS1_3genE10ELNS1_11target_archE1200ELNS1_3gpuE4ELNS1_3repE0EEENS1_30default_config_static_selectorELNS0_4arch9wavefront6targetE1EEEvT1_.has_indirect_call, 0
	.section	.AMDGPU.csdata,"",@progbits
; Kernel info:
; codeLenInByte = 0
; TotalNumSgprs: 4
; NumVgprs: 0
; ScratchSize: 0
; MemoryBound: 0
; FloatMode: 240
; IeeeMode: 1
; LDSByteSize: 0 bytes/workgroup (compile time only)
; SGPRBlocks: 0
; VGPRBlocks: 0
; NumSGPRsForWavesPerEU: 4
; NumVGPRsForWavesPerEU: 1
; Occupancy: 10
; WaveLimiterHint : 0
; COMPUTE_PGM_RSRC2:SCRATCH_EN: 0
; COMPUTE_PGM_RSRC2:USER_SGPR: 6
; COMPUTE_PGM_RSRC2:TRAP_HANDLER: 0
; COMPUTE_PGM_RSRC2:TGID_X_EN: 1
; COMPUTE_PGM_RSRC2:TGID_Y_EN: 0
; COMPUTE_PGM_RSRC2:TGID_Z_EN: 0
; COMPUTE_PGM_RSRC2:TIDIG_COMP_CNT: 0
	.section	.text._ZN7rocprim17ROCPRIM_400000_NS6detail17trampoline_kernelINS0_14default_configENS1_25partition_config_selectorILNS1_17partition_subalgoE5ElNS0_10empty_typeEbEEZZNS1_14partition_implILS5_5ELb0ES3_mN6hipcub16HIPCUB_304000_NS21CountingInputIteratorIllEEPS6_NSA_22TransformInputIteratorIb7NonZeroIdEPdlEENS0_5tupleIJPlS6_EEENSJ_IJSD_SD_EEES6_SK_JS6_EEE10hipError_tPvRmT3_T4_T5_T6_T7_T9_mT8_P12ihipStream_tbDpT10_ENKUlT_T0_E_clISt17integral_constantIbLb0EES16_EEDaS11_S12_EUlS11_E_NS1_11comp_targetILNS1_3genE9ELNS1_11target_archE1100ELNS1_3gpuE3ELNS1_3repE0EEENS1_30default_config_static_selectorELNS0_4arch9wavefront6targetE1EEEvT1_,"axG",@progbits,_ZN7rocprim17ROCPRIM_400000_NS6detail17trampoline_kernelINS0_14default_configENS1_25partition_config_selectorILNS1_17partition_subalgoE5ElNS0_10empty_typeEbEEZZNS1_14partition_implILS5_5ELb0ES3_mN6hipcub16HIPCUB_304000_NS21CountingInputIteratorIllEEPS6_NSA_22TransformInputIteratorIb7NonZeroIdEPdlEENS0_5tupleIJPlS6_EEENSJ_IJSD_SD_EEES6_SK_JS6_EEE10hipError_tPvRmT3_T4_T5_T6_T7_T9_mT8_P12ihipStream_tbDpT10_ENKUlT_T0_E_clISt17integral_constantIbLb0EES16_EEDaS11_S12_EUlS11_E_NS1_11comp_targetILNS1_3genE9ELNS1_11target_archE1100ELNS1_3gpuE3ELNS1_3repE0EEENS1_30default_config_static_selectorELNS0_4arch9wavefront6targetE1EEEvT1_,comdat
	.protected	_ZN7rocprim17ROCPRIM_400000_NS6detail17trampoline_kernelINS0_14default_configENS1_25partition_config_selectorILNS1_17partition_subalgoE5ElNS0_10empty_typeEbEEZZNS1_14partition_implILS5_5ELb0ES3_mN6hipcub16HIPCUB_304000_NS21CountingInputIteratorIllEEPS6_NSA_22TransformInputIteratorIb7NonZeroIdEPdlEENS0_5tupleIJPlS6_EEENSJ_IJSD_SD_EEES6_SK_JS6_EEE10hipError_tPvRmT3_T4_T5_T6_T7_T9_mT8_P12ihipStream_tbDpT10_ENKUlT_T0_E_clISt17integral_constantIbLb0EES16_EEDaS11_S12_EUlS11_E_NS1_11comp_targetILNS1_3genE9ELNS1_11target_archE1100ELNS1_3gpuE3ELNS1_3repE0EEENS1_30default_config_static_selectorELNS0_4arch9wavefront6targetE1EEEvT1_ ; -- Begin function _ZN7rocprim17ROCPRIM_400000_NS6detail17trampoline_kernelINS0_14default_configENS1_25partition_config_selectorILNS1_17partition_subalgoE5ElNS0_10empty_typeEbEEZZNS1_14partition_implILS5_5ELb0ES3_mN6hipcub16HIPCUB_304000_NS21CountingInputIteratorIllEEPS6_NSA_22TransformInputIteratorIb7NonZeroIdEPdlEENS0_5tupleIJPlS6_EEENSJ_IJSD_SD_EEES6_SK_JS6_EEE10hipError_tPvRmT3_T4_T5_T6_T7_T9_mT8_P12ihipStream_tbDpT10_ENKUlT_T0_E_clISt17integral_constantIbLb0EES16_EEDaS11_S12_EUlS11_E_NS1_11comp_targetILNS1_3genE9ELNS1_11target_archE1100ELNS1_3gpuE3ELNS1_3repE0EEENS1_30default_config_static_selectorELNS0_4arch9wavefront6targetE1EEEvT1_
	.globl	_ZN7rocprim17ROCPRIM_400000_NS6detail17trampoline_kernelINS0_14default_configENS1_25partition_config_selectorILNS1_17partition_subalgoE5ElNS0_10empty_typeEbEEZZNS1_14partition_implILS5_5ELb0ES3_mN6hipcub16HIPCUB_304000_NS21CountingInputIteratorIllEEPS6_NSA_22TransformInputIteratorIb7NonZeroIdEPdlEENS0_5tupleIJPlS6_EEENSJ_IJSD_SD_EEES6_SK_JS6_EEE10hipError_tPvRmT3_T4_T5_T6_T7_T9_mT8_P12ihipStream_tbDpT10_ENKUlT_T0_E_clISt17integral_constantIbLb0EES16_EEDaS11_S12_EUlS11_E_NS1_11comp_targetILNS1_3genE9ELNS1_11target_archE1100ELNS1_3gpuE3ELNS1_3repE0EEENS1_30default_config_static_selectorELNS0_4arch9wavefront6targetE1EEEvT1_
	.p2align	8
	.type	_ZN7rocprim17ROCPRIM_400000_NS6detail17trampoline_kernelINS0_14default_configENS1_25partition_config_selectorILNS1_17partition_subalgoE5ElNS0_10empty_typeEbEEZZNS1_14partition_implILS5_5ELb0ES3_mN6hipcub16HIPCUB_304000_NS21CountingInputIteratorIllEEPS6_NSA_22TransformInputIteratorIb7NonZeroIdEPdlEENS0_5tupleIJPlS6_EEENSJ_IJSD_SD_EEES6_SK_JS6_EEE10hipError_tPvRmT3_T4_T5_T6_T7_T9_mT8_P12ihipStream_tbDpT10_ENKUlT_T0_E_clISt17integral_constantIbLb0EES16_EEDaS11_S12_EUlS11_E_NS1_11comp_targetILNS1_3genE9ELNS1_11target_archE1100ELNS1_3gpuE3ELNS1_3repE0EEENS1_30default_config_static_selectorELNS0_4arch9wavefront6targetE1EEEvT1_,@function
_ZN7rocprim17ROCPRIM_400000_NS6detail17trampoline_kernelINS0_14default_configENS1_25partition_config_selectorILNS1_17partition_subalgoE5ElNS0_10empty_typeEbEEZZNS1_14partition_implILS5_5ELb0ES3_mN6hipcub16HIPCUB_304000_NS21CountingInputIteratorIllEEPS6_NSA_22TransformInputIteratorIb7NonZeroIdEPdlEENS0_5tupleIJPlS6_EEENSJ_IJSD_SD_EEES6_SK_JS6_EEE10hipError_tPvRmT3_T4_T5_T6_T7_T9_mT8_P12ihipStream_tbDpT10_ENKUlT_T0_E_clISt17integral_constantIbLb0EES16_EEDaS11_S12_EUlS11_E_NS1_11comp_targetILNS1_3genE9ELNS1_11target_archE1100ELNS1_3gpuE3ELNS1_3repE0EEENS1_30default_config_static_selectorELNS0_4arch9wavefront6targetE1EEEvT1_: ; @_ZN7rocprim17ROCPRIM_400000_NS6detail17trampoline_kernelINS0_14default_configENS1_25partition_config_selectorILNS1_17partition_subalgoE5ElNS0_10empty_typeEbEEZZNS1_14partition_implILS5_5ELb0ES3_mN6hipcub16HIPCUB_304000_NS21CountingInputIteratorIllEEPS6_NSA_22TransformInputIteratorIb7NonZeroIdEPdlEENS0_5tupleIJPlS6_EEENSJ_IJSD_SD_EEES6_SK_JS6_EEE10hipError_tPvRmT3_T4_T5_T6_T7_T9_mT8_P12ihipStream_tbDpT10_ENKUlT_T0_E_clISt17integral_constantIbLb0EES16_EEDaS11_S12_EUlS11_E_NS1_11comp_targetILNS1_3genE9ELNS1_11target_archE1100ELNS1_3gpuE3ELNS1_3repE0EEENS1_30default_config_static_selectorELNS0_4arch9wavefront6targetE1EEEvT1_
; %bb.0:
	.section	.rodata,"a",@progbits
	.p2align	6, 0x0
	.amdhsa_kernel _ZN7rocprim17ROCPRIM_400000_NS6detail17trampoline_kernelINS0_14default_configENS1_25partition_config_selectorILNS1_17partition_subalgoE5ElNS0_10empty_typeEbEEZZNS1_14partition_implILS5_5ELb0ES3_mN6hipcub16HIPCUB_304000_NS21CountingInputIteratorIllEEPS6_NSA_22TransformInputIteratorIb7NonZeroIdEPdlEENS0_5tupleIJPlS6_EEENSJ_IJSD_SD_EEES6_SK_JS6_EEE10hipError_tPvRmT3_T4_T5_T6_T7_T9_mT8_P12ihipStream_tbDpT10_ENKUlT_T0_E_clISt17integral_constantIbLb0EES16_EEDaS11_S12_EUlS11_E_NS1_11comp_targetILNS1_3genE9ELNS1_11target_archE1100ELNS1_3gpuE3ELNS1_3repE0EEENS1_30default_config_static_selectorELNS0_4arch9wavefront6targetE1EEEvT1_
		.amdhsa_group_segment_fixed_size 0
		.amdhsa_private_segment_fixed_size 0
		.amdhsa_kernarg_size 120
		.amdhsa_user_sgpr_count 6
		.amdhsa_user_sgpr_private_segment_buffer 1
		.amdhsa_user_sgpr_dispatch_ptr 0
		.amdhsa_user_sgpr_queue_ptr 0
		.amdhsa_user_sgpr_kernarg_segment_ptr 1
		.amdhsa_user_sgpr_dispatch_id 0
		.amdhsa_user_sgpr_flat_scratch_init 0
		.amdhsa_user_sgpr_private_segment_size 0
		.amdhsa_uses_dynamic_stack 0
		.amdhsa_system_sgpr_private_segment_wavefront_offset 0
		.amdhsa_system_sgpr_workgroup_id_x 1
		.amdhsa_system_sgpr_workgroup_id_y 0
		.amdhsa_system_sgpr_workgroup_id_z 0
		.amdhsa_system_sgpr_workgroup_info 0
		.amdhsa_system_vgpr_workitem_id 0
		.amdhsa_next_free_vgpr 1
		.amdhsa_next_free_sgpr 0
		.amdhsa_reserve_vcc 0
		.amdhsa_reserve_flat_scratch 0
		.amdhsa_float_round_mode_32 0
		.amdhsa_float_round_mode_16_64 0
		.amdhsa_float_denorm_mode_32 3
		.amdhsa_float_denorm_mode_16_64 3
		.amdhsa_dx10_clamp 1
		.amdhsa_ieee_mode 1
		.amdhsa_fp16_overflow 0
		.amdhsa_exception_fp_ieee_invalid_op 0
		.amdhsa_exception_fp_denorm_src 0
		.amdhsa_exception_fp_ieee_div_zero 0
		.amdhsa_exception_fp_ieee_overflow 0
		.amdhsa_exception_fp_ieee_underflow 0
		.amdhsa_exception_fp_ieee_inexact 0
		.amdhsa_exception_int_div_zero 0
	.end_amdhsa_kernel
	.section	.text._ZN7rocprim17ROCPRIM_400000_NS6detail17trampoline_kernelINS0_14default_configENS1_25partition_config_selectorILNS1_17partition_subalgoE5ElNS0_10empty_typeEbEEZZNS1_14partition_implILS5_5ELb0ES3_mN6hipcub16HIPCUB_304000_NS21CountingInputIteratorIllEEPS6_NSA_22TransformInputIteratorIb7NonZeroIdEPdlEENS0_5tupleIJPlS6_EEENSJ_IJSD_SD_EEES6_SK_JS6_EEE10hipError_tPvRmT3_T4_T5_T6_T7_T9_mT8_P12ihipStream_tbDpT10_ENKUlT_T0_E_clISt17integral_constantIbLb0EES16_EEDaS11_S12_EUlS11_E_NS1_11comp_targetILNS1_3genE9ELNS1_11target_archE1100ELNS1_3gpuE3ELNS1_3repE0EEENS1_30default_config_static_selectorELNS0_4arch9wavefront6targetE1EEEvT1_,"axG",@progbits,_ZN7rocprim17ROCPRIM_400000_NS6detail17trampoline_kernelINS0_14default_configENS1_25partition_config_selectorILNS1_17partition_subalgoE5ElNS0_10empty_typeEbEEZZNS1_14partition_implILS5_5ELb0ES3_mN6hipcub16HIPCUB_304000_NS21CountingInputIteratorIllEEPS6_NSA_22TransformInputIteratorIb7NonZeroIdEPdlEENS0_5tupleIJPlS6_EEENSJ_IJSD_SD_EEES6_SK_JS6_EEE10hipError_tPvRmT3_T4_T5_T6_T7_T9_mT8_P12ihipStream_tbDpT10_ENKUlT_T0_E_clISt17integral_constantIbLb0EES16_EEDaS11_S12_EUlS11_E_NS1_11comp_targetILNS1_3genE9ELNS1_11target_archE1100ELNS1_3gpuE3ELNS1_3repE0EEENS1_30default_config_static_selectorELNS0_4arch9wavefront6targetE1EEEvT1_,comdat
.Lfunc_end327:
	.size	_ZN7rocprim17ROCPRIM_400000_NS6detail17trampoline_kernelINS0_14default_configENS1_25partition_config_selectorILNS1_17partition_subalgoE5ElNS0_10empty_typeEbEEZZNS1_14partition_implILS5_5ELb0ES3_mN6hipcub16HIPCUB_304000_NS21CountingInputIteratorIllEEPS6_NSA_22TransformInputIteratorIb7NonZeroIdEPdlEENS0_5tupleIJPlS6_EEENSJ_IJSD_SD_EEES6_SK_JS6_EEE10hipError_tPvRmT3_T4_T5_T6_T7_T9_mT8_P12ihipStream_tbDpT10_ENKUlT_T0_E_clISt17integral_constantIbLb0EES16_EEDaS11_S12_EUlS11_E_NS1_11comp_targetILNS1_3genE9ELNS1_11target_archE1100ELNS1_3gpuE3ELNS1_3repE0EEENS1_30default_config_static_selectorELNS0_4arch9wavefront6targetE1EEEvT1_, .Lfunc_end327-_ZN7rocprim17ROCPRIM_400000_NS6detail17trampoline_kernelINS0_14default_configENS1_25partition_config_selectorILNS1_17partition_subalgoE5ElNS0_10empty_typeEbEEZZNS1_14partition_implILS5_5ELb0ES3_mN6hipcub16HIPCUB_304000_NS21CountingInputIteratorIllEEPS6_NSA_22TransformInputIteratorIb7NonZeroIdEPdlEENS0_5tupleIJPlS6_EEENSJ_IJSD_SD_EEES6_SK_JS6_EEE10hipError_tPvRmT3_T4_T5_T6_T7_T9_mT8_P12ihipStream_tbDpT10_ENKUlT_T0_E_clISt17integral_constantIbLb0EES16_EEDaS11_S12_EUlS11_E_NS1_11comp_targetILNS1_3genE9ELNS1_11target_archE1100ELNS1_3gpuE3ELNS1_3repE0EEENS1_30default_config_static_selectorELNS0_4arch9wavefront6targetE1EEEvT1_
                                        ; -- End function
	.set _ZN7rocprim17ROCPRIM_400000_NS6detail17trampoline_kernelINS0_14default_configENS1_25partition_config_selectorILNS1_17partition_subalgoE5ElNS0_10empty_typeEbEEZZNS1_14partition_implILS5_5ELb0ES3_mN6hipcub16HIPCUB_304000_NS21CountingInputIteratorIllEEPS6_NSA_22TransformInputIteratorIb7NonZeroIdEPdlEENS0_5tupleIJPlS6_EEENSJ_IJSD_SD_EEES6_SK_JS6_EEE10hipError_tPvRmT3_T4_T5_T6_T7_T9_mT8_P12ihipStream_tbDpT10_ENKUlT_T0_E_clISt17integral_constantIbLb0EES16_EEDaS11_S12_EUlS11_E_NS1_11comp_targetILNS1_3genE9ELNS1_11target_archE1100ELNS1_3gpuE3ELNS1_3repE0EEENS1_30default_config_static_selectorELNS0_4arch9wavefront6targetE1EEEvT1_.num_vgpr, 0
	.set _ZN7rocprim17ROCPRIM_400000_NS6detail17trampoline_kernelINS0_14default_configENS1_25partition_config_selectorILNS1_17partition_subalgoE5ElNS0_10empty_typeEbEEZZNS1_14partition_implILS5_5ELb0ES3_mN6hipcub16HIPCUB_304000_NS21CountingInputIteratorIllEEPS6_NSA_22TransformInputIteratorIb7NonZeroIdEPdlEENS0_5tupleIJPlS6_EEENSJ_IJSD_SD_EEES6_SK_JS6_EEE10hipError_tPvRmT3_T4_T5_T6_T7_T9_mT8_P12ihipStream_tbDpT10_ENKUlT_T0_E_clISt17integral_constantIbLb0EES16_EEDaS11_S12_EUlS11_E_NS1_11comp_targetILNS1_3genE9ELNS1_11target_archE1100ELNS1_3gpuE3ELNS1_3repE0EEENS1_30default_config_static_selectorELNS0_4arch9wavefront6targetE1EEEvT1_.num_agpr, 0
	.set _ZN7rocprim17ROCPRIM_400000_NS6detail17trampoline_kernelINS0_14default_configENS1_25partition_config_selectorILNS1_17partition_subalgoE5ElNS0_10empty_typeEbEEZZNS1_14partition_implILS5_5ELb0ES3_mN6hipcub16HIPCUB_304000_NS21CountingInputIteratorIllEEPS6_NSA_22TransformInputIteratorIb7NonZeroIdEPdlEENS0_5tupleIJPlS6_EEENSJ_IJSD_SD_EEES6_SK_JS6_EEE10hipError_tPvRmT3_T4_T5_T6_T7_T9_mT8_P12ihipStream_tbDpT10_ENKUlT_T0_E_clISt17integral_constantIbLb0EES16_EEDaS11_S12_EUlS11_E_NS1_11comp_targetILNS1_3genE9ELNS1_11target_archE1100ELNS1_3gpuE3ELNS1_3repE0EEENS1_30default_config_static_selectorELNS0_4arch9wavefront6targetE1EEEvT1_.numbered_sgpr, 0
	.set _ZN7rocprim17ROCPRIM_400000_NS6detail17trampoline_kernelINS0_14default_configENS1_25partition_config_selectorILNS1_17partition_subalgoE5ElNS0_10empty_typeEbEEZZNS1_14partition_implILS5_5ELb0ES3_mN6hipcub16HIPCUB_304000_NS21CountingInputIteratorIllEEPS6_NSA_22TransformInputIteratorIb7NonZeroIdEPdlEENS0_5tupleIJPlS6_EEENSJ_IJSD_SD_EEES6_SK_JS6_EEE10hipError_tPvRmT3_T4_T5_T6_T7_T9_mT8_P12ihipStream_tbDpT10_ENKUlT_T0_E_clISt17integral_constantIbLb0EES16_EEDaS11_S12_EUlS11_E_NS1_11comp_targetILNS1_3genE9ELNS1_11target_archE1100ELNS1_3gpuE3ELNS1_3repE0EEENS1_30default_config_static_selectorELNS0_4arch9wavefront6targetE1EEEvT1_.num_named_barrier, 0
	.set _ZN7rocprim17ROCPRIM_400000_NS6detail17trampoline_kernelINS0_14default_configENS1_25partition_config_selectorILNS1_17partition_subalgoE5ElNS0_10empty_typeEbEEZZNS1_14partition_implILS5_5ELb0ES3_mN6hipcub16HIPCUB_304000_NS21CountingInputIteratorIllEEPS6_NSA_22TransformInputIteratorIb7NonZeroIdEPdlEENS0_5tupleIJPlS6_EEENSJ_IJSD_SD_EEES6_SK_JS6_EEE10hipError_tPvRmT3_T4_T5_T6_T7_T9_mT8_P12ihipStream_tbDpT10_ENKUlT_T0_E_clISt17integral_constantIbLb0EES16_EEDaS11_S12_EUlS11_E_NS1_11comp_targetILNS1_3genE9ELNS1_11target_archE1100ELNS1_3gpuE3ELNS1_3repE0EEENS1_30default_config_static_selectorELNS0_4arch9wavefront6targetE1EEEvT1_.private_seg_size, 0
	.set _ZN7rocprim17ROCPRIM_400000_NS6detail17trampoline_kernelINS0_14default_configENS1_25partition_config_selectorILNS1_17partition_subalgoE5ElNS0_10empty_typeEbEEZZNS1_14partition_implILS5_5ELb0ES3_mN6hipcub16HIPCUB_304000_NS21CountingInputIteratorIllEEPS6_NSA_22TransformInputIteratorIb7NonZeroIdEPdlEENS0_5tupleIJPlS6_EEENSJ_IJSD_SD_EEES6_SK_JS6_EEE10hipError_tPvRmT3_T4_T5_T6_T7_T9_mT8_P12ihipStream_tbDpT10_ENKUlT_T0_E_clISt17integral_constantIbLb0EES16_EEDaS11_S12_EUlS11_E_NS1_11comp_targetILNS1_3genE9ELNS1_11target_archE1100ELNS1_3gpuE3ELNS1_3repE0EEENS1_30default_config_static_selectorELNS0_4arch9wavefront6targetE1EEEvT1_.uses_vcc, 0
	.set _ZN7rocprim17ROCPRIM_400000_NS6detail17trampoline_kernelINS0_14default_configENS1_25partition_config_selectorILNS1_17partition_subalgoE5ElNS0_10empty_typeEbEEZZNS1_14partition_implILS5_5ELb0ES3_mN6hipcub16HIPCUB_304000_NS21CountingInputIteratorIllEEPS6_NSA_22TransformInputIteratorIb7NonZeroIdEPdlEENS0_5tupleIJPlS6_EEENSJ_IJSD_SD_EEES6_SK_JS6_EEE10hipError_tPvRmT3_T4_T5_T6_T7_T9_mT8_P12ihipStream_tbDpT10_ENKUlT_T0_E_clISt17integral_constantIbLb0EES16_EEDaS11_S12_EUlS11_E_NS1_11comp_targetILNS1_3genE9ELNS1_11target_archE1100ELNS1_3gpuE3ELNS1_3repE0EEENS1_30default_config_static_selectorELNS0_4arch9wavefront6targetE1EEEvT1_.uses_flat_scratch, 0
	.set _ZN7rocprim17ROCPRIM_400000_NS6detail17trampoline_kernelINS0_14default_configENS1_25partition_config_selectorILNS1_17partition_subalgoE5ElNS0_10empty_typeEbEEZZNS1_14partition_implILS5_5ELb0ES3_mN6hipcub16HIPCUB_304000_NS21CountingInputIteratorIllEEPS6_NSA_22TransformInputIteratorIb7NonZeroIdEPdlEENS0_5tupleIJPlS6_EEENSJ_IJSD_SD_EEES6_SK_JS6_EEE10hipError_tPvRmT3_T4_T5_T6_T7_T9_mT8_P12ihipStream_tbDpT10_ENKUlT_T0_E_clISt17integral_constantIbLb0EES16_EEDaS11_S12_EUlS11_E_NS1_11comp_targetILNS1_3genE9ELNS1_11target_archE1100ELNS1_3gpuE3ELNS1_3repE0EEENS1_30default_config_static_selectorELNS0_4arch9wavefront6targetE1EEEvT1_.has_dyn_sized_stack, 0
	.set _ZN7rocprim17ROCPRIM_400000_NS6detail17trampoline_kernelINS0_14default_configENS1_25partition_config_selectorILNS1_17partition_subalgoE5ElNS0_10empty_typeEbEEZZNS1_14partition_implILS5_5ELb0ES3_mN6hipcub16HIPCUB_304000_NS21CountingInputIteratorIllEEPS6_NSA_22TransformInputIteratorIb7NonZeroIdEPdlEENS0_5tupleIJPlS6_EEENSJ_IJSD_SD_EEES6_SK_JS6_EEE10hipError_tPvRmT3_T4_T5_T6_T7_T9_mT8_P12ihipStream_tbDpT10_ENKUlT_T0_E_clISt17integral_constantIbLb0EES16_EEDaS11_S12_EUlS11_E_NS1_11comp_targetILNS1_3genE9ELNS1_11target_archE1100ELNS1_3gpuE3ELNS1_3repE0EEENS1_30default_config_static_selectorELNS0_4arch9wavefront6targetE1EEEvT1_.has_recursion, 0
	.set _ZN7rocprim17ROCPRIM_400000_NS6detail17trampoline_kernelINS0_14default_configENS1_25partition_config_selectorILNS1_17partition_subalgoE5ElNS0_10empty_typeEbEEZZNS1_14partition_implILS5_5ELb0ES3_mN6hipcub16HIPCUB_304000_NS21CountingInputIteratorIllEEPS6_NSA_22TransformInputIteratorIb7NonZeroIdEPdlEENS0_5tupleIJPlS6_EEENSJ_IJSD_SD_EEES6_SK_JS6_EEE10hipError_tPvRmT3_T4_T5_T6_T7_T9_mT8_P12ihipStream_tbDpT10_ENKUlT_T0_E_clISt17integral_constantIbLb0EES16_EEDaS11_S12_EUlS11_E_NS1_11comp_targetILNS1_3genE9ELNS1_11target_archE1100ELNS1_3gpuE3ELNS1_3repE0EEENS1_30default_config_static_selectorELNS0_4arch9wavefront6targetE1EEEvT1_.has_indirect_call, 0
	.section	.AMDGPU.csdata,"",@progbits
; Kernel info:
; codeLenInByte = 0
; TotalNumSgprs: 4
; NumVgprs: 0
; ScratchSize: 0
; MemoryBound: 0
; FloatMode: 240
; IeeeMode: 1
; LDSByteSize: 0 bytes/workgroup (compile time only)
; SGPRBlocks: 0
; VGPRBlocks: 0
; NumSGPRsForWavesPerEU: 4
; NumVGPRsForWavesPerEU: 1
; Occupancy: 10
; WaveLimiterHint : 0
; COMPUTE_PGM_RSRC2:SCRATCH_EN: 0
; COMPUTE_PGM_RSRC2:USER_SGPR: 6
; COMPUTE_PGM_RSRC2:TRAP_HANDLER: 0
; COMPUTE_PGM_RSRC2:TGID_X_EN: 1
; COMPUTE_PGM_RSRC2:TGID_Y_EN: 0
; COMPUTE_PGM_RSRC2:TGID_Z_EN: 0
; COMPUTE_PGM_RSRC2:TIDIG_COMP_CNT: 0
	.section	.text._ZN7rocprim17ROCPRIM_400000_NS6detail17trampoline_kernelINS0_14default_configENS1_25partition_config_selectorILNS1_17partition_subalgoE5ElNS0_10empty_typeEbEEZZNS1_14partition_implILS5_5ELb0ES3_mN6hipcub16HIPCUB_304000_NS21CountingInputIteratorIllEEPS6_NSA_22TransformInputIteratorIb7NonZeroIdEPdlEENS0_5tupleIJPlS6_EEENSJ_IJSD_SD_EEES6_SK_JS6_EEE10hipError_tPvRmT3_T4_T5_T6_T7_T9_mT8_P12ihipStream_tbDpT10_ENKUlT_T0_E_clISt17integral_constantIbLb0EES16_EEDaS11_S12_EUlS11_E_NS1_11comp_targetILNS1_3genE8ELNS1_11target_archE1030ELNS1_3gpuE2ELNS1_3repE0EEENS1_30default_config_static_selectorELNS0_4arch9wavefront6targetE1EEEvT1_,"axG",@progbits,_ZN7rocprim17ROCPRIM_400000_NS6detail17trampoline_kernelINS0_14default_configENS1_25partition_config_selectorILNS1_17partition_subalgoE5ElNS0_10empty_typeEbEEZZNS1_14partition_implILS5_5ELb0ES3_mN6hipcub16HIPCUB_304000_NS21CountingInputIteratorIllEEPS6_NSA_22TransformInputIteratorIb7NonZeroIdEPdlEENS0_5tupleIJPlS6_EEENSJ_IJSD_SD_EEES6_SK_JS6_EEE10hipError_tPvRmT3_T4_T5_T6_T7_T9_mT8_P12ihipStream_tbDpT10_ENKUlT_T0_E_clISt17integral_constantIbLb0EES16_EEDaS11_S12_EUlS11_E_NS1_11comp_targetILNS1_3genE8ELNS1_11target_archE1030ELNS1_3gpuE2ELNS1_3repE0EEENS1_30default_config_static_selectorELNS0_4arch9wavefront6targetE1EEEvT1_,comdat
	.protected	_ZN7rocprim17ROCPRIM_400000_NS6detail17trampoline_kernelINS0_14default_configENS1_25partition_config_selectorILNS1_17partition_subalgoE5ElNS0_10empty_typeEbEEZZNS1_14partition_implILS5_5ELb0ES3_mN6hipcub16HIPCUB_304000_NS21CountingInputIteratorIllEEPS6_NSA_22TransformInputIteratorIb7NonZeroIdEPdlEENS0_5tupleIJPlS6_EEENSJ_IJSD_SD_EEES6_SK_JS6_EEE10hipError_tPvRmT3_T4_T5_T6_T7_T9_mT8_P12ihipStream_tbDpT10_ENKUlT_T0_E_clISt17integral_constantIbLb0EES16_EEDaS11_S12_EUlS11_E_NS1_11comp_targetILNS1_3genE8ELNS1_11target_archE1030ELNS1_3gpuE2ELNS1_3repE0EEENS1_30default_config_static_selectorELNS0_4arch9wavefront6targetE1EEEvT1_ ; -- Begin function _ZN7rocprim17ROCPRIM_400000_NS6detail17trampoline_kernelINS0_14default_configENS1_25partition_config_selectorILNS1_17partition_subalgoE5ElNS0_10empty_typeEbEEZZNS1_14partition_implILS5_5ELb0ES3_mN6hipcub16HIPCUB_304000_NS21CountingInputIteratorIllEEPS6_NSA_22TransformInputIteratorIb7NonZeroIdEPdlEENS0_5tupleIJPlS6_EEENSJ_IJSD_SD_EEES6_SK_JS6_EEE10hipError_tPvRmT3_T4_T5_T6_T7_T9_mT8_P12ihipStream_tbDpT10_ENKUlT_T0_E_clISt17integral_constantIbLb0EES16_EEDaS11_S12_EUlS11_E_NS1_11comp_targetILNS1_3genE8ELNS1_11target_archE1030ELNS1_3gpuE2ELNS1_3repE0EEENS1_30default_config_static_selectorELNS0_4arch9wavefront6targetE1EEEvT1_
	.globl	_ZN7rocprim17ROCPRIM_400000_NS6detail17trampoline_kernelINS0_14default_configENS1_25partition_config_selectorILNS1_17partition_subalgoE5ElNS0_10empty_typeEbEEZZNS1_14partition_implILS5_5ELb0ES3_mN6hipcub16HIPCUB_304000_NS21CountingInputIteratorIllEEPS6_NSA_22TransformInputIteratorIb7NonZeroIdEPdlEENS0_5tupleIJPlS6_EEENSJ_IJSD_SD_EEES6_SK_JS6_EEE10hipError_tPvRmT3_T4_T5_T6_T7_T9_mT8_P12ihipStream_tbDpT10_ENKUlT_T0_E_clISt17integral_constantIbLb0EES16_EEDaS11_S12_EUlS11_E_NS1_11comp_targetILNS1_3genE8ELNS1_11target_archE1030ELNS1_3gpuE2ELNS1_3repE0EEENS1_30default_config_static_selectorELNS0_4arch9wavefront6targetE1EEEvT1_
	.p2align	8
	.type	_ZN7rocprim17ROCPRIM_400000_NS6detail17trampoline_kernelINS0_14default_configENS1_25partition_config_selectorILNS1_17partition_subalgoE5ElNS0_10empty_typeEbEEZZNS1_14partition_implILS5_5ELb0ES3_mN6hipcub16HIPCUB_304000_NS21CountingInputIteratorIllEEPS6_NSA_22TransformInputIteratorIb7NonZeroIdEPdlEENS0_5tupleIJPlS6_EEENSJ_IJSD_SD_EEES6_SK_JS6_EEE10hipError_tPvRmT3_T4_T5_T6_T7_T9_mT8_P12ihipStream_tbDpT10_ENKUlT_T0_E_clISt17integral_constantIbLb0EES16_EEDaS11_S12_EUlS11_E_NS1_11comp_targetILNS1_3genE8ELNS1_11target_archE1030ELNS1_3gpuE2ELNS1_3repE0EEENS1_30default_config_static_selectorELNS0_4arch9wavefront6targetE1EEEvT1_,@function
_ZN7rocprim17ROCPRIM_400000_NS6detail17trampoline_kernelINS0_14default_configENS1_25partition_config_selectorILNS1_17partition_subalgoE5ElNS0_10empty_typeEbEEZZNS1_14partition_implILS5_5ELb0ES3_mN6hipcub16HIPCUB_304000_NS21CountingInputIteratorIllEEPS6_NSA_22TransformInputIteratorIb7NonZeroIdEPdlEENS0_5tupleIJPlS6_EEENSJ_IJSD_SD_EEES6_SK_JS6_EEE10hipError_tPvRmT3_T4_T5_T6_T7_T9_mT8_P12ihipStream_tbDpT10_ENKUlT_T0_E_clISt17integral_constantIbLb0EES16_EEDaS11_S12_EUlS11_E_NS1_11comp_targetILNS1_3genE8ELNS1_11target_archE1030ELNS1_3gpuE2ELNS1_3repE0EEENS1_30default_config_static_selectorELNS0_4arch9wavefront6targetE1EEEvT1_: ; @_ZN7rocprim17ROCPRIM_400000_NS6detail17trampoline_kernelINS0_14default_configENS1_25partition_config_selectorILNS1_17partition_subalgoE5ElNS0_10empty_typeEbEEZZNS1_14partition_implILS5_5ELb0ES3_mN6hipcub16HIPCUB_304000_NS21CountingInputIteratorIllEEPS6_NSA_22TransformInputIteratorIb7NonZeroIdEPdlEENS0_5tupleIJPlS6_EEENSJ_IJSD_SD_EEES6_SK_JS6_EEE10hipError_tPvRmT3_T4_T5_T6_T7_T9_mT8_P12ihipStream_tbDpT10_ENKUlT_T0_E_clISt17integral_constantIbLb0EES16_EEDaS11_S12_EUlS11_E_NS1_11comp_targetILNS1_3genE8ELNS1_11target_archE1030ELNS1_3gpuE2ELNS1_3repE0EEENS1_30default_config_static_selectorELNS0_4arch9wavefront6targetE1EEEvT1_
; %bb.0:
	.section	.rodata,"a",@progbits
	.p2align	6, 0x0
	.amdhsa_kernel _ZN7rocprim17ROCPRIM_400000_NS6detail17trampoline_kernelINS0_14default_configENS1_25partition_config_selectorILNS1_17partition_subalgoE5ElNS0_10empty_typeEbEEZZNS1_14partition_implILS5_5ELb0ES3_mN6hipcub16HIPCUB_304000_NS21CountingInputIteratorIllEEPS6_NSA_22TransformInputIteratorIb7NonZeroIdEPdlEENS0_5tupleIJPlS6_EEENSJ_IJSD_SD_EEES6_SK_JS6_EEE10hipError_tPvRmT3_T4_T5_T6_T7_T9_mT8_P12ihipStream_tbDpT10_ENKUlT_T0_E_clISt17integral_constantIbLb0EES16_EEDaS11_S12_EUlS11_E_NS1_11comp_targetILNS1_3genE8ELNS1_11target_archE1030ELNS1_3gpuE2ELNS1_3repE0EEENS1_30default_config_static_selectorELNS0_4arch9wavefront6targetE1EEEvT1_
		.amdhsa_group_segment_fixed_size 0
		.amdhsa_private_segment_fixed_size 0
		.amdhsa_kernarg_size 120
		.amdhsa_user_sgpr_count 6
		.amdhsa_user_sgpr_private_segment_buffer 1
		.amdhsa_user_sgpr_dispatch_ptr 0
		.amdhsa_user_sgpr_queue_ptr 0
		.amdhsa_user_sgpr_kernarg_segment_ptr 1
		.amdhsa_user_sgpr_dispatch_id 0
		.amdhsa_user_sgpr_flat_scratch_init 0
		.amdhsa_user_sgpr_private_segment_size 0
		.amdhsa_uses_dynamic_stack 0
		.amdhsa_system_sgpr_private_segment_wavefront_offset 0
		.amdhsa_system_sgpr_workgroup_id_x 1
		.amdhsa_system_sgpr_workgroup_id_y 0
		.amdhsa_system_sgpr_workgroup_id_z 0
		.amdhsa_system_sgpr_workgroup_info 0
		.amdhsa_system_vgpr_workitem_id 0
		.amdhsa_next_free_vgpr 1
		.amdhsa_next_free_sgpr 0
		.amdhsa_reserve_vcc 0
		.amdhsa_reserve_flat_scratch 0
		.amdhsa_float_round_mode_32 0
		.amdhsa_float_round_mode_16_64 0
		.amdhsa_float_denorm_mode_32 3
		.amdhsa_float_denorm_mode_16_64 3
		.amdhsa_dx10_clamp 1
		.amdhsa_ieee_mode 1
		.amdhsa_fp16_overflow 0
		.amdhsa_exception_fp_ieee_invalid_op 0
		.amdhsa_exception_fp_denorm_src 0
		.amdhsa_exception_fp_ieee_div_zero 0
		.amdhsa_exception_fp_ieee_overflow 0
		.amdhsa_exception_fp_ieee_underflow 0
		.amdhsa_exception_fp_ieee_inexact 0
		.amdhsa_exception_int_div_zero 0
	.end_amdhsa_kernel
	.section	.text._ZN7rocprim17ROCPRIM_400000_NS6detail17trampoline_kernelINS0_14default_configENS1_25partition_config_selectorILNS1_17partition_subalgoE5ElNS0_10empty_typeEbEEZZNS1_14partition_implILS5_5ELb0ES3_mN6hipcub16HIPCUB_304000_NS21CountingInputIteratorIllEEPS6_NSA_22TransformInputIteratorIb7NonZeroIdEPdlEENS0_5tupleIJPlS6_EEENSJ_IJSD_SD_EEES6_SK_JS6_EEE10hipError_tPvRmT3_T4_T5_T6_T7_T9_mT8_P12ihipStream_tbDpT10_ENKUlT_T0_E_clISt17integral_constantIbLb0EES16_EEDaS11_S12_EUlS11_E_NS1_11comp_targetILNS1_3genE8ELNS1_11target_archE1030ELNS1_3gpuE2ELNS1_3repE0EEENS1_30default_config_static_selectorELNS0_4arch9wavefront6targetE1EEEvT1_,"axG",@progbits,_ZN7rocprim17ROCPRIM_400000_NS6detail17trampoline_kernelINS0_14default_configENS1_25partition_config_selectorILNS1_17partition_subalgoE5ElNS0_10empty_typeEbEEZZNS1_14partition_implILS5_5ELb0ES3_mN6hipcub16HIPCUB_304000_NS21CountingInputIteratorIllEEPS6_NSA_22TransformInputIteratorIb7NonZeroIdEPdlEENS0_5tupleIJPlS6_EEENSJ_IJSD_SD_EEES6_SK_JS6_EEE10hipError_tPvRmT3_T4_T5_T6_T7_T9_mT8_P12ihipStream_tbDpT10_ENKUlT_T0_E_clISt17integral_constantIbLb0EES16_EEDaS11_S12_EUlS11_E_NS1_11comp_targetILNS1_3genE8ELNS1_11target_archE1030ELNS1_3gpuE2ELNS1_3repE0EEENS1_30default_config_static_selectorELNS0_4arch9wavefront6targetE1EEEvT1_,comdat
.Lfunc_end328:
	.size	_ZN7rocprim17ROCPRIM_400000_NS6detail17trampoline_kernelINS0_14default_configENS1_25partition_config_selectorILNS1_17partition_subalgoE5ElNS0_10empty_typeEbEEZZNS1_14partition_implILS5_5ELb0ES3_mN6hipcub16HIPCUB_304000_NS21CountingInputIteratorIllEEPS6_NSA_22TransformInputIteratorIb7NonZeroIdEPdlEENS0_5tupleIJPlS6_EEENSJ_IJSD_SD_EEES6_SK_JS6_EEE10hipError_tPvRmT3_T4_T5_T6_T7_T9_mT8_P12ihipStream_tbDpT10_ENKUlT_T0_E_clISt17integral_constantIbLb0EES16_EEDaS11_S12_EUlS11_E_NS1_11comp_targetILNS1_3genE8ELNS1_11target_archE1030ELNS1_3gpuE2ELNS1_3repE0EEENS1_30default_config_static_selectorELNS0_4arch9wavefront6targetE1EEEvT1_, .Lfunc_end328-_ZN7rocprim17ROCPRIM_400000_NS6detail17trampoline_kernelINS0_14default_configENS1_25partition_config_selectorILNS1_17partition_subalgoE5ElNS0_10empty_typeEbEEZZNS1_14partition_implILS5_5ELb0ES3_mN6hipcub16HIPCUB_304000_NS21CountingInputIteratorIllEEPS6_NSA_22TransformInputIteratorIb7NonZeroIdEPdlEENS0_5tupleIJPlS6_EEENSJ_IJSD_SD_EEES6_SK_JS6_EEE10hipError_tPvRmT3_T4_T5_T6_T7_T9_mT8_P12ihipStream_tbDpT10_ENKUlT_T0_E_clISt17integral_constantIbLb0EES16_EEDaS11_S12_EUlS11_E_NS1_11comp_targetILNS1_3genE8ELNS1_11target_archE1030ELNS1_3gpuE2ELNS1_3repE0EEENS1_30default_config_static_selectorELNS0_4arch9wavefront6targetE1EEEvT1_
                                        ; -- End function
	.set _ZN7rocprim17ROCPRIM_400000_NS6detail17trampoline_kernelINS0_14default_configENS1_25partition_config_selectorILNS1_17partition_subalgoE5ElNS0_10empty_typeEbEEZZNS1_14partition_implILS5_5ELb0ES3_mN6hipcub16HIPCUB_304000_NS21CountingInputIteratorIllEEPS6_NSA_22TransformInputIteratorIb7NonZeroIdEPdlEENS0_5tupleIJPlS6_EEENSJ_IJSD_SD_EEES6_SK_JS6_EEE10hipError_tPvRmT3_T4_T5_T6_T7_T9_mT8_P12ihipStream_tbDpT10_ENKUlT_T0_E_clISt17integral_constantIbLb0EES16_EEDaS11_S12_EUlS11_E_NS1_11comp_targetILNS1_3genE8ELNS1_11target_archE1030ELNS1_3gpuE2ELNS1_3repE0EEENS1_30default_config_static_selectorELNS0_4arch9wavefront6targetE1EEEvT1_.num_vgpr, 0
	.set _ZN7rocprim17ROCPRIM_400000_NS6detail17trampoline_kernelINS0_14default_configENS1_25partition_config_selectorILNS1_17partition_subalgoE5ElNS0_10empty_typeEbEEZZNS1_14partition_implILS5_5ELb0ES3_mN6hipcub16HIPCUB_304000_NS21CountingInputIteratorIllEEPS6_NSA_22TransformInputIteratorIb7NonZeroIdEPdlEENS0_5tupleIJPlS6_EEENSJ_IJSD_SD_EEES6_SK_JS6_EEE10hipError_tPvRmT3_T4_T5_T6_T7_T9_mT8_P12ihipStream_tbDpT10_ENKUlT_T0_E_clISt17integral_constantIbLb0EES16_EEDaS11_S12_EUlS11_E_NS1_11comp_targetILNS1_3genE8ELNS1_11target_archE1030ELNS1_3gpuE2ELNS1_3repE0EEENS1_30default_config_static_selectorELNS0_4arch9wavefront6targetE1EEEvT1_.num_agpr, 0
	.set _ZN7rocprim17ROCPRIM_400000_NS6detail17trampoline_kernelINS0_14default_configENS1_25partition_config_selectorILNS1_17partition_subalgoE5ElNS0_10empty_typeEbEEZZNS1_14partition_implILS5_5ELb0ES3_mN6hipcub16HIPCUB_304000_NS21CountingInputIteratorIllEEPS6_NSA_22TransformInputIteratorIb7NonZeroIdEPdlEENS0_5tupleIJPlS6_EEENSJ_IJSD_SD_EEES6_SK_JS6_EEE10hipError_tPvRmT3_T4_T5_T6_T7_T9_mT8_P12ihipStream_tbDpT10_ENKUlT_T0_E_clISt17integral_constantIbLb0EES16_EEDaS11_S12_EUlS11_E_NS1_11comp_targetILNS1_3genE8ELNS1_11target_archE1030ELNS1_3gpuE2ELNS1_3repE0EEENS1_30default_config_static_selectorELNS0_4arch9wavefront6targetE1EEEvT1_.numbered_sgpr, 0
	.set _ZN7rocprim17ROCPRIM_400000_NS6detail17trampoline_kernelINS0_14default_configENS1_25partition_config_selectorILNS1_17partition_subalgoE5ElNS0_10empty_typeEbEEZZNS1_14partition_implILS5_5ELb0ES3_mN6hipcub16HIPCUB_304000_NS21CountingInputIteratorIllEEPS6_NSA_22TransformInputIteratorIb7NonZeroIdEPdlEENS0_5tupleIJPlS6_EEENSJ_IJSD_SD_EEES6_SK_JS6_EEE10hipError_tPvRmT3_T4_T5_T6_T7_T9_mT8_P12ihipStream_tbDpT10_ENKUlT_T0_E_clISt17integral_constantIbLb0EES16_EEDaS11_S12_EUlS11_E_NS1_11comp_targetILNS1_3genE8ELNS1_11target_archE1030ELNS1_3gpuE2ELNS1_3repE0EEENS1_30default_config_static_selectorELNS0_4arch9wavefront6targetE1EEEvT1_.num_named_barrier, 0
	.set _ZN7rocprim17ROCPRIM_400000_NS6detail17trampoline_kernelINS0_14default_configENS1_25partition_config_selectorILNS1_17partition_subalgoE5ElNS0_10empty_typeEbEEZZNS1_14partition_implILS5_5ELb0ES3_mN6hipcub16HIPCUB_304000_NS21CountingInputIteratorIllEEPS6_NSA_22TransformInputIteratorIb7NonZeroIdEPdlEENS0_5tupleIJPlS6_EEENSJ_IJSD_SD_EEES6_SK_JS6_EEE10hipError_tPvRmT3_T4_T5_T6_T7_T9_mT8_P12ihipStream_tbDpT10_ENKUlT_T0_E_clISt17integral_constantIbLb0EES16_EEDaS11_S12_EUlS11_E_NS1_11comp_targetILNS1_3genE8ELNS1_11target_archE1030ELNS1_3gpuE2ELNS1_3repE0EEENS1_30default_config_static_selectorELNS0_4arch9wavefront6targetE1EEEvT1_.private_seg_size, 0
	.set _ZN7rocprim17ROCPRIM_400000_NS6detail17trampoline_kernelINS0_14default_configENS1_25partition_config_selectorILNS1_17partition_subalgoE5ElNS0_10empty_typeEbEEZZNS1_14partition_implILS5_5ELb0ES3_mN6hipcub16HIPCUB_304000_NS21CountingInputIteratorIllEEPS6_NSA_22TransformInputIteratorIb7NonZeroIdEPdlEENS0_5tupleIJPlS6_EEENSJ_IJSD_SD_EEES6_SK_JS6_EEE10hipError_tPvRmT3_T4_T5_T6_T7_T9_mT8_P12ihipStream_tbDpT10_ENKUlT_T0_E_clISt17integral_constantIbLb0EES16_EEDaS11_S12_EUlS11_E_NS1_11comp_targetILNS1_3genE8ELNS1_11target_archE1030ELNS1_3gpuE2ELNS1_3repE0EEENS1_30default_config_static_selectorELNS0_4arch9wavefront6targetE1EEEvT1_.uses_vcc, 0
	.set _ZN7rocprim17ROCPRIM_400000_NS6detail17trampoline_kernelINS0_14default_configENS1_25partition_config_selectorILNS1_17partition_subalgoE5ElNS0_10empty_typeEbEEZZNS1_14partition_implILS5_5ELb0ES3_mN6hipcub16HIPCUB_304000_NS21CountingInputIteratorIllEEPS6_NSA_22TransformInputIteratorIb7NonZeroIdEPdlEENS0_5tupleIJPlS6_EEENSJ_IJSD_SD_EEES6_SK_JS6_EEE10hipError_tPvRmT3_T4_T5_T6_T7_T9_mT8_P12ihipStream_tbDpT10_ENKUlT_T0_E_clISt17integral_constantIbLb0EES16_EEDaS11_S12_EUlS11_E_NS1_11comp_targetILNS1_3genE8ELNS1_11target_archE1030ELNS1_3gpuE2ELNS1_3repE0EEENS1_30default_config_static_selectorELNS0_4arch9wavefront6targetE1EEEvT1_.uses_flat_scratch, 0
	.set _ZN7rocprim17ROCPRIM_400000_NS6detail17trampoline_kernelINS0_14default_configENS1_25partition_config_selectorILNS1_17partition_subalgoE5ElNS0_10empty_typeEbEEZZNS1_14partition_implILS5_5ELb0ES3_mN6hipcub16HIPCUB_304000_NS21CountingInputIteratorIllEEPS6_NSA_22TransformInputIteratorIb7NonZeroIdEPdlEENS0_5tupleIJPlS6_EEENSJ_IJSD_SD_EEES6_SK_JS6_EEE10hipError_tPvRmT3_T4_T5_T6_T7_T9_mT8_P12ihipStream_tbDpT10_ENKUlT_T0_E_clISt17integral_constantIbLb0EES16_EEDaS11_S12_EUlS11_E_NS1_11comp_targetILNS1_3genE8ELNS1_11target_archE1030ELNS1_3gpuE2ELNS1_3repE0EEENS1_30default_config_static_selectorELNS0_4arch9wavefront6targetE1EEEvT1_.has_dyn_sized_stack, 0
	.set _ZN7rocprim17ROCPRIM_400000_NS6detail17trampoline_kernelINS0_14default_configENS1_25partition_config_selectorILNS1_17partition_subalgoE5ElNS0_10empty_typeEbEEZZNS1_14partition_implILS5_5ELb0ES3_mN6hipcub16HIPCUB_304000_NS21CountingInputIteratorIllEEPS6_NSA_22TransformInputIteratorIb7NonZeroIdEPdlEENS0_5tupleIJPlS6_EEENSJ_IJSD_SD_EEES6_SK_JS6_EEE10hipError_tPvRmT3_T4_T5_T6_T7_T9_mT8_P12ihipStream_tbDpT10_ENKUlT_T0_E_clISt17integral_constantIbLb0EES16_EEDaS11_S12_EUlS11_E_NS1_11comp_targetILNS1_3genE8ELNS1_11target_archE1030ELNS1_3gpuE2ELNS1_3repE0EEENS1_30default_config_static_selectorELNS0_4arch9wavefront6targetE1EEEvT1_.has_recursion, 0
	.set _ZN7rocprim17ROCPRIM_400000_NS6detail17trampoline_kernelINS0_14default_configENS1_25partition_config_selectorILNS1_17partition_subalgoE5ElNS0_10empty_typeEbEEZZNS1_14partition_implILS5_5ELb0ES3_mN6hipcub16HIPCUB_304000_NS21CountingInputIteratorIllEEPS6_NSA_22TransformInputIteratorIb7NonZeroIdEPdlEENS0_5tupleIJPlS6_EEENSJ_IJSD_SD_EEES6_SK_JS6_EEE10hipError_tPvRmT3_T4_T5_T6_T7_T9_mT8_P12ihipStream_tbDpT10_ENKUlT_T0_E_clISt17integral_constantIbLb0EES16_EEDaS11_S12_EUlS11_E_NS1_11comp_targetILNS1_3genE8ELNS1_11target_archE1030ELNS1_3gpuE2ELNS1_3repE0EEENS1_30default_config_static_selectorELNS0_4arch9wavefront6targetE1EEEvT1_.has_indirect_call, 0
	.section	.AMDGPU.csdata,"",@progbits
; Kernel info:
; codeLenInByte = 0
; TotalNumSgprs: 4
; NumVgprs: 0
; ScratchSize: 0
; MemoryBound: 0
; FloatMode: 240
; IeeeMode: 1
; LDSByteSize: 0 bytes/workgroup (compile time only)
; SGPRBlocks: 0
; VGPRBlocks: 0
; NumSGPRsForWavesPerEU: 4
; NumVGPRsForWavesPerEU: 1
; Occupancy: 10
; WaveLimiterHint : 0
; COMPUTE_PGM_RSRC2:SCRATCH_EN: 0
; COMPUTE_PGM_RSRC2:USER_SGPR: 6
; COMPUTE_PGM_RSRC2:TRAP_HANDLER: 0
; COMPUTE_PGM_RSRC2:TGID_X_EN: 1
; COMPUTE_PGM_RSRC2:TGID_Y_EN: 0
; COMPUTE_PGM_RSRC2:TGID_Z_EN: 0
; COMPUTE_PGM_RSRC2:TIDIG_COMP_CNT: 0
	.section	.text._ZN7rocprim17ROCPRIM_400000_NS6detail17trampoline_kernelINS0_14default_configENS1_25partition_config_selectorILNS1_17partition_subalgoE5ElNS0_10empty_typeEbEEZZNS1_14partition_implILS5_5ELb0ES3_mN6hipcub16HIPCUB_304000_NS21CountingInputIteratorIllEEPS6_NSA_22TransformInputIteratorIb7NonZeroIdEPdlEENS0_5tupleIJPlS6_EEENSJ_IJSD_SD_EEES6_SK_JS6_EEE10hipError_tPvRmT3_T4_T5_T6_T7_T9_mT8_P12ihipStream_tbDpT10_ENKUlT_T0_E_clISt17integral_constantIbLb1EES16_EEDaS11_S12_EUlS11_E_NS1_11comp_targetILNS1_3genE0ELNS1_11target_archE4294967295ELNS1_3gpuE0ELNS1_3repE0EEENS1_30default_config_static_selectorELNS0_4arch9wavefront6targetE1EEEvT1_,"axG",@progbits,_ZN7rocprim17ROCPRIM_400000_NS6detail17trampoline_kernelINS0_14default_configENS1_25partition_config_selectorILNS1_17partition_subalgoE5ElNS0_10empty_typeEbEEZZNS1_14partition_implILS5_5ELb0ES3_mN6hipcub16HIPCUB_304000_NS21CountingInputIteratorIllEEPS6_NSA_22TransformInputIteratorIb7NonZeroIdEPdlEENS0_5tupleIJPlS6_EEENSJ_IJSD_SD_EEES6_SK_JS6_EEE10hipError_tPvRmT3_T4_T5_T6_T7_T9_mT8_P12ihipStream_tbDpT10_ENKUlT_T0_E_clISt17integral_constantIbLb1EES16_EEDaS11_S12_EUlS11_E_NS1_11comp_targetILNS1_3genE0ELNS1_11target_archE4294967295ELNS1_3gpuE0ELNS1_3repE0EEENS1_30default_config_static_selectorELNS0_4arch9wavefront6targetE1EEEvT1_,comdat
	.protected	_ZN7rocprim17ROCPRIM_400000_NS6detail17trampoline_kernelINS0_14default_configENS1_25partition_config_selectorILNS1_17partition_subalgoE5ElNS0_10empty_typeEbEEZZNS1_14partition_implILS5_5ELb0ES3_mN6hipcub16HIPCUB_304000_NS21CountingInputIteratorIllEEPS6_NSA_22TransformInputIteratorIb7NonZeroIdEPdlEENS0_5tupleIJPlS6_EEENSJ_IJSD_SD_EEES6_SK_JS6_EEE10hipError_tPvRmT3_T4_T5_T6_T7_T9_mT8_P12ihipStream_tbDpT10_ENKUlT_T0_E_clISt17integral_constantIbLb1EES16_EEDaS11_S12_EUlS11_E_NS1_11comp_targetILNS1_3genE0ELNS1_11target_archE4294967295ELNS1_3gpuE0ELNS1_3repE0EEENS1_30default_config_static_selectorELNS0_4arch9wavefront6targetE1EEEvT1_ ; -- Begin function _ZN7rocprim17ROCPRIM_400000_NS6detail17trampoline_kernelINS0_14default_configENS1_25partition_config_selectorILNS1_17partition_subalgoE5ElNS0_10empty_typeEbEEZZNS1_14partition_implILS5_5ELb0ES3_mN6hipcub16HIPCUB_304000_NS21CountingInputIteratorIllEEPS6_NSA_22TransformInputIteratorIb7NonZeroIdEPdlEENS0_5tupleIJPlS6_EEENSJ_IJSD_SD_EEES6_SK_JS6_EEE10hipError_tPvRmT3_T4_T5_T6_T7_T9_mT8_P12ihipStream_tbDpT10_ENKUlT_T0_E_clISt17integral_constantIbLb1EES16_EEDaS11_S12_EUlS11_E_NS1_11comp_targetILNS1_3genE0ELNS1_11target_archE4294967295ELNS1_3gpuE0ELNS1_3repE0EEENS1_30default_config_static_selectorELNS0_4arch9wavefront6targetE1EEEvT1_
	.globl	_ZN7rocprim17ROCPRIM_400000_NS6detail17trampoline_kernelINS0_14default_configENS1_25partition_config_selectorILNS1_17partition_subalgoE5ElNS0_10empty_typeEbEEZZNS1_14partition_implILS5_5ELb0ES3_mN6hipcub16HIPCUB_304000_NS21CountingInputIteratorIllEEPS6_NSA_22TransformInputIteratorIb7NonZeroIdEPdlEENS0_5tupleIJPlS6_EEENSJ_IJSD_SD_EEES6_SK_JS6_EEE10hipError_tPvRmT3_T4_T5_T6_T7_T9_mT8_P12ihipStream_tbDpT10_ENKUlT_T0_E_clISt17integral_constantIbLb1EES16_EEDaS11_S12_EUlS11_E_NS1_11comp_targetILNS1_3genE0ELNS1_11target_archE4294967295ELNS1_3gpuE0ELNS1_3repE0EEENS1_30default_config_static_selectorELNS0_4arch9wavefront6targetE1EEEvT1_
	.p2align	8
	.type	_ZN7rocprim17ROCPRIM_400000_NS6detail17trampoline_kernelINS0_14default_configENS1_25partition_config_selectorILNS1_17partition_subalgoE5ElNS0_10empty_typeEbEEZZNS1_14partition_implILS5_5ELb0ES3_mN6hipcub16HIPCUB_304000_NS21CountingInputIteratorIllEEPS6_NSA_22TransformInputIteratorIb7NonZeroIdEPdlEENS0_5tupleIJPlS6_EEENSJ_IJSD_SD_EEES6_SK_JS6_EEE10hipError_tPvRmT3_T4_T5_T6_T7_T9_mT8_P12ihipStream_tbDpT10_ENKUlT_T0_E_clISt17integral_constantIbLb1EES16_EEDaS11_S12_EUlS11_E_NS1_11comp_targetILNS1_3genE0ELNS1_11target_archE4294967295ELNS1_3gpuE0ELNS1_3repE0EEENS1_30default_config_static_selectorELNS0_4arch9wavefront6targetE1EEEvT1_,@function
_ZN7rocprim17ROCPRIM_400000_NS6detail17trampoline_kernelINS0_14default_configENS1_25partition_config_selectorILNS1_17partition_subalgoE5ElNS0_10empty_typeEbEEZZNS1_14partition_implILS5_5ELb0ES3_mN6hipcub16HIPCUB_304000_NS21CountingInputIteratorIllEEPS6_NSA_22TransformInputIteratorIb7NonZeroIdEPdlEENS0_5tupleIJPlS6_EEENSJ_IJSD_SD_EEES6_SK_JS6_EEE10hipError_tPvRmT3_T4_T5_T6_T7_T9_mT8_P12ihipStream_tbDpT10_ENKUlT_T0_E_clISt17integral_constantIbLb1EES16_EEDaS11_S12_EUlS11_E_NS1_11comp_targetILNS1_3genE0ELNS1_11target_archE4294967295ELNS1_3gpuE0ELNS1_3repE0EEENS1_30default_config_static_selectorELNS0_4arch9wavefront6targetE1EEEvT1_: ; @_ZN7rocprim17ROCPRIM_400000_NS6detail17trampoline_kernelINS0_14default_configENS1_25partition_config_selectorILNS1_17partition_subalgoE5ElNS0_10empty_typeEbEEZZNS1_14partition_implILS5_5ELb0ES3_mN6hipcub16HIPCUB_304000_NS21CountingInputIteratorIllEEPS6_NSA_22TransformInputIteratorIb7NonZeroIdEPdlEENS0_5tupleIJPlS6_EEENSJ_IJSD_SD_EEES6_SK_JS6_EEE10hipError_tPvRmT3_T4_T5_T6_T7_T9_mT8_P12ihipStream_tbDpT10_ENKUlT_T0_E_clISt17integral_constantIbLb1EES16_EEDaS11_S12_EUlS11_E_NS1_11comp_targetILNS1_3genE0ELNS1_11target_archE4294967295ELNS1_3gpuE0ELNS1_3repE0EEENS1_30default_config_static_selectorELNS0_4arch9wavefront6targetE1EEEvT1_
; %bb.0:
	.section	.rodata,"a",@progbits
	.p2align	6, 0x0
	.amdhsa_kernel _ZN7rocprim17ROCPRIM_400000_NS6detail17trampoline_kernelINS0_14default_configENS1_25partition_config_selectorILNS1_17partition_subalgoE5ElNS0_10empty_typeEbEEZZNS1_14partition_implILS5_5ELb0ES3_mN6hipcub16HIPCUB_304000_NS21CountingInputIteratorIllEEPS6_NSA_22TransformInputIteratorIb7NonZeroIdEPdlEENS0_5tupleIJPlS6_EEENSJ_IJSD_SD_EEES6_SK_JS6_EEE10hipError_tPvRmT3_T4_T5_T6_T7_T9_mT8_P12ihipStream_tbDpT10_ENKUlT_T0_E_clISt17integral_constantIbLb1EES16_EEDaS11_S12_EUlS11_E_NS1_11comp_targetILNS1_3genE0ELNS1_11target_archE4294967295ELNS1_3gpuE0ELNS1_3repE0EEENS1_30default_config_static_selectorELNS0_4arch9wavefront6targetE1EEEvT1_
		.amdhsa_group_segment_fixed_size 0
		.amdhsa_private_segment_fixed_size 0
		.amdhsa_kernarg_size 136
		.amdhsa_user_sgpr_count 6
		.amdhsa_user_sgpr_private_segment_buffer 1
		.amdhsa_user_sgpr_dispatch_ptr 0
		.amdhsa_user_sgpr_queue_ptr 0
		.amdhsa_user_sgpr_kernarg_segment_ptr 1
		.amdhsa_user_sgpr_dispatch_id 0
		.amdhsa_user_sgpr_flat_scratch_init 0
		.amdhsa_user_sgpr_private_segment_size 0
		.amdhsa_uses_dynamic_stack 0
		.amdhsa_system_sgpr_private_segment_wavefront_offset 0
		.amdhsa_system_sgpr_workgroup_id_x 1
		.amdhsa_system_sgpr_workgroup_id_y 0
		.amdhsa_system_sgpr_workgroup_id_z 0
		.amdhsa_system_sgpr_workgroup_info 0
		.amdhsa_system_vgpr_workitem_id 0
		.amdhsa_next_free_vgpr 1
		.amdhsa_next_free_sgpr 0
		.amdhsa_reserve_vcc 0
		.amdhsa_reserve_flat_scratch 0
		.amdhsa_float_round_mode_32 0
		.amdhsa_float_round_mode_16_64 0
		.amdhsa_float_denorm_mode_32 3
		.amdhsa_float_denorm_mode_16_64 3
		.amdhsa_dx10_clamp 1
		.amdhsa_ieee_mode 1
		.amdhsa_fp16_overflow 0
		.amdhsa_exception_fp_ieee_invalid_op 0
		.amdhsa_exception_fp_denorm_src 0
		.amdhsa_exception_fp_ieee_div_zero 0
		.amdhsa_exception_fp_ieee_overflow 0
		.amdhsa_exception_fp_ieee_underflow 0
		.amdhsa_exception_fp_ieee_inexact 0
		.amdhsa_exception_int_div_zero 0
	.end_amdhsa_kernel
	.section	.text._ZN7rocprim17ROCPRIM_400000_NS6detail17trampoline_kernelINS0_14default_configENS1_25partition_config_selectorILNS1_17partition_subalgoE5ElNS0_10empty_typeEbEEZZNS1_14partition_implILS5_5ELb0ES3_mN6hipcub16HIPCUB_304000_NS21CountingInputIteratorIllEEPS6_NSA_22TransformInputIteratorIb7NonZeroIdEPdlEENS0_5tupleIJPlS6_EEENSJ_IJSD_SD_EEES6_SK_JS6_EEE10hipError_tPvRmT3_T4_T5_T6_T7_T9_mT8_P12ihipStream_tbDpT10_ENKUlT_T0_E_clISt17integral_constantIbLb1EES16_EEDaS11_S12_EUlS11_E_NS1_11comp_targetILNS1_3genE0ELNS1_11target_archE4294967295ELNS1_3gpuE0ELNS1_3repE0EEENS1_30default_config_static_selectorELNS0_4arch9wavefront6targetE1EEEvT1_,"axG",@progbits,_ZN7rocprim17ROCPRIM_400000_NS6detail17trampoline_kernelINS0_14default_configENS1_25partition_config_selectorILNS1_17partition_subalgoE5ElNS0_10empty_typeEbEEZZNS1_14partition_implILS5_5ELb0ES3_mN6hipcub16HIPCUB_304000_NS21CountingInputIteratorIllEEPS6_NSA_22TransformInputIteratorIb7NonZeroIdEPdlEENS0_5tupleIJPlS6_EEENSJ_IJSD_SD_EEES6_SK_JS6_EEE10hipError_tPvRmT3_T4_T5_T6_T7_T9_mT8_P12ihipStream_tbDpT10_ENKUlT_T0_E_clISt17integral_constantIbLb1EES16_EEDaS11_S12_EUlS11_E_NS1_11comp_targetILNS1_3genE0ELNS1_11target_archE4294967295ELNS1_3gpuE0ELNS1_3repE0EEENS1_30default_config_static_selectorELNS0_4arch9wavefront6targetE1EEEvT1_,comdat
.Lfunc_end329:
	.size	_ZN7rocprim17ROCPRIM_400000_NS6detail17trampoline_kernelINS0_14default_configENS1_25partition_config_selectorILNS1_17partition_subalgoE5ElNS0_10empty_typeEbEEZZNS1_14partition_implILS5_5ELb0ES3_mN6hipcub16HIPCUB_304000_NS21CountingInputIteratorIllEEPS6_NSA_22TransformInputIteratorIb7NonZeroIdEPdlEENS0_5tupleIJPlS6_EEENSJ_IJSD_SD_EEES6_SK_JS6_EEE10hipError_tPvRmT3_T4_T5_T6_T7_T9_mT8_P12ihipStream_tbDpT10_ENKUlT_T0_E_clISt17integral_constantIbLb1EES16_EEDaS11_S12_EUlS11_E_NS1_11comp_targetILNS1_3genE0ELNS1_11target_archE4294967295ELNS1_3gpuE0ELNS1_3repE0EEENS1_30default_config_static_selectorELNS0_4arch9wavefront6targetE1EEEvT1_, .Lfunc_end329-_ZN7rocprim17ROCPRIM_400000_NS6detail17trampoline_kernelINS0_14default_configENS1_25partition_config_selectorILNS1_17partition_subalgoE5ElNS0_10empty_typeEbEEZZNS1_14partition_implILS5_5ELb0ES3_mN6hipcub16HIPCUB_304000_NS21CountingInputIteratorIllEEPS6_NSA_22TransformInputIteratorIb7NonZeroIdEPdlEENS0_5tupleIJPlS6_EEENSJ_IJSD_SD_EEES6_SK_JS6_EEE10hipError_tPvRmT3_T4_T5_T6_T7_T9_mT8_P12ihipStream_tbDpT10_ENKUlT_T0_E_clISt17integral_constantIbLb1EES16_EEDaS11_S12_EUlS11_E_NS1_11comp_targetILNS1_3genE0ELNS1_11target_archE4294967295ELNS1_3gpuE0ELNS1_3repE0EEENS1_30default_config_static_selectorELNS0_4arch9wavefront6targetE1EEEvT1_
                                        ; -- End function
	.set _ZN7rocprim17ROCPRIM_400000_NS6detail17trampoline_kernelINS0_14default_configENS1_25partition_config_selectorILNS1_17partition_subalgoE5ElNS0_10empty_typeEbEEZZNS1_14partition_implILS5_5ELb0ES3_mN6hipcub16HIPCUB_304000_NS21CountingInputIteratorIllEEPS6_NSA_22TransformInputIteratorIb7NonZeroIdEPdlEENS0_5tupleIJPlS6_EEENSJ_IJSD_SD_EEES6_SK_JS6_EEE10hipError_tPvRmT3_T4_T5_T6_T7_T9_mT8_P12ihipStream_tbDpT10_ENKUlT_T0_E_clISt17integral_constantIbLb1EES16_EEDaS11_S12_EUlS11_E_NS1_11comp_targetILNS1_3genE0ELNS1_11target_archE4294967295ELNS1_3gpuE0ELNS1_3repE0EEENS1_30default_config_static_selectorELNS0_4arch9wavefront6targetE1EEEvT1_.num_vgpr, 0
	.set _ZN7rocprim17ROCPRIM_400000_NS6detail17trampoline_kernelINS0_14default_configENS1_25partition_config_selectorILNS1_17partition_subalgoE5ElNS0_10empty_typeEbEEZZNS1_14partition_implILS5_5ELb0ES3_mN6hipcub16HIPCUB_304000_NS21CountingInputIteratorIllEEPS6_NSA_22TransformInputIteratorIb7NonZeroIdEPdlEENS0_5tupleIJPlS6_EEENSJ_IJSD_SD_EEES6_SK_JS6_EEE10hipError_tPvRmT3_T4_T5_T6_T7_T9_mT8_P12ihipStream_tbDpT10_ENKUlT_T0_E_clISt17integral_constantIbLb1EES16_EEDaS11_S12_EUlS11_E_NS1_11comp_targetILNS1_3genE0ELNS1_11target_archE4294967295ELNS1_3gpuE0ELNS1_3repE0EEENS1_30default_config_static_selectorELNS0_4arch9wavefront6targetE1EEEvT1_.num_agpr, 0
	.set _ZN7rocprim17ROCPRIM_400000_NS6detail17trampoline_kernelINS0_14default_configENS1_25partition_config_selectorILNS1_17partition_subalgoE5ElNS0_10empty_typeEbEEZZNS1_14partition_implILS5_5ELb0ES3_mN6hipcub16HIPCUB_304000_NS21CountingInputIteratorIllEEPS6_NSA_22TransformInputIteratorIb7NonZeroIdEPdlEENS0_5tupleIJPlS6_EEENSJ_IJSD_SD_EEES6_SK_JS6_EEE10hipError_tPvRmT3_T4_T5_T6_T7_T9_mT8_P12ihipStream_tbDpT10_ENKUlT_T0_E_clISt17integral_constantIbLb1EES16_EEDaS11_S12_EUlS11_E_NS1_11comp_targetILNS1_3genE0ELNS1_11target_archE4294967295ELNS1_3gpuE0ELNS1_3repE0EEENS1_30default_config_static_selectorELNS0_4arch9wavefront6targetE1EEEvT1_.numbered_sgpr, 0
	.set _ZN7rocprim17ROCPRIM_400000_NS6detail17trampoline_kernelINS0_14default_configENS1_25partition_config_selectorILNS1_17partition_subalgoE5ElNS0_10empty_typeEbEEZZNS1_14partition_implILS5_5ELb0ES3_mN6hipcub16HIPCUB_304000_NS21CountingInputIteratorIllEEPS6_NSA_22TransformInputIteratorIb7NonZeroIdEPdlEENS0_5tupleIJPlS6_EEENSJ_IJSD_SD_EEES6_SK_JS6_EEE10hipError_tPvRmT3_T4_T5_T6_T7_T9_mT8_P12ihipStream_tbDpT10_ENKUlT_T0_E_clISt17integral_constantIbLb1EES16_EEDaS11_S12_EUlS11_E_NS1_11comp_targetILNS1_3genE0ELNS1_11target_archE4294967295ELNS1_3gpuE0ELNS1_3repE0EEENS1_30default_config_static_selectorELNS0_4arch9wavefront6targetE1EEEvT1_.num_named_barrier, 0
	.set _ZN7rocprim17ROCPRIM_400000_NS6detail17trampoline_kernelINS0_14default_configENS1_25partition_config_selectorILNS1_17partition_subalgoE5ElNS0_10empty_typeEbEEZZNS1_14partition_implILS5_5ELb0ES3_mN6hipcub16HIPCUB_304000_NS21CountingInputIteratorIllEEPS6_NSA_22TransformInputIteratorIb7NonZeroIdEPdlEENS0_5tupleIJPlS6_EEENSJ_IJSD_SD_EEES6_SK_JS6_EEE10hipError_tPvRmT3_T4_T5_T6_T7_T9_mT8_P12ihipStream_tbDpT10_ENKUlT_T0_E_clISt17integral_constantIbLb1EES16_EEDaS11_S12_EUlS11_E_NS1_11comp_targetILNS1_3genE0ELNS1_11target_archE4294967295ELNS1_3gpuE0ELNS1_3repE0EEENS1_30default_config_static_selectorELNS0_4arch9wavefront6targetE1EEEvT1_.private_seg_size, 0
	.set _ZN7rocprim17ROCPRIM_400000_NS6detail17trampoline_kernelINS0_14default_configENS1_25partition_config_selectorILNS1_17partition_subalgoE5ElNS0_10empty_typeEbEEZZNS1_14partition_implILS5_5ELb0ES3_mN6hipcub16HIPCUB_304000_NS21CountingInputIteratorIllEEPS6_NSA_22TransformInputIteratorIb7NonZeroIdEPdlEENS0_5tupleIJPlS6_EEENSJ_IJSD_SD_EEES6_SK_JS6_EEE10hipError_tPvRmT3_T4_T5_T6_T7_T9_mT8_P12ihipStream_tbDpT10_ENKUlT_T0_E_clISt17integral_constantIbLb1EES16_EEDaS11_S12_EUlS11_E_NS1_11comp_targetILNS1_3genE0ELNS1_11target_archE4294967295ELNS1_3gpuE0ELNS1_3repE0EEENS1_30default_config_static_selectorELNS0_4arch9wavefront6targetE1EEEvT1_.uses_vcc, 0
	.set _ZN7rocprim17ROCPRIM_400000_NS6detail17trampoline_kernelINS0_14default_configENS1_25partition_config_selectorILNS1_17partition_subalgoE5ElNS0_10empty_typeEbEEZZNS1_14partition_implILS5_5ELb0ES3_mN6hipcub16HIPCUB_304000_NS21CountingInputIteratorIllEEPS6_NSA_22TransformInputIteratorIb7NonZeroIdEPdlEENS0_5tupleIJPlS6_EEENSJ_IJSD_SD_EEES6_SK_JS6_EEE10hipError_tPvRmT3_T4_T5_T6_T7_T9_mT8_P12ihipStream_tbDpT10_ENKUlT_T0_E_clISt17integral_constantIbLb1EES16_EEDaS11_S12_EUlS11_E_NS1_11comp_targetILNS1_3genE0ELNS1_11target_archE4294967295ELNS1_3gpuE0ELNS1_3repE0EEENS1_30default_config_static_selectorELNS0_4arch9wavefront6targetE1EEEvT1_.uses_flat_scratch, 0
	.set _ZN7rocprim17ROCPRIM_400000_NS6detail17trampoline_kernelINS0_14default_configENS1_25partition_config_selectorILNS1_17partition_subalgoE5ElNS0_10empty_typeEbEEZZNS1_14partition_implILS5_5ELb0ES3_mN6hipcub16HIPCUB_304000_NS21CountingInputIteratorIllEEPS6_NSA_22TransformInputIteratorIb7NonZeroIdEPdlEENS0_5tupleIJPlS6_EEENSJ_IJSD_SD_EEES6_SK_JS6_EEE10hipError_tPvRmT3_T4_T5_T6_T7_T9_mT8_P12ihipStream_tbDpT10_ENKUlT_T0_E_clISt17integral_constantIbLb1EES16_EEDaS11_S12_EUlS11_E_NS1_11comp_targetILNS1_3genE0ELNS1_11target_archE4294967295ELNS1_3gpuE0ELNS1_3repE0EEENS1_30default_config_static_selectorELNS0_4arch9wavefront6targetE1EEEvT1_.has_dyn_sized_stack, 0
	.set _ZN7rocprim17ROCPRIM_400000_NS6detail17trampoline_kernelINS0_14default_configENS1_25partition_config_selectorILNS1_17partition_subalgoE5ElNS0_10empty_typeEbEEZZNS1_14partition_implILS5_5ELb0ES3_mN6hipcub16HIPCUB_304000_NS21CountingInputIteratorIllEEPS6_NSA_22TransformInputIteratorIb7NonZeroIdEPdlEENS0_5tupleIJPlS6_EEENSJ_IJSD_SD_EEES6_SK_JS6_EEE10hipError_tPvRmT3_T4_T5_T6_T7_T9_mT8_P12ihipStream_tbDpT10_ENKUlT_T0_E_clISt17integral_constantIbLb1EES16_EEDaS11_S12_EUlS11_E_NS1_11comp_targetILNS1_3genE0ELNS1_11target_archE4294967295ELNS1_3gpuE0ELNS1_3repE0EEENS1_30default_config_static_selectorELNS0_4arch9wavefront6targetE1EEEvT1_.has_recursion, 0
	.set _ZN7rocprim17ROCPRIM_400000_NS6detail17trampoline_kernelINS0_14default_configENS1_25partition_config_selectorILNS1_17partition_subalgoE5ElNS0_10empty_typeEbEEZZNS1_14partition_implILS5_5ELb0ES3_mN6hipcub16HIPCUB_304000_NS21CountingInputIteratorIllEEPS6_NSA_22TransformInputIteratorIb7NonZeroIdEPdlEENS0_5tupleIJPlS6_EEENSJ_IJSD_SD_EEES6_SK_JS6_EEE10hipError_tPvRmT3_T4_T5_T6_T7_T9_mT8_P12ihipStream_tbDpT10_ENKUlT_T0_E_clISt17integral_constantIbLb1EES16_EEDaS11_S12_EUlS11_E_NS1_11comp_targetILNS1_3genE0ELNS1_11target_archE4294967295ELNS1_3gpuE0ELNS1_3repE0EEENS1_30default_config_static_selectorELNS0_4arch9wavefront6targetE1EEEvT1_.has_indirect_call, 0
	.section	.AMDGPU.csdata,"",@progbits
; Kernel info:
; codeLenInByte = 0
; TotalNumSgprs: 4
; NumVgprs: 0
; ScratchSize: 0
; MemoryBound: 0
; FloatMode: 240
; IeeeMode: 1
; LDSByteSize: 0 bytes/workgroup (compile time only)
; SGPRBlocks: 0
; VGPRBlocks: 0
; NumSGPRsForWavesPerEU: 4
; NumVGPRsForWavesPerEU: 1
; Occupancy: 10
; WaveLimiterHint : 0
; COMPUTE_PGM_RSRC2:SCRATCH_EN: 0
; COMPUTE_PGM_RSRC2:USER_SGPR: 6
; COMPUTE_PGM_RSRC2:TRAP_HANDLER: 0
; COMPUTE_PGM_RSRC2:TGID_X_EN: 1
; COMPUTE_PGM_RSRC2:TGID_Y_EN: 0
; COMPUTE_PGM_RSRC2:TGID_Z_EN: 0
; COMPUTE_PGM_RSRC2:TIDIG_COMP_CNT: 0
	.section	.text._ZN7rocprim17ROCPRIM_400000_NS6detail17trampoline_kernelINS0_14default_configENS1_25partition_config_selectorILNS1_17partition_subalgoE5ElNS0_10empty_typeEbEEZZNS1_14partition_implILS5_5ELb0ES3_mN6hipcub16HIPCUB_304000_NS21CountingInputIteratorIllEEPS6_NSA_22TransformInputIteratorIb7NonZeroIdEPdlEENS0_5tupleIJPlS6_EEENSJ_IJSD_SD_EEES6_SK_JS6_EEE10hipError_tPvRmT3_T4_T5_T6_T7_T9_mT8_P12ihipStream_tbDpT10_ENKUlT_T0_E_clISt17integral_constantIbLb1EES16_EEDaS11_S12_EUlS11_E_NS1_11comp_targetILNS1_3genE5ELNS1_11target_archE942ELNS1_3gpuE9ELNS1_3repE0EEENS1_30default_config_static_selectorELNS0_4arch9wavefront6targetE1EEEvT1_,"axG",@progbits,_ZN7rocprim17ROCPRIM_400000_NS6detail17trampoline_kernelINS0_14default_configENS1_25partition_config_selectorILNS1_17partition_subalgoE5ElNS0_10empty_typeEbEEZZNS1_14partition_implILS5_5ELb0ES3_mN6hipcub16HIPCUB_304000_NS21CountingInputIteratorIllEEPS6_NSA_22TransformInputIteratorIb7NonZeroIdEPdlEENS0_5tupleIJPlS6_EEENSJ_IJSD_SD_EEES6_SK_JS6_EEE10hipError_tPvRmT3_T4_T5_T6_T7_T9_mT8_P12ihipStream_tbDpT10_ENKUlT_T0_E_clISt17integral_constantIbLb1EES16_EEDaS11_S12_EUlS11_E_NS1_11comp_targetILNS1_3genE5ELNS1_11target_archE942ELNS1_3gpuE9ELNS1_3repE0EEENS1_30default_config_static_selectorELNS0_4arch9wavefront6targetE1EEEvT1_,comdat
	.protected	_ZN7rocprim17ROCPRIM_400000_NS6detail17trampoline_kernelINS0_14default_configENS1_25partition_config_selectorILNS1_17partition_subalgoE5ElNS0_10empty_typeEbEEZZNS1_14partition_implILS5_5ELb0ES3_mN6hipcub16HIPCUB_304000_NS21CountingInputIteratorIllEEPS6_NSA_22TransformInputIteratorIb7NonZeroIdEPdlEENS0_5tupleIJPlS6_EEENSJ_IJSD_SD_EEES6_SK_JS6_EEE10hipError_tPvRmT3_T4_T5_T6_T7_T9_mT8_P12ihipStream_tbDpT10_ENKUlT_T0_E_clISt17integral_constantIbLb1EES16_EEDaS11_S12_EUlS11_E_NS1_11comp_targetILNS1_3genE5ELNS1_11target_archE942ELNS1_3gpuE9ELNS1_3repE0EEENS1_30default_config_static_selectorELNS0_4arch9wavefront6targetE1EEEvT1_ ; -- Begin function _ZN7rocprim17ROCPRIM_400000_NS6detail17trampoline_kernelINS0_14default_configENS1_25partition_config_selectorILNS1_17partition_subalgoE5ElNS0_10empty_typeEbEEZZNS1_14partition_implILS5_5ELb0ES3_mN6hipcub16HIPCUB_304000_NS21CountingInputIteratorIllEEPS6_NSA_22TransformInputIteratorIb7NonZeroIdEPdlEENS0_5tupleIJPlS6_EEENSJ_IJSD_SD_EEES6_SK_JS6_EEE10hipError_tPvRmT3_T4_T5_T6_T7_T9_mT8_P12ihipStream_tbDpT10_ENKUlT_T0_E_clISt17integral_constantIbLb1EES16_EEDaS11_S12_EUlS11_E_NS1_11comp_targetILNS1_3genE5ELNS1_11target_archE942ELNS1_3gpuE9ELNS1_3repE0EEENS1_30default_config_static_selectorELNS0_4arch9wavefront6targetE1EEEvT1_
	.globl	_ZN7rocprim17ROCPRIM_400000_NS6detail17trampoline_kernelINS0_14default_configENS1_25partition_config_selectorILNS1_17partition_subalgoE5ElNS0_10empty_typeEbEEZZNS1_14partition_implILS5_5ELb0ES3_mN6hipcub16HIPCUB_304000_NS21CountingInputIteratorIllEEPS6_NSA_22TransformInputIteratorIb7NonZeroIdEPdlEENS0_5tupleIJPlS6_EEENSJ_IJSD_SD_EEES6_SK_JS6_EEE10hipError_tPvRmT3_T4_T5_T6_T7_T9_mT8_P12ihipStream_tbDpT10_ENKUlT_T0_E_clISt17integral_constantIbLb1EES16_EEDaS11_S12_EUlS11_E_NS1_11comp_targetILNS1_3genE5ELNS1_11target_archE942ELNS1_3gpuE9ELNS1_3repE0EEENS1_30default_config_static_selectorELNS0_4arch9wavefront6targetE1EEEvT1_
	.p2align	8
	.type	_ZN7rocprim17ROCPRIM_400000_NS6detail17trampoline_kernelINS0_14default_configENS1_25partition_config_selectorILNS1_17partition_subalgoE5ElNS0_10empty_typeEbEEZZNS1_14partition_implILS5_5ELb0ES3_mN6hipcub16HIPCUB_304000_NS21CountingInputIteratorIllEEPS6_NSA_22TransformInputIteratorIb7NonZeroIdEPdlEENS0_5tupleIJPlS6_EEENSJ_IJSD_SD_EEES6_SK_JS6_EEE10hipError_tPvRmT3_T4_T5_T6_T7_T9_mT8_P12ihipStream_tbDpT10_ENKUlT_T0_E_clISt17integral_constantIbLb1EES16_EEDaS11_S12_EUlS11_E_NS1_11comp_targetILNS1_3genE5ELNS1_11target_archE942ELNS1_3gpuE9ELNS1_3repE0EEENS1_30default_config_static_selectorELNS0_4arch9wavefront6targetE1EEEvT1_,@function
_ZN7rocprim17ROCPRIM_400000_NS6detail17trampoline_kernelINS0_14default_configENS1_25partition_config_selectorILNS1_17partition_subalgoE5ElNS0_10empty_typeEbEEZZNS1_14partition_implILS5_5ELb0ES3_mN6hipcub16HIPCUB_304000_NS21CountingInputIteratorIllEEPS6_NSA_22TransformInputIteratorIb7NonZeroIdEPdlEENS0_5tupleIJPlS6_EEENSJ_IJSD_SD_EEES6_SK_JS6_EEE10hipError_tPvRmT3_T4_T5_T6_T7_T9_mT8_P12ihipStream_tbDpT10_ENKUlT_T0_E_clISt17integral_constantIbLb1EES16_EEDaS11_S12_EUlS11_E_NS1_11comp_targetILNS1_3genE5ELNS1_11target_archE942ELNS1_3gpuE9ELNS1_3repE0EEENS1_30default_config_static_selectorELNS0_4arch9wavefront6targetE1EEEvT1_: ; @_ZN7rocprim17ROCPRIM_400000_NS6detail17trampoline_kernelINS0_14default_configENS1_25partition_config_selectorILNS1_17partition_subalgoE5ElNS0_10empty_typeEbEEZZNS1_14partition_implILS5_5ELb0ES3_mN6hipcub16HIPCUB_304000_NS21CountingInputIteratorIllEEPS6_NSA_22TransformInputIteratorIb7NonZeroIdEPdlEENS0_5tupleIJPlS6_EEENSJ_IJSD_SD_EEES6_SK_JS6_EEE10hipError_tPvRmT3_T4_T5_T6_T7_T9_mT8_P12ihipStream_tbDpT10_ENKUlT_T0_E_clISt17integral_constantIbLb1EES16_EEDaS11_S12_EUlS11_E_NS1_11comp_targetILNS1_3genE5ELNS1_11target_archE942ELNS1_3gpuE9ELNS1_3repE0EEENS1_30default_config_static_selectorELNS0_4arch9wavefront6targetE1EEEvT1_
; %bb.0:
	.section	.rodata,"a",@progbits
	.p2align	6, 0x0
	.amdhsa_kernel _ZN7rocprim17ROCPRIM_400000_NS6detail17trampoline_kernelINS0_14default_configENS1_25partition_config_selectorILNS1_17partition_subalgoE5ElNS0_10empty_typeEbEEZZNS1_14partition_implILS5_5ELb0ES3_mN6hipcub16HIPCUB_304000_NS21CountingInputIteratorIllEEPS6_NSA_22TransformInputIteratorIb7NonZeroIdEPdlEENS0_5tupleIJPlS6_EEENSJ_IJSD_SD_EEES6_SK_JS6_EEE10hipError_tPvRmT3_T4_T5_T6_T7_T9_mT8_P12ihipStream_tbDpT10_ENKUlT_T0_E_clISt17integral_constantIbLb1EES16_EEDaS11_S12_EUlS11_E_NS1_11comp_targetILNS1_3genE5ELNS1_11target_archE942ELNS1_3gpuE9ELNS1_3repE0EEENS1_30default_config_static_selectorELNS0_4arch9wavefront6targetE1EEEvT1_
		.amdhsa_group_segment_fixed_size 0
		.amdhsa_private_segment_fixed_size 0
		.amdhsa_kernarg_size 136
		.amdhsa_user_sgpr_count 6
		.amdhsa_user_sgpr_private_segment_buffer 1
		.amdhsa_user_sgpr_dispatch_ptr 0
		.amdhsa_user_sgpr_queue_ptr 0
		.amdhsa_user_sgpr_kernarg_segment_ptr 1
		.amdhsa_user_sgpr_dispatch_id 0
		.amdhsa_user_sgpr_flat_scratch_init 0
		.amdhsa_user_sgpr_private_segment_size 0
		.amdhsa_uses_dynamic_stack 0
		.amdhsa_system_sgpr_private_segment_wavefront_offset 0
		.amdhsa_system_sgpr_workgroup_id_x 1
		.amdhsa_system_sgpr_workgroup_id_y 0
		.amdhsa_system_sgpr_workgroup_id_z 0
		.amdhsa_system_sgpr_workgroup_info 0
		.amdhsa_system_vgpr_workitem_id 0
		.amdhsa_next_free_vgpr 1
		.amdhsa_next_free_sgpr 0
		.amdhsa_reserve_vcc 0
		.amdhsa_reserve_flat_scratch 0
		.amdhsa_float_round_mode_32 0
		.amdhsa_float_round_mode_16_64 0
		.amdhsa_float_denorm_mode_32 3
		.amdhsa_float_denorm_mode_16_64 3
		.amdhsa_dx10_clamp 1
		.amdhsa_ieee_mode 1
		.amdhsa_fp16_overflow 0
		.amdhsa_exception_fp_ieee_invalid_op 0
		.amdhsa_exception_fp_denorm_src 0
		.amdhsa_exception_fp_ieee_div_zero 0
		.amdhsa_exception_fp_ieee_overflow 0
		.amdhsa_exception_fp_ieee_underflow 0
		.amdhsa_exception_fp_ieee_inexact 0
		.amdhsa_exception_int_div_zero 0
	.end_amdhsa_kernel
	.section	.text._ZN7rocprim17ROCPRIM_400000_NS6detail17trampoline_kernelINS0_14default_configENS1_25partition_config_selectorILNS1_17partition_subalgoE5ElNS0_10empty_typeEbEEZZNS1_14partition_implILS5_5ELb0ES3_mN6hipcub16HIPCUB_304000_NS21CountingInputIteratorIllEEPS6_NSA_22TransformInputIteratorIb7NonZeroIdEPdlEENS0_5tupleIJPlS6_EEENSJ_IJSD_SD_EEES6_SK_JS6_EEE10hipError_tPvRmT3_T4_T5_T6_T7_T9_mT8_P12ihipStream_tbDpT10_ENKUlT_T0_E_clISt17integral_constantIbLb1EES16_EEDaS11_S12_EUlS11_E_NS1_11comp_targetILNS1_3genE5ELNS1_11target_archE942ELNS1_3gpuE9ELNS1_3repE0EEENS1_30default_config_static_selectorELNS0_4arch9wavefront6targetE1EEEvT1_,"axG",@progbits,_ZN7rocprim17ROCPRIM_400000_NS6detail17trampoline_kernelINS0_14default_configENS1_25partition_config_selectorILNS1_17partition_subalgoE5ElNS0_10empty_typeEbEEZZNS1_14partition_implILS5_5ELb0ES3_mN6hipcub16HIPCUB_304000_NS21CountingInputIteratorIllEEPS6_NSA_22TransformInputIteratorIb7NonZeroIdEPdlEENS0_5tupleIJPlS6_EEENSJ_IJSD_SD_EEES6_SK_JS6_EEE10hipError_tPvRmT3_T4_T5_T6_T7_T9_mT8_P12ihipStream_tbDpT10_ENKUlT_T0_E_clISt17integral_constantIbLb1EES16_EEDaS11_S12_EUlS11_E_NS1_11comp_targetILNS1_3genE5ELNS1_11target_archE942ELNS1_3gpuE9ELNS1_3repE0EEENS1_30default_config_static_selectorELNS0_4arch9wavefront6targetE1EEEvT1_,comdat
.Lfunc_end330:
	.size	_ZN7rocprim17ROCPRIM_400000_NS6detail17trampoline_kernelINS0_14default_configENS1_25partition_config_selectorILNS1_17partition_subalgoE5ElNS0_10empty_typeEbEEZZNS1_14partition_implILS5_5ELb0ES3_mN6hipcub16HIPCUB_304000_NS21CountingInputIteratorIllEEPS6_NSA_22TransformInputIteratorIb7NonZeroIdEPdlEENS0_5tupleIJPlS6_EEENSJ_IJSD_SD_EEES6_SK_JS6_EEE10hipError_tPvRmT3_T4_T5_T6_T7_T9_mT8_P12ihipStream_tbDpT10_ENKUlT_T0_E_clISt17integral_constantIbLb1EES16_EEDaS11_S12_EUlS11_E_NS1_11comp_targetILNS1_3genE5ELNS1_11target_archE942ELNS1_3gpuE9ELNS1_3repE0EEENS1_30default_config_static_selectorELNS0_4arch9wavefront6targetE1EEEvT1_, .Lfunc_end330-_ZN7rocprim17ROCPRIM_400000_NS6detail17trampoline_kernelINS0_14default_configENS1_25partition_config_selectorILNS1_17partition_subalgoE5ElNS0_10empty_typeEbEEZZNS1_14partition_implILS5_5ELb0ES3_mN6hipcub16HIPCUB_304000_NS21CountingInputIteratorIllEEPS6_NSA_22TransformInputIteratorIb7NonZeroIdEPdlEENS0_5tupleIJPlS6_EEENSJ_IJSD_SD_EEES6_SK_JS6_EEE10hipError_tPvRmT3_T4_T5_T6_T7_T9_mT8_P12ihipStream_tbDpT10_ENKUlT_T0_E_clISt17integral_constantIbLb1EES16_EEDaS11_S12_EUlS11_E_NS1_11comp_targetILNS1_3genE5ELNS1_11target_archE942ELNS1_3gpuE9ELNS1_3repE0EEENS1_30default_config_static_selectorELNS0_4arch9wavefront6targetE1EEEvT1_
                                        ; -- End function
	.set _ZN7rocprim17ROCPRIM_400000_NS6detail17trampoline_kernelINS0_14default_configENS1_25partition_config_selectorILNS1_17partition_subalgoE5ElNS0_10empty_typeEbEEZZNS1_14partition_implILS5_5ELb0ES3_mN6hipcub16HIPCUB_304000_NS21CountingInputIteratorIllEEPS6_NSA_22TransformInputIteratorIb7NonZeroIdEPdlEENS0_5tupleIJPlS6_EEENSJ_IJSD_SD_EEES6_SK_JS6_EEE10hipError_tPvRmT3_T4_T5_T6_T7_T9_mT8_P12ihipStream_tbDpT10_ENKUlT_T0_E_clISt17integral_constantIbLb1EES16_EEDaS11_S12_EUlS11_E_NS1_11comp_targetILNS1_3genE5ELNS1_11target_archE942ELNS1_3gpuE9ELNS1_3repE0EEENS1_30default_config_static_selectorELNS0_4arch9wavefront6targetE1EEEvT1_.num_vgpr, 0
	.set _ZN7rocprim17ROCPRIM_400000_NS6detail17trampoline_kernelINS0_14default_configENS1_25partition_config_selectorILNS1_17partition_subalgoE5ElNS0_10empty_typeEbEEZZNS1_14partition_implILS5_5ELb0ES3_mN6hipcub16HIPCUB_304000_NS21CountingInputIteratorIllEEPS6_NSA_22TransformInputIteratorIb7NonZeroIdEPdlEENS0_5tupleIJPlS6_EEENSJ_IJSD_SD_EEES6_SK_JS6_EEE10hipError_tPvRmT3_T4_T5_T6_T7_T9_mT8_P12ihipStream_tbDpT10_ENKUlT_T0_E_clISt17integral_constantIbLb1EES16_EEDaS11_S12_EUlS11_E_NS1_11comp_targetILNS1_3genE5ELNS1_11target_archE942ELNS1_3gpuE9ELNS1_3repE0EEENS1_30default_config_static_selectorELNS0_4arch9wavefront6targetE1EEEvT1_.num_agpr, 0
	.set _ZN7rocprim17ROCPRIM_400000_NS6detail17trampoline_kernelINS0_14default_configENS1_25partition_config_selectorILNS1_17partition_subalgoE5ElNS0_10empty_typeEbEEZZNS1_14partition_implILS5_5ELb0ES3_mN6hipcub16HIPCUB_304000_NS21CountingInputIteratorIllEEPS6_NSA_22TransformInputIteratorIb7NonZeroIdEPdlEENS0_5tupleIJPlS6_EEENSJ_IJSD_SD_EEES6_SK_JS6_EEE10hipError_tPvRmT3_T4_T5_T6_T7_T9_mT8_P12ihipStream_tbDpT10_ENKUlT_T0_E_clISt17integral_constantIbLb1EES16_EEDaS11_S12_EUlS11_E_NS1_11comp_targetILNS1_3genE5ELNS1_11target_archE942ELNS1_3gpuE9ELNS1_3repE0EEENS1_30default_config_static_selectorELNS0_4arch9wavefront6targetE1EEEvT1_.numbered_sgpr, 0
	.set _ZN7rocprim17ROCPRIM_400000_NS6detail17trampoline_kernelINS0_14default_configENS1_25partition_config_selectorILNS1_17partition_subalgoE5ElNS0_10empty_typeEbEEZZNS1_14partition_implILS5_5ELb0ES3_mN6hipcub16HIPCUB_304000_NS21CountingInputIteratorIllEEPS6_NSA_22TransformInputIteratorIb7NonZeroIdEPdlEENS0_5tupleIJPlS6_EEENSJ_IJSD_SD_EEES6_SK_JS6_EEE10hipError_tPvRmT3_T4_T5_T6_T7_T9_mT8_P12ihipStream_tbDpT10_ENKUlT_T0_E_clISt17integral_constantIbLb1EES16_EEDaS11_S12_EUlS11_E_NS1_11comp_targetILNS1_3genE5ELNS1_11target_archE942ELNS1_3gpuE9ELNS1_3repE0EEENS1_30default_config_static_selectorELNS0_4arch9wavefront6targetE1EEEvT1_.num_named_barrier, 0
	.set _ZN7rocprim17ROCPRIM_400000_NS6detail17trampoline_kernelINS0_14default_configENS1_25partition_config_selectorILNS1_17partition_subalgoE5ElNS0_10empty_typeEbEEZZNS1_14partition_implILS5_5ELb0ES3_mN6hipcub16HIPCUB_304000_NS21CountingInputIteratorIllEEPS6_NSA_22TransformInputIteratorIb7NonZeroIdEPdlEENS0_5tupleIJPlS6_EEENSJ_IJSD_SD_EEES6_SK_JS6_EEE10hipError_tPvRmT3_T4_T5_T6_T7_T9_mT8_P12ihipStream_tbDpT10_ENKUlT_T0_E_clISt17integral_constantIbLb1EES16_EEDaS11_S12_EUlS11_E_NS1_11comp_targetILNS1_3genE5ELNS1_11target_archE942ELNS1_3gpuE9ELNS1_3repE0EEENS1_30default_config_static_selectorELNS0_4arch9wavefront6targetE1EEEvT1_.private_seg_size, 0
	.set _ZN7rocprim17ROCPRIM_400000_NS6detail17trampoline_kernelINS0_14default_configENS1_25partition_config_selectorILNS1_17partition_subalgoE5ElNS0_10empty_typeEbEEZZNS1_14partition_implILS5_5ELb0ES3_mN6hipcub16HIPCUB_304000_NS21CountingInputIteratorIllEEPS6_NSA_22TransformInputIteratorIb7NonZeroIdEPdlEENS0_5tupleIJPlS6_EEENSJ_IJSD_SD_EEES6_SK_JS6_EEE10hipError_tPvRmT3_T4_T5_T6_T7_T9_mT8_P12ihipStream_tbDpT10_ENKUlT_T0_E_clISt17integral_constantIbLb1EES16_EEDaS11_S12_EUlS11_E_NS1_11comp_targetILNS1_3genE5ELNS1_11target_archE942ELNS1_3gpuE9ELNS1_3repE0EEENS1_30default_config_static_selectorELNS0_4arch9wavefront6targetE1EEEvT1_.uses_vcc, 0
	.set _ZN7rocprim17ROCPRIM_400000_NS6detail17trampoline_kernelINS0_14default_configENS1_25partition_config_selectorILNS1_17partition_subalgoE5ElNS0_10empty_typeEbEEZZNS1_14partition_implILS5_5ELb0ES3_mN6hipcub16HIPCUB_304000_NS21CountingInputIteratorIllEEPS6_NSA_22TransformInputIteratorIb7NonZeroIdEPdlEENS0_5tupleIJPlS6_EEENSJ_IJSD_SD_EEES6_SK_JS6_EEE10hipError_tPvRmT3_T4_T5_T6_T7_T9_mT8_P12ihipStream_tbDpT10_ENKUlT_T0_E_clISt17integral_constantIbLb1EES16_EEDaS11_S12_EUlS11_E_NS1_11comp_targetILNS1_3genE5ELNS1_11target_archE942ELNS1_3gpuE9ELNS1_3repE0EEENS1_30default_config_static_selectorELNS0_4arch9wavefront6targetE1EEEvT1_.uses_flat_scratch, 0
	.set _ZN7rocprim17ROCPRIM_400000_NS6detail17trampoline_kernelINS0_14default_configENS1_25partition_config_selectorILNS1_17partition_subalgoE5ElNS0_10empty_typeEbEEZZNS1_14partition_implILS5_5ELb0ES3_mN6hipcub16HIPCUB_304000_NS21CountingInputIteratorIllEEPS6_NSA_22TransformInputIteratorIb7NonZeroIdEPdlEENS0_5tupleIJPlS6_EEENSJ_IJSD_SD_EEES6_SK_JS6_EEE10hipError_tPvRmT3_T4_T5_T6_T7_T9_mT8_P12ihipStream_tbDpT10_ENKUlT_T0_E_clISt17integral_constantIbLb1EES16_EEDaS11_S12_EUlS11_E_NS1_11comp_targetILNS1_3genE5ELNS1_11target_archE942ELNS1_3gpuE9ELNS1_3repE0EEENS1_30default_config_static_selectorELNS0_4arch9wavefront6targetE1EEEvT1_.has_dyn_sized_stack, 0
	.set _ZN7rocprim17ROCPRIM_400000_NS6detail17trampoline_kernelINS0_14default_configENS1_25partition_config_selectorILNS1_17partition_subalgoE5ElNS0_10empty_typeEbEEZZNS1_14partition_implILS5_5ELb0ES3_mN6hipcub16HIPCUB_304000_NS21CountingInputIteratorIllEEPS6_NSA_22TransformInputIteratorIb7NonZeroIdEPdlEENS0_5tupleIJPlS6_EEENSJ_IJSD_SD_EEES6_SK_JS6_EEE10hipError_tPvRmT3_T4_T5_T6_T7_T9_mT8_P12ihipStream_tbDpT10_ENKUlT_T0_E_clISt17integral_constantIbLb1EES16_EEDaS11_S12_EUlS11_E_NS1_11comp_targetILNS1_3genE5ELNS1_11target_archE942ELNS1_3gpuE9ELNS1_3repE0EEENS1_30default_config_static_selectorELNS0_4arch9wavefront6targetE1EEEvT1_.has_recursion, 0
	.set _ZN7rocprim17ROCPRIM_400000_NS6detail17trampoline_kernelINS0_14default_configENS1_25partition_config_selectorILNS1_17partition_subalgoE5ElNS0_10empty_typeEbEEZZNS1_14partition_implILS5_5ELb0ES3_mN6hipcub16HIPCUB_304000_NS21CountingInputIteratorIllEEPS6_NSA_22TransformInputIteratorIb7NonZeroIdEPdlEENS0_5tupleIJPlS6_EEENSJ_IJSD_SD_EEES6_SK_JS6_EEE10hipError_tPvRmT3_T4_T5_T6_T7_T9_mT8_P12ihipStream_tbDpT10_ENKUlT_T0_E_clISt17integral_constantIbLb1EES16_EEDaS11_S12_EUlS11_E_NS1_11comp_targetILNS1_3genE5ELNS1_11target_archE942ELNS1_3gpuE9ELNS1_3repE0EEENS1_30default_config_static_selectorELNS0_4arch9wavefront6targetE1EEEvT1_.has_indirect_call, 0
	.section	.AMDGPU.csdata,"",@progbits
; Kernel info:
; codeLenInByte = 0
; TotalNumSgprs: 4
; NumVgprs: 0
; ScratchSize: 0
; MemoryBound: 0
; FloatMode: 240
; IeeeMode: 1
; LDSByteSize: 0 bytes/workgroup (compile time only)
; SGPRBlocks: 0
; VGPRBlocks: 0
; NumSGPRsForWavesPerEU: 4
; NumVGPRsForWavesPerEU: 1
; Occupancy: 10
; WaveLimiterHint : 0
; COMPUTE_PGM_RSRC2:SCRATCH_EN: 0
; COMPUTE_PGM_RSRC2:USER_SGPR: 6
; COMPUTE_PGM_RSRC2:TRAP_HANDLER: 0
; COMPUTE_PGM_RSRC2:TGID_X_EN: 1
; COMPUTE_PGM_RSRC2:TGID_Y_EN: 0
; COMPUTE_PGM_RSRC2:TGID_Z_EN: 0
; COMPUTE_PGM_RSRC2:TIDIG_COMP_CNT: 0
	.section	.text._ZN7rocprim17ROCPRIM_400000_NS6detail17trampoline_kernelINS0_14default_configENS1_25partition_config_selectorILNS1_17partition_subalgoE5ElNS0_10empty_typeEbEEZZNS1_14partition_implILS5_5ELb0ES3_mN6hipcub16HIPCUB_304000_NS21CountingInputIteratorIllEEPS6_NSA_22TransformInputIteratorIb7NonZeroIdEPdlEENS0_5tupleIJPlS6_EEENSJ_IJSD_SD_EEES6_SK_JS6_EEE10hipError_tPvRmT3_T4_T5_T6_T7_T9_mT8_P12ihipStream_tbDpT10_ENKUlT_T0_E_clISt17integral_constantIbLb1EES16_EEDaS11_S12_EUlS11_E_NS1_11comp_targetILNS1_3genE4ELNS1_11target_archE910ELNS1_3gpuE8ELNS1_3repE0EEENS1_30default_config_static_selectorELNS0_4arch9wavefront6targetE1EEEvT1_,"axG",@progbits,_ZN7rocprim17ROCPRIM_400000_NS6detail17trampoline_kernelINS0_14default_configENS1_25partition_config_selectorILNS1_17partition_subalgoE5ElNS0_10empty_typeEbEEZZNS1_14partition_implILS5_5ELb0ES3_mN6hipcub16HIPCUB_304000_NS21CountingInputIteratorIllEEPS6_NSA_22TransformInputIteratorIb7NonZeroIdEPdlEENS0_5tupleIJPlS6_EEENSJ_IJSD_SD_EEES6_SK_JS6_EEE10hipError_tPvRmT3_T4_T5_T6_T7_T9_mT8_P12ihipStream_tbDpT10_ENKUlT_T0_E_clISt17integral_constantIbLb1EES16_EEDaS11_S12_EUlS11_E_NS1_11comp_targetILNS1_3genE4ELNS1_11target_archE910ELNS1_3gpuE8ELNS1_3repE0EEENS1_30default_config_static_selectorELNS0_4arch9wavefront6targetE1EEEvT1_,comdat
	.protected	_ZN7rocprim17ROCPRIM_400000_NS6detail17trampoline_kernelINS0_14default_configENS1_25partition_config_selectorILNS1_17partition_subalgoE5ElNS0_10empty_typeEbEEZZNS1_14partition_implILS5_5ELb0ES3_mN6hipcub16HIPCUB_304000_NS21CountingInputIteratorIllEEPS6_NSA_22TransformInputIteratorIb7NonZeroIdEPdlEENS0_5tupleIJPlS6_EEENSJ_IJSD_SD_EEES6_SK_JS6_EEE10hipError_tPvRmT3_T4_T5_T6_T7_T9_mT8_P12ihipStream_tbDpT10_ENKUlT_T0_E_clISt17integral_constantIbLb1EES16_EEDaS11_S12_EUlS11_E_NS1_11comp_targetILNS1_3genE4ELNS1_11target_archE910ELNS1_3gpuE8ELNS1_3repE0EEENS1_30default_config_static_selectorELNS0_4arch9wavefront6targetE1EEEvT1_ ; -- Begin function _ZN7rocprim17ROCPRIM_400000_NS6detail17trampoline_kernelINS0_14default_configENS1_25partition_config_selectorILNS1_17partition_subalgoE5ElNS0_10empty_typeEbEEZZNS1_14partition_implILS5_5ELb0ES3_mN6hipcub16HIPCUB_304000_NS21CountingInputIteratorIllEEPS6_NSA_22TransformInputIteratorIb7NonZeroIdEPdlEENS0_5tupleIJPlS6_EEENSJ_IJSD_SD_EEES6_SK_JS6_EEE10hipError_tPvRmT3_T4_T5_T6_T7_T9_mT8_P12ihipStream_tbDpT10_ENKUlT_T0_E_clISt17integral_constantIbLb1EES16_EEDaS11_S12_EUlS11_E_NS1_11comp_targetILNS1_3genE4ELNS1_11target_archE910ELNS1_3gpuE8ELNS1_3repE0EEENS1_30default_config_static_selectorELNS0_4arch9wavefront6targetE1EEEvT1_
	.globl	_ZN7rocprim17ROCPRIM_400000_NS6detail17trampoline_kernelINS0_14default_configENS1_25partition_config_selectorILNS1_17partition_subalgoE5ElNS0_10empty_typeEbEEZZNS1_14partition_implILS5_5ELb0ES3_mN6hipcub16HIPCUB_304000_NS21CountingInputIteratorIllEEPS6_NSA_22TransformInputIteratorIb7NonZeroIdEPdlEENS0_5tupleIJPlS6_EEENSJ_IJSD_SD_EEES6_SK_JS6_EEE10hipError_tPvRmT3_T4_T5_T6_T7_T9_mT8_P12ihipStream_tbDpT10_ENKUlT_T0_E_clISt17integral_constantIbLb1EES16_EEDaS11_S12_EUlS11_E_NS1_11comp_targetILNS1_3genE4ELNS1_11target_archE910ELNS1_3gpuE8ELNS1_3repE0EEENS1_30default_config_static_selectorELNS0_4arch9wavefront6targetE1EEEvT1_
	.p2align	8
	.type	_ZN7rocprim17ROCPRIM_400000_NS6detail17trampoline_kernelINS0_14default_configENS1_25partition_config_selectorILNS1_17partition_subalgoE5ElNS0_10empty_typeEbEEZZNS1_14partition_implILS5_5ELb0ES3_mN6hipcub16HIPCUB_304000_NS21CountingInputIteratorIllEEPS6_NSA_22TransformInputIteratorIb7NonZeroIdEPdlEENS0_5tupleIJPlS6_EEENSJ_IJSD_SD_EEES6_SK_JS6_EEE10hipError_tPvRmT3_T4_T5_T6_T7_T9_mT8_P12ihipStream_tbDpT10_ENKUlT_T0_E_clISt17integral_constantIbLb1EES16_EEDaS11_S12_EUlS11_E_NS1_11comp_targetILNS1_3genE4ELNS1_11target_archE910ELNS1_3gpuE8ELNS1_3repE0EEENS1_30default_config_static_selectorELNS0_4arch9wavefront6targetE1EEEvT1_,@function
_ZN7rocprim17ROCPRIM_400000_NS6detail17trampoline_kernelINS0_14default_configENS1_25partition_config_selectorILNS1_17partition_subalgoE5ElNS0_10empty_typeEbEEZZNS1_14partition_implILS5_5ELb0ES3_mN6hipcub16HIPCUB_304000_NS21CountingInputIteratorIllEEPS6_NSA_22TransformInputIteratorIb7NonZeroIdEPdlEENS0_5tupleIJPlS6_EEENSJ_IJSD_SD_EEES6_SK_JS6_EEE10hipError_tPvRmT3_T4_T5_T6_T7_T9_mT8_P12ihipStream_tbDpT10_ENKUlT_T0_E_clISt17integral_constantIbLb1EES16_EEDaS11_S12_EUlS11_E_NS1_11comp_targetILNS1_3genE4ELNS1_11target_archE910ELNS1_3gpuE8ELNS1_3repE0EEENS1_30default_config_static_selectorELNS0_4arch9wavefront6targetE1EEEvT1_: ; @_ZN7rocprim17ROCPRIM_400000_NS6detail17trampoline_kernelINS0_14default_configENS1_25partition_config_selectorILNS1_17partition_subalgoE5ElNS0_10empty_typeEbEEZZNS1_14partition_implILS5_5ELb0ES3_mN6hipcub16HIPCUB_304000_NS21CountingInputIteratorIllEEPS6_NSA_22TransformInputIteratorIb7NonZeroIdEPdlEENS0_5tupleIJPlS6_EEENSJ_IJSD_SD_EEES6_SK_JS6_EEE10hipError_tPvRmT3_T4_T5_T6_T7_T9_mT8_P12ihipStream_tbDpT10_ENKUlT_T0_E_clISt17integral_constantIbLb1EES16_EEDaS11_S12_EUlS11_E_NS1_11comp_targetILNS1_3genE4ELNS1_11target_archE910ELNS1_3gpuE8ELNS1_3repE0EEENS1_30default_config_static_selectorELNS0_4arch9wavefront6targetE1EEEvT1_
; %bb.0:
	.section	.rodata,"a",@progbits
	.p2align	6, 0x0
	.amdhsa_kernel _ZN7rocprim17ROCPRIM_400000_NS6detail17trampoline_kernelINS0_14default_configENS1_25partition_config_selectorILNS1_17partition_subalgoE5ElNS0_10empty_typeEbEEZZNS1_14partition_implILS5_5ELb0ES3_mN6hipcub16HIPCUB_304000_NS21CountingInputIteratorIllEEPS6_NSA_22TransformInputIteratorIb7NonZeroIdEPdlEENS0_5tupleIJPlS6_EEENSJ_IJSD_SD_EEES6_SK_JS6_EEE10hipError_tPvRmT3_T4_T5_T6_T7_T9_mT8_P12ihipStream_tbDpT10_ENKUlT_T0_E_clISt17integral_constantIbLb1EES16_EEDaS11_S12_EUlS11_E_NS1_11comp_targetILNS1_3genE4ELNS1_11target_archE910ELNS1_3gpuE8ELNS1_3repE0EEENS1_30default_config_static_selectorELNS0_4arch9wavefront6targetE1EEEvT1_
		.amdhsa_group_segment_fixed_size 0
		.amdhsa_private_segment_fixed_size 0
		.amdhsa_kernarg_size 136
		.amdhsa_user_sgpr_count 6
		.amdhsa_user_sgpr_private_segment_buffer 1
		.amdhsa_user_sgpr_dispatch_ptr 0
		.amdhsa_user_sgpr_queue_ptr 0
		.amdhsa_user_sgpr_kernarg_segment_ptr 1
		.amdhsa_user_sgpr_dispatch_id 0
		.amdhsa_user_sgpr_flat_scratch_init 0
		.amdhsa_user_sgpr_private_segment_size 0
		.amdhsa_uses_dynamic_stack 0
		.amdhsa_system_sgpr_private_segment_wavefront_offset 0
		.amdhsa_system_sgpr_workgroup_id_x 1
		.amdhsa_system_sgpr_workgroup_id_y 0
		.amdhsa_system_sgpr_workgroup_id_z 0
		.amdhsa_system_sgpr_workgroup_info 0
		.amdhsa_system_vgpr_workitem_id 0
		.amdhsa_next_free_vgpr 1
		.amdhsa_next_free_sgpr 0
		.amdhsa_reserve_vcc 0
		.amdhsa_reserve_flat_scratch 0
		.amdhsa_float_round_mode_32 0
		.amdhsa_float_round_mode_16_64 0
		.amdhsa_float_denorm_mode_32 3
		.amdhsa_float_denorm_mode_16_64 3
		.amdhsa_dx10_clamp 1
		.amdhsa_ieee_mode 1
		.amdhsa_fp16_overflow 0
		.amdhsa_exception_fp_ieee_invalid_op 0
		.amdhsa_exception_fp_denorm_src 0
		.amdhsa_exception_fp_ieee_div_zero 0
		.amdhsa_exception_fp_ieee_overflow 0
		.amdhsa_exception_fp_ieee_underflow 0
		.amdhsa_exception_fp_ieee_inexact 0
		.amdhsa_exception_int_div_zero 0
	.end_amdhsa_kernel
	.section	.text._ZN7rocprim17ROCPRIM_400000_NS6detail17trampoline_kernelINS0_14default_configENS1_25partition_config_selectorILNS1_17partition_subalgoE5ElNS0_10empty_typeEbEEZZNS1_14partition_implILS5_5ELb0ES3_mN6hipcub16HIPCUB_304000_NS21CountingInputIteratorIllEEPS6_NSA_22TransformInputIteratorIb7NonZeroIdEPdlEENS0_5tupleIJPlS6_EEENSJ_IJSD_SD_EEES6_SK_JS6_EEE10hipError_tPvRmT3_T4_T5_T6_T7_T9_mT8_P12ihipStream_tbDpT10_ENKUlT_T0_E_clISt17integral_constantIbLb1EES16_EEDaS11_S12_EUlS11_E_NS1_11comp_targetILNS1_3genE4ELNS1_11target_archE910ELNS1_3gpuE8ELNS1_3repE0EEENS1_30default_config_static_selectorELNS0_4arch9wavefront6targetE1EEEvT1_,"axG",@progbits,_ZN7rocprim17ROCPRIM_400000_NS6detail17trampoline_kernelINS0_14default_configENS1_25partition_config_selectorILNS1_17partition_subalgoE5ElNS0_10empty_typeEbEEZZNS1_14partition_implILS5_5ELb0ES3_mN6hipcub16HIPCUB_304000_NS21CountingInputIteratorIllEEPS6_NSA_22TransformInputIteratorIb7NonZeroIdEPdlEENS0_5tupleIJPlS6_EEENSJ_IJSD_SD_EEES6_SK_JS6_EEE10hipError_tPvRmT3_T4_T5_T6_T7_T9_mT8_P12ihipStream_tbDpT10_ENKUlT_T0_E_clISt17integral_constantIbLb1EES16_EEDaS11_S12_EUlS11_E_NS1_11comp_targetILNS1_3genE4ELNS1_11target_archE910ELNS1_3gpuE8ELNS1_3repE0EEENS1_30default_config_static_selectorELNS0_4arch9wavefront6targetE1EEEvT1_,comdat
.Lfunc_end331:
	.size	_ZN7rocprim17ROCPRIM_400000_NS6detail17trampoline_kernelINS0_14default_configENS1_25partition_config_selectorILNS1_17partition_subalgoE5ElNS0_10empty_typeEbEEZZNS1_14partition_implILS5_5ELb0ES3_mN6hipcub16HIPCUB_304000_NS21CountingInputIteratorIllEEPS6_NSA_22TransformInputIteratorIb7NonZeroIdEPdlEENS0_5tupleIJPlS6_EEENSJ_IJSD_SD_EEES6_SK_JS6_EEE10hipError_tPvRmT3_T4_T5_T6_T7_T9_mT8_P12ihipStream_tbDpT10_ENKUlT_T0_E_clISt17integral_constantIbLb1EES16_EEDaS11_S12_EUlS11_E_NS1_11comp_targetILNS1_3genE4ELNS1_11target_archE910ELNS1_3gpuE8ELNS1_3repE0EEENS1_30default_config_static_selectorELNS0_4arch9wavefront6targetE1EEEvT1_, .Lfunc_end331-_ZN7rocprim17ROCPRIM_400000_NS6detail17trampoline_kernelINS0_14default_configENS1_25partition_config_selectorILNS1_17partition_subalgoE5ElNS0_10empty_typeEbEEZZNS1_14partition_implILS5_5ELb0ES3_mN6hipcub16HIPCUB_304000_NS21CountingInputIteratorIllEEPS6_NSA_22TransformInputIteratorIb7NonZeroIdEPdlEENS0_5tupleIJPlS6_EEENSJ_IJSD_SD_EEES6_SK_JS6_EEE10hipError_tPvRmT3_T4_T5_T6_T7_T9_mT8_P12ihipStream_tbDpT10_ENKUlT_T0_E_clISt17integral_constantIbLb1EES16_EEDaS11_S12_EUlS11_E_NS1_11comp_targetILNS1_3genE4ELNS1_11target_archE910ELNS1_3gpuE8ELNS1_3repE0EEENS1_30default_config_static_selectorELNS0_4arch9wavefront6targetE1EEEvT1_
                                        ; -- End function
	.set _ZN7rocprim17ROCPRIM_400000_NS6detail17trampoline_kernelINS0_14default_configENS1_25partition_config_selectorILNS1_17partition_subalgoE5ElNS0_10empty_typeEbEEZZNS1_14partition_implILS5_5ELb0ES3_mN6hipcub16HIPCUB_304000_NS21CountingInputIteratorIllEEPS6_NSA_22TransformInputIteratorIb7NonZeroIdEPdlEENS0_5tupleIJPlS6_EEENSJ_IJSD_SD_EEES6_SK_JS6_EEE10hipError_tPvRmT3_T4_T5_T6_T7_T9_mT8_P12ihipStream_tbDpT10_ENKUlT_T0_E_clISt17integral_constantIbLb1EES16_EEDaS11_S12_EUlS11_E_NS1_11comp_targetILNS1_3genE4ELNS1_11target_archE910ELNS1_3gpuE8ELNS1_3repE0EEENS1_30default_config_static_selectorELNS0_4arch9wavefront6targetE1EEEvT1_.num_vgpr, 0
	.set _ZN7rocprim17ROCPRIM_400000_NS6detail17trampoline_kernelINS0_14default_configENS1_25partition_config_selectorILNS1_17partition_subalgoE5ElNS0_10empty_typeEbEEZZNS1_14partition_implILS5_5ELb0ES3_mN6hipcub16HIPCUB_304000_NS21CountingInputIteratorIllEEPS6_NSA_22TransformInputIteratorIb7NonZeroIdEPdlEENS0_5tupleIJPlS6_EEENSJ_IJSD_SD_EEES6_SK_JS6_EEE10hipError_tPvRmT3_T4_T5_T6_T7_T9_mT8_P12ihipStream_tbDpT10_ENKUlT_T0_E_clISt17integral_constantIbLb1EES16_EEDaS11_S12_EUlS11_E_NS1_11comp_targetILNS1_3genE4ELNS1_11target_archE910ELNS1_3gpuE8ELNS1_3repE0EEENS1_30default_config_static_selectorELNS0_4arch9wavefront6targetE1EEEvT1_.num_agpr, 0
	.set _ZN7rocprim17ROCPRIM_400000_NS6detail17trampoline_kernelINS0_14default_configENS1_25partition_config_selectorILNS1_17partition_subalgoE5ElNS0_10empty_typeEbEEZZNS1_14partition_implILS5_5ELb0ES3_mN6hipcub16HIPCUB_304000_NS21CountingInputIteratorIllEEPS6_NSA_22TransformInputIteratorIb7NonZeroIdEPdlEENS0_5tupleIJPlS6_EEENSJ_IJSD_SD_EEES6_SK_JS6_EEE10hipError_tPvRmT3_T4_T5_T6_T7_T9_mT8_P12ihipStream_tbDpT10_ENKUlT_T0_E_clISt17integral_constantIbLb1EES16_EEDaS11_S12_EUlS11_E_NS1_11comp_targetILNS1_3genE4ELNS1_11target_archE910ELNS1_3gpuE8ELNS1_3repE0EEENS1_30default_config_static_selectorELNS0_4arch9wavefront6targetE1EEEvT1_.numbered_sgpr, 0
	.set _ZN7rocprim17ROCPRIM_400000_NS6detail17trampoline_kernelINS0_14default_configENS1_25partition_config_selectorILNS1_17partition_subalgoE5ElNS0_10empty_typeEbEEZZNS1_14partition_implILS5_5ELb0ES3_mN6hipcub16HIPCUB_304000_NS21CountingInputIteratorIllEEPS6_NSA_22TransformInputIteratorIb7NonZeroIdEPdlEENS0_5tupleIJPlS6_EEENSJ_IJSD_SD_EEES6_SK_JS6_EEE10hipError_tPvRmT3_T4_T5_T6_T7_T9_mT8_P12ihipStream_tbDpT10_ENKUlT_T0_E_clISt17integral_constantIbLb1EES16_EEDaS11_S12_EUlS11_E_NS1_11comp_targetILNS1_3genE4ELNS1_11target_archE910ELNS1_3gpuE8ELNS1_3repE0EEENS1_30default_config_static_selectorELNS0_4arch9wavefront6targetE1EEEvT1_.num_named_barrier, 0
	.set _ZN7rocprim17ROCPRIM_400000_NS6detail17trampoline_kernelINS0_14default_configENS1_25partition_config_selectorILNS1_17partition_subalgoE5ElNS0_10empty_typeEbEEZZNS1_14partition_implILS5_5ELb0ES3_mN6hipcub16HIPCUB_304000_NS21CountingInputIteratorIllEEPS6_NSA_22TransformInputIteratorIb7NonZeroIdEPdlEENS0_5tupleIJPlS6_EEENSJ_IJSD_SD_EEES6_SK_JS6_EEE10hipError_tPvRmT3_T4_T5_T6_T7_T9_mT8_P12ihipStream_tbDpT10_ENKUlT_T0_E_clISt17integral_constantIbLb1EES16_EEDaS11_S12_EUlS11_E_NS1_11comp_targetILNS1_3genE4ELNS1_11target_archE910ELNS1_3gpuE8ELNS1_3repE0EEENS1_30default_config_static_selectorELNS0_4arch9wavefront6targetE1EEEvT1_.private_seg_size, 0
	.set _ZN7rocprim17ROCPRIM_400000_NS6detail17trampoline_kernelINS0_14default_configENS1_25partition_config_selectorILNS1_17partition_subalgoE5ElNS0_10empty_typeEbEEZZNS1_14partition_implILS5_5ELb0ES3_mN6hipcub16HIPCUB_304000_NS21CountingInputIteratorIllEEPS6_NSA_22TransformInputIteratorIb7NonZeroIdEPdlEENS0_5tupleIJPlS6_EEENSJ_IJSD_SD_EEES6_SK_JS6_EEE10hipError_tPvRmT3_T4_T5_T6_T7_T9_mT8_P12ihipStream_tbDpT10_ENKUlT_T0_E_clISt17integral_constantIbLb1EES16_EEDaS11_S12_EUlS11_E_NS1_11comp_targetILNS1_3genE4ELNS1_11target_archE910ELNS1_3gpuE8ELNS1_3repE0EEENS1_30default_config_static_selectorELNS0_4arch9wavefront6targetE1EEEvT1_.uses_vcc, 0
	.set _ZN7rocprim17ROCPRIM_400000_NS6detail17trampoline_kernelINS0_14default_configENS1_25partition_config_selectorILNS1_17partition_subalgoE5ElNS0_10empty_typeEbEEZZNS1_14partition_implILS5_5ELb0ES3_mN6hipcub16HIPCUB_304000_NS21CountingInputIteratorIllEEPS6_NSA_22TransformInputIteratorIb7NonZeroIdEPdlEENS0_5tupleIJPlS6_EEENSJ_IJSD_SD_EEES6_SK_JS6_EEE10hipError_tPvRmT3_T4_T5_T6_T7_T9_mT8_P12ihipStream_tbDpT10_ENKUlT_T0_E_clISt17integral_constantIbLb1EES16_EEDaS11_S12_EUlS11_E_NS1_11comp_targetILNS1_3genE4ELNS1_11target_archE910ELNS1_3gpuE8ELNS1_3repE0EEENS1_30default_config_static_selectorELNS0_4arch9wavefront6targetE1EEEvT1_.uses_flat_scratch, 0
	.set _ZN7rocprim17ROCPRIM_400000_NS6detail17trampoline_kernelINS0_14default_configENS1_25partition_config_selectorILNS1_17partition_subalgoE5ElNS0_10empty_typeEbEEZZNS1_14partition_implILS5_5ELb0ES3_mN6hipcub16HIPCUB_304000_NS21CountingInputIteratorIllEEPS6_NSA_22TransformInputIteratorIb7NonZeroIdEPdlEENS0_5tupleIJPlS6_EEENSJ_IJSD_SD_EEES6_SK_JS6_EEE10hipError_tPvRmT3_T4_T5_T6_T7_T9_mT8_P12ihipStream_tbDpT10_ENKUlT_T0_E_clISt17integral_constantIbLb1EES16_EEDaS11_S12_EUlS11_E_NS1_11comp_targetILNS1_3genE4ELNS1_11target_archE910ELNS1_3gpuE8ELNS1_3repE0EEENS1_30default_config_static_selectorELNS0_4arch9wavefront6targetE1EEEvT1_.has_dyn_sized_stack, 0
	.set _ZN7rocprim17ROCPRIM_400000_NS6detail17trampoline_kernelINS0_14default_configENS1_25partition_config_selectorILNS1_17partition_subalgoE5ElNS0_10empty_typeEbEEZZNS1_14partition_implILS5_5ELb0ES3_mN6hipcub16HIPCUB_304000_NS21CountingInputIteratorIllEEPS6_NSA_22TransformInputIteratorIb7NonZeroIdEPdlEENS0_5tupleIJPlS6_EEENSJ_IJSD_SD_EEES6_SK_JS6_EEE10hipError_tPvRmT3_T4_T5_T6_T7_T9_mT8_P12ihipStream_tbDpT10_ENKUlT_T0_E_clISt17integral_constantIbLb1EES16_EEDaS11_S12_EUlS11_E_NS1_11comp_targetILNS1_3genE4ELNS1_11target_archE910ELNS1_3gpuE8ELNS1_3repE0EEENS1_30default_config_static_selectorELNS0_4arch9wavefront6targetE1EEEvT1_.has_recursion, 0
	.set _ZN7rocprim17ROCPRIM_400000_NS6detail17trampoline_kernelINS0_14default_configENS1_25partition_config_selectorILNS1_17partition_subalgoE5ElNS0_10empty_typeEbEEZZNS1_14partition_implILS5_5ELb0ES3_mN6hipcub16HIPCUB_304000_NS21CountingInputIteratorIllEEPS6_NSA_22TransformInputIteratorIb7NonZeroIdEPdlEENS0_5tupleIJPlS6_EEENSJ_IJSD_SD_EEES6_SK_JS6_EEE10hipError_tPvRmT3_T4_T5_T6_T7_T9_mT8_P12ihipStream_tbDpT10_ENKUlT_T0_E_clISt17integral_constantIbLb1EES16_EEDaS11_S12_EUlS11_E_NS1_11comp_targetILNS1_3genE4ELNS1_11target_archE910ELNS1_3gpuE8ELNS1_3repE0EEENS1_30default_config_static_selectorELNS0_4arch9wavefront6targetE1EEEvT1_.has_indirect_call, 0
	.section	.AMDGPU.csdata,"",@progbits
; Kernel info:
; codeLenInByte = 0
; TotalNumSgprs: 4
; NumVgprs: 0
; ScratchSize: 0
; MemoryBound: 0
; FloatMode: 240
; IeeeMode: 1
; LDSByteSize: 0 bytes/workgroup (compile time only)
; SGPRBlocks: 0
; VGPRBlocks: 0
; NumSGPRsForWavesPerEU: 4
; NumVGPRsForWavesPerEU: 1
; Occupancy: 10
; WaveLimiterHint : 0
; COMPUTE_PGM_RSRC2:SCRATCH_EN: 0
; COMPUTE_PGM_RSRC2:USER_SGPR: 6
; COMPUTE_PGM_RSRC2:TRAP_HANDLER: 0
; COMPUTE_PGM_RSRC2:TGID_X_EN: 1
; COMPUTE_PGM_RSRC2:TGID_Y_EN: 0
; COMPUTE_PGM_RSRC2:TGID_Z_EN: 0
; COMPUTE_PGM_RSRC2:TIDIG_COMP_CNT: 0
	.section	.text._ZN7rocprim17ROCPRIM_400000_NS6detail17trampoline_kernelINS0_14default_configENS1_25partition_config_selectorILNS1_17partition_subalgoE5ElNS0_10empty_typeEbEEZZNS1_14partition_implILS5_5ELb0ES3_mN6hipcub16HIPCUB_304000_NS21CountingInputIteratorIllEEPS6_NSA_22TransformInputIteratorIb7NonZeroIdEPdlEENS0_5tupleIJPlS6_EEENSJ_IJSD_SD_EEES6_SK_JS6_EEE10hipError_tPvRmT3_T4_T5_T6_T7_T9_mT8_P12ihipStream_tbDpT10_ENKUlT_T0_E_clISt17integral_constantIbLb1EES16_EEDaS11_S12_EUlS11_E_NS1_11comp_targetILNS1_3genE3ELNS1_11target_archE908ELNS1_3gpuE7ELNS1_3repE0EEENS1_30default_config_static_selectorELNS0_4arch9wavefront6targetE1EEEvT1_,"axG",@progbits,_ZN7rocprim17ROCPRIM_400000_NS6detail17trampoline_kernelINS0_14default_configENS1_25partition_config_selectorILNS1_17partition_subalgoE5ElNS0_10empty_typeEbEEZZNS1_14partition_implILS5_5ELb0ES3_mN6hipcub16HIPCUB_304000_NS21CountingInputIteratorIllEEPS6_NSA_22TransformInputIteratorIb7NonZeroIdEPdlEENS0_5tupleIJPlS6_EEENSJ_IJSD_SD_EEES6_SK_JS6_EEE10hipError_tPvRmT3_T4_T5_T6_T7_T9_mT8_P12ihipStream_tbDpT10_ENKUlT_T0_E_clISt17integral_constantIbLb1EES16_EEDaS11_S12_EUlS11_E_NS1_11comp_targetILNS1_3genE3ELNS1_11target_archE908ELNS1_3gpuE7ELNS1_3repE0EEENS1_30default_config_static_selectorELNS0_4arch9wavefront6targetE1EEEvT1_,comdat
	.protected	_ZN7rocprim17ROCPRIM_400000_NS6detail17trampoline_kernelINS0_14default_configENS1_25partition_config_selectorILNS1_17partition_subalgoE5ElNS0_10empty_typeEbEEZZNS1_14partition_implILS5_5ELb0ES3_mN6hipcub16HIPCUB_304000_NS21CountingInputIteratorIllEEPS6_NSA_22TransformInputIteratorIb7NonZeroIdEPdlEENS0_5tupleIJPlS6_EEENSJ_IJSD_SD_EEES6_SK_JS6_EEE10hipError_tPvRmT3_T4_T5_T6_T7_T9_mT8_P12ihipStream_tbDpT10_ENKUlT_T0_E_clISt17integral_constantIbLb1EES16_EEDaS11_S12_EUlS11_E_NS1_11comp_targetILNS1_3genE3ELNS1_11target_archE908ELNS1_3gpuE7ELNS1_3repE0EEENS1_30default_config_static_selectorELNS0_4arch9wavefront6targetE1EEEvT1_ ; -- Begin function _ZN7rocprim17ROCPRIM_400000_NS6detail17trampoline_kernelINS0_14default_configENS1_25partition_config_selectorILNS1_17partition_subalgoE5ElNS0_10empty_typeEbEEZZNS1_14partition_implILS5_5ELb0ES3_mN6hipcub16HIPCUB_304000_NS21CountingInputIteratorIllEEPS6_NSA_22TransformInputIteratorIb7NonZeroIdEPdlEENS0_5tupleIJPlS6_EEENSJ_IJSD_SD_EEES6_SK_JS6_EEE10hipError_tPvRmT3_T4_T5_T6_T7_T9_mT8_P12ihipStream_tbDpT10_ENKUlT_T0_E_clISt17integral_constantIbLb1EES16_EEDaS11_S12_EUlS11_E_NS1_11comp_targetILNS1_3genE3ELNS1_11target_archE908ELNS1_3gpuE7ELNS1_3repE0EEENS1_30default_config_static_selectorELNS0_4arch9wavefront6targetE1EEEvT1_
	.globl	_ZN7rocprim17ROCPRIM_400000_NS6detail17trampoline_kernelINS0_14default_configENS1_25partition_config_selectorILNS1_17partition_subalgoE5ElNS0_10empty_typeEbEEZZNS1_14partition_implILS5_5ELb0ES3_mN6hipcub16HIPCUB_304000_NS21CountingInputIteratorIllEEPS6_NSA_22TransformInputIteratorIb7NonZeroIdEPdlEENS0_5tupleIJPlS6_EEENSJ_IJSD_SD_EEES6_SK_JS6_EEE10hipError_tPvRmT3_T4_T5_T6_T7_T9_mT8_P12ihipStream_tbDpT10_ENKUlT_T0_E_clISt17integral_constantIbLb1EES16_EEDaS11_S12_EUlS11_E_NS1_11comp_targetILNS1_3genE3ELNS1_11target_archE908ELNS1_3gpuE7ELNS1_3repE0EEENS1_30default_config_static_selectorELNS0_4arch9wavefront6targetE1EEEvT1_
	.p2align	8
	.type	_ZN7rocprim17ROCPRIM_400000_NS6detail17trampoline_kernelINS0_14default_configENS1_25partition_config_selectorILNS1_17partition_subalgoE5ElNS0_10empty_typeEbEEZZNS1_14partition_implILS5_5ELb0ES3_mN6hipcub16HIPCUB_304000_NS21CountingInputIteratorIllEEPS6_NSA_22TransformInputIteratorIb7NonZeroIdEPdlEENS0_5tupleIJPlS6_EEENSJ_IJSD_SD_EEES6_SK_JS6_EEE10hipError_tPvRmT3_T4_T5_T6_T7_T9_mT8_P12ihipStream_tbDpT10_ENKUlT_T0_E_clISt17integral_constantIbLb1EES16_EEDaS11_S12_EUlS11_E_NS1_11comp_targetILNS1_3genE3ELNS1_11target_archE908ELNS1_3gpuE7ELNS1_3repE0EEENS1_30default_config_static_selectorELNS0_4arch9wavefront6targetE1EEEvT1_,@function
_ZN7rocprim17ROCPRIM_400000_NS6detail17trampoline_kernelINS0_14default_configENS1_25partition_config_selectorILNS1_17partition_subalgoE5ElNS0_10empty_typeEbEEZZNS1_14partition_implILS5_5ELb0ES3_mN6hipcub16HIPCUB_304000_NS21CountingInputIteratorIllEEPS6_NSA_22TransformInputIteratorIb7NonZeroIdEPdlEENS0_5tupleIJPlS6_EEENSJ_IJSD_SD_EEES6_SK_JS6_EEE10hipError_tPvRmT3_T4_T5_T6_T7_T9_mT8_P12ihipStream_tbDpT10_ENKUlT_T0_E_clISt17integral_constantIbLb1EES16_EEDaS11_S12_EUlS11_E_NS1_11comp_targetILNS1_3genE3ELNS1_11target_archE908ELNS1_3gpuE7ELNS1_3repE0EEENS1_30default_config_static_selectorELNS0_4arch9wavefront6targetE1EEEvT1_: ; @_ZN7rocprim17ROCPRIM_400000_NS6detail17trampoline_kernelINS0_14default_configENS1_25partition_config_selectorILNS1_17partition_subalgoE5ElNS0_10empty_typeEbEEZZNS1_14partition_implILS5_5ELb0ES3_mN6hipcub16HIPCUB_304000_NS21CountingInputIteratorIllEEPS6_NSA_22TransformInputIteratorIb7NonZeroIdEPdlEENS0_5tupleIJPlS6_EEENSJ_IJSD_SD_EEES6_SK_JS6_EEE10hipError_tPvRmT3_T4_T5_T6_T7_T9_mT8_P12ihipStream_tbDpT10_ENKUlT_T0_E_clISt17integral_constantIbLb1EES16_EEDaS11_S12_EUlS11_E_NS1_11comp_targetILNS1_3genE3ELNS1_11target_archE908ELNS1_3gpuE7ELNS1_3repE0EEENS1_30default_config_static_selectorELNS0_4arch9wavefront6targetE1EEEvT1_
; %bb.0:
	.section	.rodata,"a",@progbits
	.p2align	6, 0x0
	.amdhsa_kernel _ZN7rocprim17ROCPRIM_400000_NS6detail17trampoline_kernelINS0_14default_configENS1_25partition_config_selectorILNS1_17partition_subalgoE5ElNS0_10empty_typeEbEEZZNS1_14partition_implILS5_5ELb0ES3_mN6hipcub16HIPCUB_304000_NS21CountingInputIteratorIllEEPS6_NSA_22TransformInputIteratorIb7NonZeroIdEPdlEENS0_5tupleIJPlS6_EEENSJ_IJSD_SD_EEES6_SK_JS6_EEE10hipError_tPvRmT3_T4_T5_T6_T7_T9_mT8_P12ihipStream_tbDpT10_ENKUlT_T0_E_clISt17integral_constantIbLb1EES16_EEDaS11_S12_EUlS11_E_NS1_11comp_targetILNS1_3genE3ELNS1_11target_archE908ELNS1_3gpuE7ELNS1_3repE0EEENS1_30default_config_static_selectorELNS0_4arch9wavefront6targetE1EEEvT1_
		.amdhsa_group_segment_fixed_size 0
		.amdhsa_private_segment_fixed_size 0
		.amdhsa_kernarg_size 136
		.amdhsa_user_sgpr_count 6
		.amdhsa_user_sgpr_private_segment_buffer 1
		.amdhsa_user_sgpr_dispatch_ptr 0
		.amdhsa_user_sgpr_queue_ptr 0
		.amdhsa_user_sgpr_kernarg_segment_ptr 1
		.amdhsa_user_sgpr_dispatch_id 0
		.amdhsa_user_sgpr_flat_scratch_init 0
		.amdhsa_user_sgpr_private_segment_size 0
		.amdhsa_uses_dynamic_stack 0
		.amdhsa_system_sgpr_private_segment_wavefront_offset 0
		.amdhsa_system_sgpr_workgroup_id_x 1
		.amdhsa_system_sgpr_workgroup_id_y 0
		.amdhsa_system_sgpr_workgroup_id_z 0
		.amdhsa_system_sgpr_workgroup_info 0
		.amdhsa_system_vgpr_workitem_id 0
		.amdhsa_next_free_vgpr 1
		.amdhsa_next_free_sgpr 0
		.amdhsa_reserve_vcc 0
		.amdhsa_reserve_flat_scratch 0
		.amdhsa_float_round_mode_32 0
		.amdhsa_float_round_mode_16_64 0
		.amdhsa_float_denorm_mode_32 3
		.amdhsa_float_denorm_mode_16_64 3
		.amdhsa_dx10_clamp 1
		.amdhsa_ieee_mode 1
		.amdhsa_fp16_overflow 0
		.amdhsa_exception_fp_ieee_invalid_op 0
		.amdhsa_exception_fp_denorm_src 0
		.amdhsa_exception_fp_ieee_div_zero 0
		.amdhsa_exception_fp_ieee_overflow 0
		.amdhsa_exception_fp_ieee_underflow 0
		.amdhsa_exception_fp_ieee_inexact 0
		.amdhsa_exception_int_div_zero 0
	.end_amdhsa_kernel
	.section	.text._ZN7rocprim17ROCPRIM_400000_NS6detail17trampoline_kernelINS0_14default_configENS1_25partition_config_selectorILNS1_17partition_subalgoE5ElNS0_10empty_typeEbEEZZNS1_14partition_implILS5_5ELb0ES3_mN6hipcub16HIPCUB_304000_NS21CountingInputIteratorIllEEPS6_NSA_22TransformInputIteratorIb7NonZeroIdEPdlEENS0_5tupleIJPlS6_EEENSJ_IJSD_SD_EEES6_SK_JS6_EEE10hipError_tPvRmT3_T4_T5_T6_T7_T9_mT8_P12ihipStream_tbDpT10_ENKUlT_T0_E_clISt17integral_constantIbLb1EES16_EEDaS11_S12_EUlS11_E_NS1_11comp_targetILNS1_3genE3ELNS1_11target_archE908ELNS1_3gpuE7ELNS1_3repE0EEENS1_30default_config_static_selectorELNS0_4arch9wavefront6targetE1EEEvT1_,"axG",@progbits,_ZN7rocprim17ROCPRIM_400000_NS6detail17trampoline_kernelINS0_14default_configENS1_25partition_config_selectorILNS1_17partition_subalgoE5ElNS0_10empty_typeEbEEZZNS1_14partition_implILS5_5ELb0ES3_mN6hipcub16HIPCUB_304000_NS21CountingInputIteratorIllEEPS6_NSA_22TransformInputIteratorIb7NonZeroIdEPdlEENS0_5tupleIJPlS6_EEENSJ_IJSD_SD_EEES6_SK_JS6_EEE10hipError_tPvRmT3_T4_T5_T6_T7_T9_mT8_P12ihipStream_tbDpT10_ENKUlT_T0_E_clISt17integral_constantIbLb1EES16_EEDaS11_S12_EUlS11_E_NS1_11comp_targetILNS1_3genE3ELNS1_11target_archE908ELNS1_3gpuE7ELNS1_3repE0EEENS1_30default_config_static_selectorELNS0_4arch9wavefront6targetE1EEEvT1_,comdat
.Lfunc_end332:
	.size	_ZN7rocprim17ROCPRIM_400000_NS6detail17trampoline_kernelINS0_14default_configENS1_25partition_config_selectorILNS1_17partition_subalgoE5ElNS0_10empty_typeEbEEZZNS1_14partition_implILS5_5ELb0ES3_mN6hipcub16HIPCUB_304000_NS21CountingInputIteratorIllEEPS6_NSA_22TransformInputIteratorIb7NonZeroIdEPdlEENS0_5tupleIJPlS6_EEENSJ_IJSD_SD_EEES6_SK_JS6_EEE10hipError_tPvRmT3_T4_T5_T6_T7_T9_mT8_P12ihipStream_tbDpT10_ENKUlT_T0_E_clISt17integral_constantIbLb1EES16_EEDaS11_S12_EUlS11_E_NS1_11comp_targetILNS1_3genE3ELNS1_11target_archE908ELNS1_3gpuE7ELNS1_3repE0EEENS1_30default_config_static_selectorELNS0_4arch9wavefront6targetE1EEEvT1_, .Lfunc_end332-_ZN7rocprim17ROCPRIM_400000_NS6detail17trampoline_kernelINS0_14default_configENS1_25partition_config_selectorILNS1_17partition_subalgoE5ElNS0_10empty_typeEbEEZZNS1_14partition_implILS5_5ELb0ES3_mN6hipcub16HIPCUB_304000_NS21CountingInputIteratorIllEEPS6_NSA_22TransformInputIteratorIb7NonZeroIdEPdlEENS0_5tupleIJPlS6_EEENSJ_IJSD_SD_EEES6_SK_JS6_EEE10hipError_tPvRmT3_T4_T5_T6_T7_T9_mT8_P12ihipStream_tbDpT10_ENKUlT_T0_E_clISt17integral_constantIbLb1EES16_EEDaS11_S12_EUlS11_E_NS1_11comp_targetILNS1_3genE3ELNS1_11target_archE908ELNS1_3gpuE7ELNS1_3repE0EEENS1_30default_config_static_selectorELNS0_4arch9wavefront6targetE1EEEvT1_
                                        ; -- End function
	.set _ZN7rocprim17ROCPRIM_400000_NS6detail17trampoline_kernelINS0_14default_configENS1_25partition_config_selectorILNS1_17partition_subalgoE5ElNS0_10empty_typeEbEEZZNS1_14partition_implILS5_5ELb0ES3_mN6hipcub16HIPCUB_304000_NS21CountingInputIteratorIllEEPS6_NSA_22TransformInputIteratorIb7NonZeroIdEPdlEENS0_5tupleIJPlS6_EEENSJ_IJSD_SD_EEES6_SK_JS6_EEE10hipError_tPvRmT3_T4_T5_T6_T7_T9_mT8_P12ihipStream_tbDpT10_ENKUlT_T0_E_clISt17integral_constantIbLb1EES16_EEDaS11_S12_EUlS11_E_NS1_11comp_targetILNS1_3genE3ELNS1_11target_archE908ELNS1_3gpuE7ELNS1_3repE0EEENS1_30default_config_static_selectorELNS0_4arch9wavefront6targetE1EEEvT1_.num_vgpr, 0
	.set _ZN7rocprim17ROCPRIM_400000_NS6detail17trampoline_kernelINS0_14default_configENS1_25partition_config_selectorILNS1_17partition_subalgoE5ElNS0_10empty_typeEbEEZZNS1_14partition_implILS5_5ELb0ES3_mN6hipcub16HIPCUB_304000_NS21CountingInputIteratorIllEEPS6_NSA_22TransformInputIteratorIb7NonZeroIdEPdlEENS0_5tupleIJPlS6_EEENSJ_IJSD_SD_EEES6_SK_JS6_EEE10hipError_tPvRmT3_T4_T5_T6_T7_T9_mT8_P12ihipStream_tbDpT10_ENKUlT_T0_E_clISt17integral_constantIbLb1EES16_EEDaS11_S12_EUlS11_E_NS1_11comp_targetILNS1_3genE3ELNS1_11target_archE908ELNS1_3gpuE7ELNS1_3repE0EEENS1_30default_config_static_selectorELNS0_4arch9wavefront6targetE1EEEvT1_.num_agpr, 0
	.set _ZN7rocprim17ROCPRIM_400000_NS6detail17trampoline_kernelINS0_14default_configENS1_25partition_config_selectorILNS1_17partition_subalgoE5ElNS0_10empty_typeEbEEZZNS1_14partition_implILS5_5ELb0ES3_mN6hipcub16HIPCUB_304000_NS21CountingInputIteratorIllEEPS6_NSA_22TransformInputIteratorIb7NonZeroIdEPdlEENS0_5tupleIJPlS6_EEENSJ_IJSD_SD_EEES6_SK_JS6_EEE10hipError_tPvRmT3_T4_T5_T6_T7_T9_mT8_P12ihipStream_tbDpT10_ENKUlT_T0_E_clISt17integral_constantIbLb1EES16_EEDaS11_S12_EUlS11_E_NS1_11comp_targetILNS1_3genE3ELNS1_11target_archE908ELNS1_3gpuE7ELNS1_3repE0EEENS1_30default_config_static_selectorELNS0_4arch9wavefront6targetE1EEEvT1_.numbered_sgpr, 0
	.set _ZN7rocprim17ROCPRIM_400000_NS6detail17trampoline_kernelINS0_14default_configENS1_25partition_config_selectorILNS1_17partition_subalgoE5ElNS0_10empty_typeEbEEZZNS1_14partition_implILS5_5ELb0ES3_mN6hipcub16HIPCUB_304000_NS21CountingInputIteratorIllEEPS6_NSA_22TransformInputIteratorIb7NonZeroIdEPdlEENS0_5tupleIJPlS6_EEENSJ_IJSD_SD_EEES6_SK_JS6_EEE10hipError_tPvRmT3_T4_T5_T6_T7_T9_mT8_P12ihipStream_tbDpT10_ENKUlT_T0_E_clISt17integral_constantIbLb1EES16_EEDaS11_S12_EUlS11_E_NS1_11comp_targetILNS1_3genE3ELNS1_11target_archE908ELNS1_3gpuE7ELNS1_3repE0EEENS1_30default_config_static_selectorELNS0_4arch9wavefront6targetE1EEEvT1_.num_named_barrier, 0
	.set _ZN7rocprim17ROCPRIM_400000_NS6detail17trampoline_kernelINS0_14default_configENS1_25partition_config_selectorILNS1_17partition_subalgoE5ElNS0_10empty_typeEbEEZZNS1_14partition_implILS5_5ELb0ES3_mN6hipcub16HIPCUB_304000_NS21CountingInputIteratorIllEEPS6_NSA_22TransformInputIteratorIb7NonZeroIdEPdlEENS0_5tupleIJPlS6_EEENSJ_IJSD_SD_EEES6_SK_JS6_EEE10hipError_tPvRmT3_T4_T5_T6_T7_T9_mT8_P12ihipStream_tbDpT10_ENKUlT_T0_E_clISt17integral_constantIbLb1EES16_EEDaS11_S12_EUlS11_E_NS1_11comp_targetILNS1_3genE3ELNS1_11target_archE908ELNS1_3gpuE7ELNS1_3repE0EEENS1_30default_config_static_selectorELNS0_4arch9wavefront6targetE1EEEvT1_.private_seg_size, 0
	.set _ZN7rocprim17ROCPRIM_400000_NS6detail17trampoline_kernelINS0_14default_configENS1_25partition_config_selectorILNS1_17partition_subalgoE5ElNS0_10empty_typeEbEEZZNS1_14partition_implILS5_5ELb0ES3_mN6hipcub16HIPCUB_304000_NS21CountingInputIteratorIllEEPS6_NSA_22TransformInputIteratorIb7NonZeroIdEPdlEENS0_5tupleIJPlS6_EEENSJ_IJSD_SD_EEES6_SK_JS6_EEE10hipError_tPvRmT3_T4_T5_T6_T7_T9_mT8_P12ihipStream_tbDpT10_ENKUlT_T0_E_clISt17integral_constantIbLb1EES16_EEDaS11_S12_EUlS11_E_NS1_11comp_targetILNS1_3genE3ELNS1_11target_archE908ELNS1_3gpuE7ELNS1_3repE0EEENS1_30default_config_static_selectorELNS0_4arch9wavefront6targetE1EEEvT1_.uses_vcc, 0
	.set _ZN7rocprim17ROCPRIM_400000_NS6detail17trampoline_kernelINS0_14default_configENS1_25partition_config_selectorILNS1_17partition_subalgoE5ElNS0_10empty_typeEbEEZZNS1_14partition_implILS5_5ELb0ES3_mN6hipcub16HIPCUB_304000_NS21CountingInputIteratorIllEEPS6_NSA_22TransformInputIteratorIb7NonZeroIdEPdlEENS0_5tupleIJPlS6_EEENSJ_IJSD_SD_EEES6_SK_JS6_EEE10hipError_tPvRmT3_T4_T5_T6_T7_T9_mT8_P12ihipStream_tbDpT10_ENKUlT_T0_E_clISt17integral_constantIbLb1EES16_EEDaS11_S12_EUlS11_E_NS1_11comp_targetILNS1_3genE3ELNS1_11target_archE908ELNS1_3gpuE7ELNS1_3repE0EEENS1_30default_config_static_selectorELNS0_4arch9wavefront6targetE1EEEvT1_.uses_flat_scratch, 0
	.set _ZN7rocprim17ROCPRIM_400000_NS6detail17trampoline_kernelINS0_14default_configENS1_25partition_config_selectorILNS1_17partition_subalgoE5ElNS0_10empty_typeEbEEZZNS1_14partition_implILS5_5ELb0ES3_mN6hipcub16HIPCUB_304000_NS21CountingInputIteratorIllEEPS6_NSA_22TransformInputIteratorIb7NonZeroIdEPdlEENS0_5tupleIJPlS6_EEENSJ_IJSD_SD_EEES6_SK_JS6_EEE10hipError_tPvRmT3_T4_T5_T6_T7_T9_mT8_P12ihipStream_tbDpT10_ENKUlT_T0_E_clISt17integral_constantIbLb1EES16_EEDaS11_S12_EUlS11_E_NS1_11comp_targetILNS1_3genE3ELNS1_11target_archE908ELNS1_3gpuE7ELNS1_3repE0EEENS1_30default_config_static_selectorELNS0_4arch9wavefront6targetE1EEEvT1_.has_dyn_sized_stack, 0
	.set _ZN7rocprim17ROCPRIM_400000_NS6detail17trampoline_kernelINS0_14default_configENS1_25partition_config_selectorILNS1_17partition_subalgoE5ElNS0_10empty_typeEbEEZZNS1_14partition_implILS5_5ELb0ES3_mN6hipcub16HIPCUB_304000_NS21CountingInputIteratorIllEEPS6_NSA_22TransformInputIteratorIb7NonZeroIdEPdlEENS0_5tupleIJPlS6_EEENSJ_IJSD_SD_EEES6_SK_JS6_EEE10hipError_tPvRmT3_T4_T5_T6_T7_T9_mT8_P12ihipStream_tbDpT10_ENKUlT_T0_E_clISt17integral_constantIbLb1EES16_EEDaS11_S12_EUlS11_E_NS1_11comp_targetILNS1_3genE3ELNS1_11target_archE908ELNS1_3gpuE7ELNS1_3repE0EEENS1_30default_config_static_selectorELNS0_4arch9wavefront6targetE1EEEvT1_.has_recursion, 0
	.set _ZN7rocprim17ROCPRIM_400000_NS6detail17trampoline_kernelINS0_14default_configENS1_25partition_config_selectorILNS1_17partition_subalgoE5ElNS0_10empty_typeEbEEZZNS1_14partition_implILS5_5ELb0ES3_mN6hipcub16HIPCUB_304000_NS21CountingInputIteratorIllEEPS6_NSA_22TransformInputIteratorIb7NonZeroIdEPdlEENS0_5tupleIJPlS6_EEENSJ_IJSD_SD_EEES6_SK_JS6_EEE10hipError_tPvRmT3_T4_T5_T6_T7_T9_mT8_P12ihipStream_tbDpT10_ENKUlT_T0_E_clISt17integral_constantIbLb1EES16_EEDaS11_S12_EUlS11_E_NS1_11comp_targetILNS1_3genE3ELNS1_11target_archE908ELNS1_3gpuE7ELNS1_3repE0EEENS1_30default_config_static_selectorELNS0_4arch9wavefront6targetE1EEEvT1_.has_indirect_call, 0
	.section	.AMDGPU.csdata,"",@progbits
; Kernel info:
; codeLenInByte = 0
; TotalNumSgprs: 4
; NumVgprs: 0
; ScratchSize: 0
; MemoryBound: 0
; FloatMode: 240
; IeeeMode: 1
; LDSByteSize: 0 bytes/workgroup (compile time only)
; SGPRBlocks: 0
; VGPRBlocks: 0
; NumSGPRsForWavesPerEU: 4
; NumVGPRsForWavesPerEU: 1
; Occupancy: 10
; WaveLimiterHint : 0
; COMPUTE_PGM_RSRC2:SCRATCH_EN: 0
; COMPUTE_PGM_RSRC2:USER_SGPR: 6
; COMPUTE_PGM_RSRC2:TRAP_HANDLER: 0
; COMPUTE_PGM_RSRC2:TGID_X_EN: 1
; COMPUTE_PGM_RSRC2:TGID_Y_EN: 0
; COMPUTE_PGM_RSRC2:TGID_Z_EN: 0
; COMPUTE_PGM_RSRC2:TIDIG_COMP_CNT: 0
	.section	.text._ZN7rocprim17ROCPRIM_400000_NS6detail17trampoline_kernelINS0_14default_configENS1_25partition_config_selectorILNS1_17partition_subalgoE5ElNS0_10empty_typeEbEEZZNS1_14partition_implILS5_5ELb0ES3_mN6hipcub16HIPCUB_304000_NS21CountingInputIteratorIllEEPS6_NSA_22TransformInputIteratorIb7NonZeroIdEPdlEENS0_5tupleIJPlS6_EEENSJ_IJSD_SD_EEES6_SK_JS6_EEE10hipError_tPvRmT3_T4_T5_T6_T7_T9_mT8_P12ihipStream_tbDpT10_ENKUlT_T0_E_clISt17integral_constantIbLb1EES16_EEDaS11_S12_EUlS11_E_NS1_11comp_targetILNS1_3genE2ELNS1_11target_archE906ELNS1_3gpuE6ELNS1_3repE0EEENS1_30default_config_static_selectorELNS0_4arch9wavefront6targetE1EEEvT1_,"axG",@progbits,_ZN7rocprim17ROCPRIM_400000_NS6detail17trampoline_kernelINS0_14default_configENS1_25partition_config_selectorILNS1_17partition_subalgoE5ElNS0_10empty_typeEbEEZZNS1_14partition_implILS5_5ELb0ES3_mN6hipcub16HIPCUB_304000_NS21CountingInputIteratorIllEEPS6_NSA_22TransformInputIteratorIb7NonZeroIdEPdlEENS0_5tupleIJPlS6_EEENSJ_IJSD_SD_EEES6_SK_JS6_EEE10hipError_tPvRmT3_T4_T5_T6_T7_T9_mT8_P12ihipStream_tbDpT10_ENKUlT_T0_E_clISt17integral_constantIbLb1EES16_EEDaS11_S12_EUlS11_E_NS1_11comp_targetILNS1_3genE2ELNS1_11target_archE906ELNS1_3gpuE6ELNS1_3repE0EEENS1_30default_config_static_selectorELNS0_4arch9wavefront6targetE1EEEvT1_,comdat
	.protected	_ZN7rocprim17ROCPRIM_400000_NS6detail17trampoline_kernelINS0_14default_configENS1_25partition_config_selectorILNS1_17partition_subalgoE5ElNS0_10empty_typeEbEEZZNS1_14partition_implILS5_5ELb0ES3_mN6hipcub16HIPCUB_304000_NS21CountingInputIteratorIllEEPS6_NSA_22TransformInputIteratorIb7NonZeroIdEPdlEENS0_5tupleIJPlS6_EEENSJ_IJSD_SD_EEES6_SK_JS6_EEE10hipError_tPvRmT3_T4_T5_T6_T7_T9_mT8_P12ihipStream_tbDpT10_ENKUlT_T0_E_clISt17integral_constantIbLb1EES16_EEDaS11_S12_EUlS11_E_NS1_11comp_targetILNS1_3genE2ELNS1_11target_archE906ELNS1_3gpuE6ELNS1_3repE0EEENS1_30default_config_static_selectorELNS0_4arch9wavefront6targetE1EEEvT1_ ; -- Begin function _ZN7rocprim17ROCPRIM_400000_NS6detail17trampoline_kernelINS0_14default_configENS1_25partition_config_selectorILNS1_17partition_subalgoE5ElNS0_10empty_typeEbEEZZNS1_14partition_implILS5_5ELb0ES3_mN6hipcub16HIPCUB_304000_NS21CountingInputIteratorIllEEPS6_NSA_22TransformInputIteratorIb7NonZeroIdEPdlEENS0_5tupleIJPlS6_EEENSJ_IJSD_SD_EEES6_SK_JS6_EEE10hipError_tPvRmT3_T4_T5_T6_T7_T9_mT8_P12ihipStream_tbDpT10_ENKUlT_T0_E_clISt17integral_constantIbLb1EES16_EEDaS11_S12_EUlS11_E_NS1_11comp_targetILNS1_3genE2ELNS1_11target_archE906ELNS1_3gpuE6ELNS1_3repE0EEENS1_30default_config_static_selectorELNS0_4arch9wavefront6targetE1EEEvT1_
	.globl	_ZN7rocprim17ROCPRIM_400000_NS6detail17trampoline_kernelINS0_14default_configENS1_25partition_config_selectorILNS1_17partition_subalgoE5ElNS0_10empty_typeEbEEZZNS1_14partition_implILS5_5ELb0ES3_mN6hipcub16HIPCUB_304000_NS21CountingInputIteratorIllEEPS6_NSA_22TransformInputIteratorIb7NonZeroIdEPdlEENS0_5tupleIJPlS6_EEENSJ_IJSD_SD_EEES6_SK_JS6_EEE10hipError_tPvRmT3_T4_T5_T6_T7_T9_mT8_P12ihipStream_tbDpT10_ENKUlT_T0_E_clISt17integral_constantIbLb1EES16_EEDaS11_S12_EUlS11_E_NS1_11comp_targetILNS1_3genE2ELNS1_11target_archE906ELNS1_3gpuE6ELNS1_3repE0EEENS1_30default_config_static_selectorELNS0_4arch9wavefront6targetE1EEEvT1_
	.p2align	8
	.type	_ZN7rocprim17ROCPRIM_400000_NS6detail17trampoline_kernelINS0_14default_configENS1_25partition_config_selectorILNS1_17partition_subalgoE5ElNS0_10empty_typeEbEEZZNS1_14partition_implILS5_5ELb0ES3_mN6hipcub16HIPCUB_304000_NS21CountingInputIteratorIllEEPS6_NSA_22TransformInputIteratorIb7NonZeroIdEPdlEENS0_5tupleIJPlS6_EEENSJ_IJSD_SD_EEES6_SK_JS6_EEE10hipError_tPvRmT3_T4_T5_T6_T7_T9_mT8_P12ihipStream_tbDpT10_ENKUlT_T0_E_clISt17integral_constantIbLb1EES16_EEDaS11_S12_EUlS11_E_NS1_11comp_targetILNS1_3genE2ELNS1_11target_archE906ELNS1_3gpuE6ELNS1_3repE0EEENS1_30default_config_static_selectorELNS0_4arch9wavefront6targetE1EEEvT1_,@function
_ZN7rocprim17ROCPRIM_400000_NS6detail17trampoline_kernelINS0_14default_configENS1_25partition_config_selectorILNS1_17partition_subalgoE5ElNS0_10empty_typeEbEEZZNS1_14partition_implILS5_5ELb0ES3_mN6hipcub16HIPCUB_304000_NS21CountingInputIteratorIllEEPS6_NSA_22TransformInputIteratorIb7NonZeroIdEPdlEENS0_5tupleIJPlS6_EEENSJ_IJSD_SD_EEES6_SK_JS6_EEE10hipError_tPvRmT3_T4_T5_T6_T7_T9_mT8_P12ihipStream_tbDpT10_ENKUlT_T0_E_clISt17integral_constantIbLb1EES16_EEDaS11_S12_EUlS11_E_NS1_11comp_targetILNS1_3genE2ELNS1_11target_archE906ELNS1_3gpuE6ELNS1_3repE0EEENS1_30default_config_static_selectorELNS0_4arch9wavefront6targetE1EEEvT1_: ; @_ZN7rocprim17ROCPRIM_400000_NS6detail17trampoline_kernelINS0_14default_configENS1_25partition_config_selectorILNS1_17partition_subalgoE5ElNS0_10empty_typeEbEEZZNS1_14partition_implILS5_5ELb0ES3_mN6hipcub16HIPCUB_304000_NS21CountingInputIteratorIllEEPS6_NSA_22TransformInputIteratorIb7NonZeroIdEPdlEENS0_5tupleIJPlS6_EEENSJ_IJSD_SD_EEES6_SK_JS6_EEE10hipError_tPvRmT3_T4_T5_T6_T7_T9_mT8_P12ihipStream_tbDpT10_ENKUlT_T0_E_clISt17integral_constantIbLb1EES16_EEDaS11_S12_EUlS11_E_NS1_11comp_targetILNS1_3genE2ELNS1_11target_archE906ELNS1_3gpuE6ELNS1_3repE0EEENS1_30default_config_static_selectorELNS0_4arch9wavefront6targetE1EEEvT1_
; %bb.0:
	s_endpgm
	.section	.rodata,"a",@progbits
	.p2align	6, 0x0
	.amdhsa_kernel _ZN7rocprim17ROCPRIM_400000_NS6detail17trampoline_kernelINS0_14default_configENS1_25partition_config_selectorILNS1_17partition_subalgoE5ElNS0_10empty_typeEbEEZZNS1_14partition_implILS5_5ELb0ES3_mN6hipcub16HIPCUB_304000_NS21CountingInputIteratorIllEEPS6_NSA_22TransformInputIteratorIb7NonZeroIdEPdlEENS0_5tupleIJPlS6_EEENSJ_IJSD_SD_EEES6_SK_JS6_EEE10hipError_tPvRmT3_T4_T5_T6_T7_T9_mT8_P12ihipStream_tbDpT10_ENKUlT_T0_E_clISt17integral_constantIbLb1EES16_EEDaS11_S12_EUlS11_E_NS1_11comp_targetILNS1_3genE2ELNS1_11target_archE906ELNS1_3gpuE6ELNS1_3repE0EEENS1_30default_config_static_selectorELNS0_4arch9wavefront6targetE1EEEvT1_
		.amdhsa_group_segment_fixed_size 0
		.amdhsa_private_segment_fixed_size 0
		.amdhsa_kernarg_size 136
		.amdhsa_user_sgpr_count 6
		.amdhsa_user_sgpr_private_segment_buffer 1
		.amdhsa_user_sgpr_dispatch_ptr 0
		.amdhsa_user_sgpr_queue_ptr 0
		.amdhsa_user_sgpr_kernarg_segment_ptr 1
		.amdhsa_user_sgpr_dispatch_id 0
		.amdhsa_user_sgpr_flat_scratch_init 0
		.amdhsa_user_sgpr_private_segment_size 0
		.amdhsa_uses_dynamic_stack 0
		.amdhsa_system_sgpr_private_segment_wavefront_offset 0
		.amdhsa_system_sgpr_workgroup_id_x 1
		.amdhsa_system_sgpr_workgroup_id_y 0
		.amdhsa_system_sgpr_workgroup_id_z 0
		.amdhsa_system_sgpr_workgroup_info 0
		.amdhsa_system_vgpr_workitem_id 0
		.amdhsa_next_free_vgpr 1
		.amdhsa_next_free_sgpr 0
		.amdhsa_reserve_vcc 0
		.amdhsa_reserve_flat_scratch 0
		.amdhsa_float_round_mode_32 0
		.amdhsa_float_round_mode_16_64 0
		.amdhsa_float_denorm_mode_32 3
		.amdhsa_float_denorm_mode_16_64 3
		.amdhsa_dx10_clamp 1
		.amdhsa_ieee_mode 1
		.amdhsa_fp16_overflow 0
		.amdhsa_exception_fp_ieee_invalid_op 0
		.amdhsa_exception_fp_denorm_src 0
		.amdhsa_exception_fp_ieee_div_zero 0
		.amdhsa_exception_fp_ieee_overflow 0
		.amdhsa_exception_fp_ieee_underflow 0
		.amdhsa_exception_fp_ieee_inexact 0
		.amdhsa_exception_int_div_zero 0
	.end_amdhsa_kernel
	.section	.text._ZN7rocprim17ROCPRIM_400000_NS6detail17trampoline_kernelINS0_14default_configENS1_25partition_config_selectorILNS1_17partition_subalgoE5ElNS0_10empty_typeEbEEZZNS1_14partition_implILS5_5ELb0ES3_mN6hipcub16HIPCUB_304000_NS21CountingInputIteratorIllEEPS6_NSA_22TransformInputIteratorIb7NonZeroIdEPdlEENS0_5tupleIJPlS6_EEENSJ_IJSD_SD_EEES6_SK_JS6_EEE10hipError_tPvRmT3_T4_T5_T6_T7_T9_mT8_P12ihipStream_tbDpT10_ENKUlT_T0_E_clISt17integral_constantIbLb1EES16_EEDaS11_S12_EUlS11_E_NS1_11comp_targetILNS1_3genE2ELNS1_11target_archE906ELNS1_3gpuE6ELNS1_3repE0EEENS1_30default_config_static_selectorELNS0_4arch9wavefront6targetE1EEEvT1_,"axG",@progbits,_ZN7rocprim17ROCPRIM_400000_NS6detail17trampoline_kernelINS0_14default_configENS1_25partition_config_selectorILNS1_17partition_subalgoE5ElNS0_10empty_typeEbEEZZNS1_14partition_implILS5_5ELb0ES3_mN6hipcub16HIPCUB_304000_NS21CountingInputIteratorIllEEPS6_NSA_22TransformInputIteratorIb7NonZeroIdEPdlEENS0_5tupleIJPlS6_EEENSJ_IJSD_SD_EEES6_SK_JS6_EEE10hipError_tPvRmT3_T4_T5_T6_T7_T9_mT8_P12ihipStream_tbDpT10_ENKUlT_T0_E_clISt17integral_constantIbLb1EES16_EEDaS11_S12_EUlS11_E_NS1_11comp_targetILNS1_3genE2ELNS1_11target_archE906ELNS1_3gpuE6ELNS1_3repE0EEENS1_30default_config_static_selectorELNS0_4arch9wavefront6targetE1EEEvT1_,comdat
.Lfunc_end333:
	.size	_ZN7rocprim17ROCPRIM_400000_NS6detail17trampoline_kernelINS0_14default_configENS1_25partition_config_selectorILNS1_17partition_subalgoE5ElNS0_10empty_typeEbEEZZNS1_14partition_implILS5_5ELb0ES3_mN6hipcub16HIPCUB_304000_NS21CountingInputIteratorIllEEPS6_NSA_22TransformInputIteratorIb7NonZeroIdEPdlEENS0_5tupleIJPlS6_EEENSJ_IJSD_SD_EEES6_SK_JS6_EEE10hipError_tPvRmT3_T4_T5_T6_T7_T9_mT8_P12ihipStream_tbDpT10_ENKUlT_T0_E_clISt17integral_constantIbLb1EES16_EEDaS11_S12_EUlS11_E_NS1_11comp_targetILNS1_3genE2ELNS1_11target_archE906ELNS1_3gpuE6ELNS1_3repE0EEENS1_30default_config_static_selectorELNS0_4arch9wavefront6targetE1EEEvT1_, .Lfunc_end333-_ZN7rocprim17ROCPRIM_400000_NS6detail17trampoline_kernelINS0_14default_configENS1_25partition_config_selectorILNS1_17partition_subalgoE5ElNS0_10empty_typeEbEEZZNS1_14partition_implILS5_5ELb0ES3_mN6hipcub16HIPCUB_304000_NS21CountingInputIteratorIllEEPS6_NSA_22TransformInputIteratorIb7NonZeroIdEPdlEENS0_5tupleIJPlS6_EEENSJ_IJSD_SD_EEES6_SK_JS6_EEE10hipError_tPvRmT3_T4_T5_T6_T7_T9_mT8_P12ihipStream_tbDpT10_ENKUlT_T0_E_clISt17integral_constantIbLb1EES16_EEDaS11_S12_EUlS11_E_NS1_11comp_targetILNS1_3genE2ELNS1_11target_archE906ELNS1_3gpuE6ELNS1_3repE0EEENS1_30default_config_static_selectorELNS0_4arch9wavefront6targetE1EEEvT1_
                                        ; -- End function
	.set _ZN7rocprim17ROCPRIM_400000_NS6detail17trampoline_kernelINS0_14default_configENS1_25partition_config_selectorILNS1_17partition_subalgoE5ElNS0_10empty_typeEbEEZZNS1_14partition_implILS5_5ELb0ES3_mN6hipcub16HIPCUB_304000_NS21CountingInputIteratorIllEEPS6_NSA_22TransformInputIteratorIb7NonZeroIdEPdlEENS0_5tupleIJPlS6_EEENSJ_IJSD_SD_EEES6_SK_JS6_EEE10hipError_tPvRmT3_T4_T5_T6_T7_T9_mT8_P12ihipStream_tbDpT10_ENKUlT_T0_E_clISt17integral_constantIbLb1EES16_EEDaS11_S12_EUlS11_E_NS1_11comp_targetILNS1_3genE2ELNS1_11target_archE906ELNS1_3gpuE6ELNS1_3repE0EEENS1_30default_config_static_selectorELNS0_4arch9wavefront6targetE1EEEvT1_.num_vgpr, 0
	.set _ZN7rocprim17ROCPRIM_400000_NS6detail17trampoline_kernelINS0_14default_configENS1_25partition_config_selectorILNS1_17partition_subalgoE5ElNS0_10empty_typeEbEEZZNS1_14partition_implILS5_5ELb0ES3_mN6hipcub16HIPCUB_304000_NS21CountingInputIteratorIllEEPS6_NSA_22TransformInputIteratorIb7NonZeroIdEPdlEENS0_5tupleIJPlS6_EEENSJ_IJSD_SD_EEES6_SK_JS6_EEE10hipError_tPvRmT3_T4_T5_T6_T7_T9_mT8_P12ihipStream_tbDpT10_ENKUlT_T0_E_clISt17integral_constantIbLb1EES16_EEDaS11_S12_EUlS11_E_NS1_11comp_targetILNS1_3genE2ELNS1_11target_archE906ELNS1_3gpuE6ELNS1_3repE0EEENS1_30default_config_static_selectorELNS0_4arch9wavefront6targetE1EEEvT1_.num_agpr, 0
	.set _ZN7rocprim17ROCPRIM_400000_NS6detail17trampoline_kernelINS0_14default_configENS1_25partition_config_selectorILNS1_17partition_subalgoE5ElNS0_10empty_typeEbEEZZNS1_14partition_implILS5_5ELb0ES3_mN6hipcub16HIPCUB_304000_NS21CountingInputIteratorIllEEPS6_NSA_22TransformInputIteratorIb7NonZeroIdEPdlEENS0_5tupleIJPlS6_EEENSJ_IJSD_SD_EEES6_SK_JS6_EEE10hipError_tPvRmT3_T4_T5_T6_T7_T9_mT8_P12ihipStream_tbDpT10_ENKUlT_T0_E_clISt17integral_constantIbLb1EES16_EEDaS11_S12_EUlS11_E_NS1_11comp_targetILNS1_3genE2ELNS1_11target_archE906ELNS1_3gpuE6ELNS1_3repE0EEENS1_30default_config_static_selectorELNS0_4arch9wavefront6targetE1EEEvT1_.numbered_sgpr, 0
	.set _ZN7rocprim17ROCPRIM_400000_NS6detail17trampoline_kernelINS0_14default_configENS1_25partition_config_selectorILNS1_17partition_subalgoE5ElNS0_10empty_typeEbEEZZNS1_14partition_implILS5_5ELb0ES3_mN6hipcub16HIPCUB_304000_NS21CountingInputIteratorIllEEPS6_NSA_22TransformInputIteratorIb7NonZeroIdEPdlEENS0_5tupleIJPlS6_EEENSJ_IJSD_SD_EEES6_SK_JS6_EEE10hipError_tPvRmT3_T4_T5_T6_T7_T9_mT8_P12ihipStream_tbDpT10_ENKUlT_T0_E_clISt17integral_constantIbLb1EES16_EEDaS11_S12_EUlS11_E_NS1_11comp_targetILNS1_3genE2ELNS1_11target_archE906ELNS1_3gpuE6ELNS1_3repE0EEENS1_30default_config_static_selectorELNS0_4arch9wavefront6targetE1EEEvT1_.num_named_barrier, 0
	.set _ZN7rocprim17ROCPRIM_400000_NS6detail17trampoline_kernelINS0_14default_configENS1_25partition_config_selectorILNS1_17partition_subalgoE5ElNS0_10empty_typeEbEEZZNS1_14partition_implILS5_5ELb0ES3_mN6hipcub16HIPCUB_304000_NS21CountingInputIteratorIllEEPS6_NSA_22TransformInputIteratorIb7NonZeroIdEPdlEENS0_5tupleIJPlS6_EEENSJ_IJSD_SD_EEES6_SK_JS6_EEE10hipError_tPvRmT3_T4_T5_T6_T7_T9_mT8_P12ihipStream_tbDpT10_ENKUlT_T0_E_clISt17integral_constantIbLb1EES16_EEDaS11_S12_EUlS11_E_NS1_11comp_targetILNS1_3genE2ELNS1_11target_archE906ELNS1_3gpuE6ELNS1_3repE0EEENS1_30default_config_static_selectorELNS0_4arch9wavefront6targetE1EEEvT1_.private_seg_size, 0
	.set _ZN7rocprim17ROCPRIM_400000_NS6detail17trampoline_kernelINS0_14default_configENS1_25partition_config_selectorILNS1_17partition_subalgoE5ElNS0_10empty_typeEbEEZZNS1_14partition_implILS5_5ELb0ES3_mN6hipcub16HIPCUB_304000_NS21CountingInputIteratorIllEEPS6_NSA_22TransformInputIteratorIb7NonZeroIdEPdlEENS0_5tupleIJPlS6_EEENSJ_IJSD_SD_EEES6_SK_JS6_EEE10hipError_tPvRmT3_T4_T5_T6_T7_T9_mT8_P12ihipStream_tbDpT10_ENKUlT_T0_E_clISt17integral_constantIbLb1EES16_EEDaS11_S12_EUlS11_E_NS1_11comp_targetILNS1_3genE2ELNS1_11target_archE906ELNS1_3gpuE6ELNS1_3repE0EEENS1_30default_config_static_selectorELNS0_4arch9wavefront6targetE1EEEvT1_.uses_vcc, 0
	.set _ZN7rocprim17ROCPRIM_400000_NS6detail17trampoline_kernelINS0_14default_configENS1_25partition_config_selectorILNS1_17partition_subalgoE5ElNS0_10empty_typeEbEEZZNS1_14partition_implILS5_5ELb0ES3_mN6hipcub16HIPCUB_304000_NS21CountingInputIteratorIllEEPS6_NSA_22TransformInputIteratorIb7NonZeroIdEPdlEENS0_5tupleIJPlS6_EEENSJ_IJSD_SD_EEES6_SK_JS6_EEE10hipError_tPvRmT3_T4_T5_T6_T7_T9_mT8_P12ihipStream_tbDpT10_ENKUlT_T0_E_clISt17integral_constantIbLb1EES16_EEDaS11_S12_EUlS11_E_NS1_11comp_targetILNS1_3genE2ELNS1_11target_archE906ELNS1_3gpuE6ELNS1_3repE0EEENS1_30default_config_static_selectorELNS0_4arch9wavefront6targetE1EEEvT1_.uses_flat_scratch, 0
	.set _ZN7rocprim17ROCPRIM_400000_NS6detail17trampoline_kernelINS0_14default_configENS1_25partition_config_selectorILNS1_17partition_subalgoE5ElNS0_10empty_typeEbEEZZNS1_14partition_implILS5_5ELb0ES3_mN6hipcub16HIPCUB_304000_NS21CountingInputIteratorIllEEPS6_NSA_22TransformInputIteratorIb7NonZeroIdEPdlEENS0_5tupleIJPlS6_EEENSJ_IJSD_SD_EEES6_SK_JS6_EEE10hipError_tPvRmT3_T4_T5_T6_T7_T9_mT8_P12ihipStream_tbDpT10_ENKUlT_T0_E_clISt17integral_constantIbLb1EES16_EEDaS11_S12_EUlS11_E_NS1_11comp_targetILNS1_3genE2ELNS1_11target_archE906ELNS1_3gpuE6ELNS1_3repE0EEENS1_30default_config_static_selectorELNS0_4arch9wavefront6targetE1EEEvT1_.has_dyn_sized_stack, 0
	.set _ZN7rocprim17ROCPRIM_400000_NS6detail17trampoline_kernelINS0_14default_configENS1_25partition_config_selectorILNS1_17partition_subalgoE5ElNS0_10empty_typeEbEEZZNS1_14partition_implILS5_5ELb0ES3_mN6hipcub16HIPCUB_304000_NS21CountingInputIteratorIllEEPS6_NSA_22TransformInputIteratorIb7NonZeroIdEPdlEENS0_5tupleIJPlS6_EEENSJ_IJSD_SD_EEES6_SK_JS6_EEE10hipError_tPvRmT3_T4_T5_T6_T7_T9_mT8_P12ihipStream_tbDpT10_ENKUlT_T0_E_clISt17integral_constantIbLb1EES16_EEDaS11_S12_EUlS11_E_NS1_11comp_targetILNS1_3genE2ELNS1_11target_archE906ELNS1_3gpuE6ELNS1_3repE0EEENS1_30default_config_static_selectorELNS0_4arch9wavefront6targetE1EEEvT1_.has_recursion, 0
	.set _ZN7rocprim17ROCPRIM_400000_NS6detail17trampoline_kernelINS0_14default_configENS1_25partition_config_selectorILNS1_17partition_subalgoE5ElNS0_10empty_typeEbEEZZNS1_14partition_implILS5_5ELb0ES3_mN6hipcub16HIPCUB_304000_NS21CountingInputIteratorIllEEPS6_NSA_22TransformInputIteratorIb7NonZeroIdEPdlEENS0_5tupleIJPlS6_EEENSJ_IJSD_SD_EEES6_SK_JS6_EEE10hipError_tPvRmT3_T4_T5_T6_T7_T9_mT8_P12ihipStream_tbDpT10_ENKUlT_T0_E_clISt17integral_constantIbLb1EES16_EEDaS11_S12_EUlS11_E_NS1_11comp_targetILNS1_3genE2ELNS1_11target_archE906ELNS1_3gpuE6ELNS1_3repE0EEENS1_30default_config_static_selectorELNS0_4arch9wavefront6targetE1EEEvT1_.has_indirect_call, 0
	.section	.AMDGPU.csdata,"",@progbits
; Kernel info:
; codeLenInByte = 4
; TotalNumSgprs: 4
; NumVgprs: 0
; ScratchSize: 0
; MemoryBound: 0
; FloatMode: 240
; IeeeMode: 1
; LDSByteSize: 0 bytes/workgroup (compile time only)
; SGPRBlocks: 0
; VGPRBlocks: 0
; NumSGPRsForWavesPerEU: 4
; NumVGPRsForWavesPerEU: 1
; Occupancy: 10
; WaveLimiterHint : 0
; COMPUTE_PGM_RSRC2:SCRATCH_EN: 0
; COMPUTE_PGM_RSRC2:USER_SGPR: 6
; COMPUTE_PGM_RSRC2:TRAP_HANDLER: 0
; COMPUTE_PGM_RSRC2:TGID_X_EN: 1
; COMPUTE_PGM_RSRC2:TGID_Y_EN: 0
; COMPUTE_PGM_RSRC2:TGID_Z_EN: 0
; COMPUTE_PGM_RSRC2:TIDIG_COMP_CNT: 0
	.section	.text._ZN7rocprim17ROCPRIM_400000_NS6detail17trampoline_kernelINS0_14default_configENS1_25partition_config_selectorILNS1_17partition_subalgoE5ElNS0_10empty_typeEbEEZZNS1_14partition_implILS5_5ELb0ES3_mN6hipcub16HIPCUB_304000_NS21CountingInputIteratorIllEEPS6_NSA_22TransformInputIteratorIb7NonZeroIdEPdlEENS0_5tupleIJPlS6_EEENSJ_IJSD_SD_EEES6_SK_JS6_EEE10hipError_tPvRmT3_T4_T5_T6_T7_T9_mT8_P12ihipStream_tbDpT10_ENKUlT_T0_E_clISt17integral_constantIbLb1EES16_EEDaS11_S12_EUlS11_E_NS1_11comp_targetILNS1_3genE10ELNS1_11target_archE1200ELNS1_3gpuE4ELNS1_3repE0EEENS1_30default_config_static_selectorELNS0_4arch9wavefront6targetE1EEEvT1_,"axG",@progbits,_ZN7rocprim17ROCPRIM_400000_NS6detail17trampoline_kernelINS0_14default_configENS1_25partition_config_selectorILNS1_17partition_subalgoE5ElNS0_10empty_typeEbEEZZNS1_14partition_implILS5_5ELb0ES3_mN6hipcub16HIPCUB_304000_NS21CountingInputIteratorIllEEPS6_NSA_22TransformInputIteratorIb7NonZeroIdEPdlEENS0_5tupleIJPlS6_EEENSJ_IJSD_SD_EEES6_SK_JS6_EEE10hipError_tPvRmT3_T4_T5_T6_T7_T9_mT8_P12ihipStream_tbDpT10_ENKUlT_T0_E_clISt17integral_constantIbLb1EES16_EEDaS11_S12_EUlS11_E_NS1_11comp_targetILNS1_3genE10ELNS1_11target_archE1200ELNS1_3gpuE4ELNS1_3repE0EEENS1_30default_config_static_selectorELNS0_4arch9wavefront6targetE1EEEvT1_,comdat
	.protected	_ZN7rocprim17ROCPRIM_400000_NS6detail17trampoline_kernelINS0_14default_configENS1_25partition_config_selectorILNS1_17partition_subalgoE5ElNS0_10empty_typeEbEEZZNS1_14partition_implILS5_5ELb0ES3_mN6hipcub16HIPCUB_304000_NS21CountingInputIteratorIllEEPS6_NSA_22TransformInputIteratorIb7NonZeroIdEPdlEENS0_5tupleIJPlS6_EEENSJ_IJSD_SD_EEES6_SK_JS6_EEE10hipError_tPvRmT3_T4_T5_T6_T7_T9_mT8_P12ihipStream_tbDpT10_ENKUlT_T0_E_clISt17integral_constantIbLb1EES16_EEDaS11_S12_EUlS11_E_NS1_11comp_targetILNS1_3genE10ELNS1_11target_archE1200ELNS1_3gpuE4ELNS1_3repE0EEENS1_30default_config_static_selectorELNS0_4arch9wavefront6targetE1EEEvT1_ ; -- Begin function _ZN7rocprim17ROCPRIM_400000_NS6detail17trampoline_kernelINS0_14default_configENS1_25partition_config_selectorILNS1_17partition_subalgoE5ElNS0_10empty_typeEbEEZZNS1_14partition_implILS5_5ELb0ES3_mN6hipcub16HIPCUB_304000_NS21CountingInputIteratorIllEEPS6_NSA_22TransformInputIteratorIb7NonZeroIdEPdlEENS0_5tupleIJPlS6_EEENSJ_IJSD_SD_EEES6_SK_JS6_EEE10hipError_tPvRmT3_T4_T5_T6_T7_T9_mT8_P12ihipStream_tbDpT10_ENKUlT_T0_E_clISt17integral_constantIbLb1EES16_EEDaS11_S12_EUlS11_E_NS1_11comp_targetILNS1_3genE10ELNS1_11target_archE1200ELNS1_3gpuE4ELNS1_3repE0EEENS1_30default_config_static_selectorELNS0_4arch9wavefront6targetE1EEEvT1_
	.globl	_ZN7rocprim17ROCPRIM_400000_NS6detail17trampoline_kernelINS0_14default_configENS1_25partition_config_selectorILNS1_17partition_subalgoE5ElNS0_10empty_typeEbEEZZNS1_14partition_implILS5_5ELb0ES3_mN6hipcub16HIPCUB_304000_NS21CountingInputIteratorIllEEPS6_NSA_22TransformInputIteratorIb7NonZeroIdEPdlEENS0_5tupleIJPlS6_EEENSJ_IJSD_SD_EEES6_SK_JS6_EEE10hipError_tPvRmT3_T4_T5_T6_T7_T9_mT8_P12ihipStream_tbDpT10_ENKUlT_T0_E_clISt17integral_constantIbLb1EES16_EEDaS11_S12_EUlS11_E_NS1_11comp_targetILNS1_3genE10ELNS1_11target_archE1200ELNS1_3gpuE4ELNS1_3repE0EEENS1_30default_config_static_selectorELNS0_4arch9wavefront6targetE1EEEvT1_
	.p2align	8
	.type	_ZN7rocprim17ROCPRIM_400000_NS6detail17trampoline_kernelINS0_14default_configENS1_25partition_config_selectorILNS1_17partition_subalgoE5ElNS0_10empty_typeEbEEZZNS1_14partition_implILS5_5ELb0ES3_mN6hipcub16HIPCUB_304000_NS21CountingInputIteratorIllEEPS6_NSA_22TransformInputIteratorIb7NonZeroIdEPdlEENS0_5tupleIJPlS6_EEENSJ_IJSD_SD_EEES6_SK_JS6_EEE10hipError_tPvRmT3_T4_T5_T6_T7_T9_mT8_P12ihipStream_tbDpT10_ENKUlT_T0_E_clISt17integral_constantIbLb1EES16_EEDaS11_S12_EUlS11_E_NS1_11comp_targetILNS1_3genE10ELNS1_11target_archE1200ELNS1_3gpuE4ELNS1_3repE0EEENS1_30default_config_static_selectorELNS0_4arch9wavefront6targetE1EEEvT1_,@function
_ZN7rocprim17ROCPRIM_400000_NS6detail17trampoline_kernelINS0_14default_configENS1_25partition_config_selectorILNS1_17partition_subalgoE5ElNS0_10empty_typeEbEEZZNS1_14partition_implILS5_5ELb0ES3_mN6hipcub16HIPCUB_304000_NS21CountingInputIteratorIllEEPS6_NSA_22TransformInputIteratorIb7NonZeroIdEPdlEENS0_5tupleIJPlS6_EEENSJ_IJSD_SD_EEES6_SK_JS6_EEE10hipError_tPvRmT3_T4_T5_T6_T7_T9_mT8_P12ihipStream_tbDpT10_ENKUlT_T0_E_clISt17integral_constantIbLb1EES16_EEDaS11_S12_EUlS11_E_NS1_11comp_targetILNS1_3genE10ELNS1_11target_archE1200ELNS1_3gpuE4ELNS1_3repE0EEENS1_30default_config_static_selectorELNS0_4arch9wavefront6targetE1EEEvT1_: ; @_ZN7rocprim17ROCPRIM_400000_NS6detail17trampoline_kernelINS0_14default_configENS1_25partition_config_selectorILNS1_17partition_subalgoE5ElNS0_10empty_typeEbEEZZNS1_14partition_implILS5_5ELb0ES3_mN6hipcub16HIPCUB_304000_NS21CountingInputIteratorIllEEPS6_NSA_22TransformInputIteratorIb7NonZeroIdEPdlEENS0_5tupleIJPlS6_EEENSJ_IJSD_SD_EEES6_SK_JS6_EEE10hipError_tPvRmT3_T4_T5_T6_T7_T9_mT8_P12ihipStream_tbDpT10_ENKUlT_T0_E_clISt17integral_constantIbLb1EES16_EEDaS11_S12_EUlS11_E_NS1_11comp_targetILNS1_3genE10ELNS1_11target_archE1200ELNS1_3gpuE4ELNS1_3repE0EEENS1_30default_config_static_selectorELNS0_4arch9wavefront6targetE1EEEvT1_
; %bb.0:
	.section	.rodata,"a",@progbits
	.p2align	6, 0x0
	.amdhsa_kernel _ZN7rocprim17ROCPRIM_400000_NS6detail17trampoline_kernelINS0_14default_configENS1_25partition_config_selectorILNS1_17partition_subalgoE5ElNS0_10empty_typeEbEEZZNS1_14partition_implILS5_5ELb0ES3_mN6hipcub16HIPCUB_304000_NS21CountingInputIteratorIllEEPS6_NSA_22TransformInputIteratorIb7NonZeroIdEPdlEENS0_5tupleIJPlS6_EEENSJ_IJSD_SD_EEES6_SK_JS6_EEE10hipError_tPvRmT3_T4_T5_T6_T7_T9_mT8_P12ihipStream_tbDpT10_ENKUlT_T0_E_clISt17integral_constantIbLb1EES16_EEDaS11_S12_EUlS11_E_NS1_11comp_targetILNS1_3genE10ELNS1_11target_archE1200ELNS1_3gpuE4ELNS1_3repE0EEENS1_30default_config_static_selectorELNS0_4arch9wavefront6targetE1EEEvT1_
		.amdhsa_group_segment_fixed_size 0
		.amdhsa_private_segment_fixed_size 0
		.amdhsa_kernarg_size 136
		.amdhsa_user_sgpr_count 6
		.amdhsa_user_sgpr_private_segment_buffer 1
		.amdhsa_user_sgpr_dispatch_ptr 0
		.amdhsa_user_sgpr_queue_ptr 0
		.amdhsa_user_sgpr_kernarg_segment_ptr 1
		.amdhsa_user_sgpr_dispatch_id 0
		.amdhsa_user_sgpr_flat_scratch_init 0
		.amdhsa_user_sgpr_private_segment_size 0
		.amdhsa_uses_dynamic_stack 0
		.amdhsa_system_sgpr_private_segment_wavefront_offset 0
		.amdhsa_system_sgpr_workgroup_id_x 1
		.amdhsa_system_sgpr_workgroup_id_y 0
		.amdhsa_system_sgpr_workgroup_id_z 0
		.amdhsa_system_sgpr_workgroup_info 0
		.amdhsa_system_vgpr_workitem_id 0
		.amdhsa_next_free_vgpr 1
		.amdhsa_next_free_sgpr 0
		.amdhsa_reserve_vcc 0
		.amdhsa_reserve_flat_scratch 0
		.amdhsa_float_round_mode_32 0
		.amdhsa_float_round_mode_16_64 0
		.amdhsa_float_denorm_mode_32 3
		.amdhsa_float_denorm_mode_16_64 3
		.amdhsa_dx10_clamp 1
		.amdhsa_ieee_mode 1
		.amdhsa_fp16_overflow 0
		.amdhsa_exception_fp_ieee_invalid_op 0
		.amdhsa_exception_fp_denorm_src 0
		.amdhsa_exception_fp_ieee_div_zero 0
		.amdhsa_exception_fp_ieee_overflow 0
		.amdhsa_exception_fp_ieee_underflow 0
		.amdhsa_exception_fp_ieee_inexact 0
		.amdhsa_exception_int_div_zero 0
	.end_amdhsa_kernel
	.section	.text._ZN7rocprim17ROCPRIM_400000_NS6detail17trampoline_kernelINS0_14default_configENS1_25partition_config_selectorILNS1_17partition_subalgoE5ElNS0_10empty_typeEbEEZZNS1_14partition_implILS5_5ELb0ES3_mN6hipcub16HIPCUB_304000_NS21CountingInputIteratorIllEEPS6_NSA_22TransformInputIteratorIb7NonZeroIdEPdlEENS0_5tupleIJPlS6_EEENSJ_IJSD_SD_EEES6_SK_JS6_EEE10hipError_tPvRmT3_T4_T5_T6_T7_T9_mT8_P12ihipStream_tbDpT10_ENKUlT_T0_E_clISt17integral_constantIbLb1EES16_EEDaS11_S12_EUlS11_E_NS1_11comp_targetILNS1_3genE10ELNS1_11target_archE1200ELNS1_3gpuE4ELNS1_3repE0EEENS1_30default_config_static_selectorELNS0_4arch9wavefront6targetE1EEEvT1_,"axG",@progbits,_ZN7rocprim17ROCPRIM_400000_NS6detail17trampoline_kernelINS0_14default_configENS1_25partition_config_selectorILNS1_17partition_subalgoE5ElNS0_10empty_typeEbEEZZNS1_14partition_implILS5_5ELb0ES3_mN6hipcub16HIPCUB_304000_NS21CountingInputIteratorIllEEPS6_NSA_22TransformInputIteratorIb7NonZeroIdEPdlEENS0_5tupleIJPlS6_EEENSJ_IJSD_SD_EEES6_SK_JS6_EEE10hipError_tPvRmT3_T4_T5_T6_T7_T9_mT8_P12ihipStream_tbDpT10_ENKUlT_T0_E_clISt17integral_constantIbLb1EES16_EEDaS11_S12_EUlS11_E_NS1_11comp_targetILNS1_3genE10ELNS1_11target_archE1200ELNS1_3gpuE4ELNS1_3repE0EEENS1_30default_config_static_selectorELNS0_4arch9wavefront6targetE1EEEvT1_,comdat
.Lfunc_end334:
	.size	_ZN7rocprim17ROCPRIM_400000_NS6detail17trampoline_kernelINS0_14default_configENS1_25partition_config_selectorILNS1_17partition_subalgoE5ElNS0_10empty_typeEbEEZZNS1_14partition_implILS5_5ELb0ES3_mN6hipcub16HIPCUB_304000_NS21CountingInputIteratorIllEEPS6_NSA_22TransformInputIteratorIb7NonZeroIdEPdlEENS0_5tupleIJPlS6_EEENSJ_IJSD_SD_EEES6_SK_JS6_EEE10hipError_tPvRmT3_T4_T5_T6_T7_T9_mT8_P12ihipStream_tbDpT10_ENKUlT_T0_E_clISt17integral_constantIbLb1EES16_EEDaS11_S12_EUlS11_E_NS1_11comp_targetILNS1_3genE10ELNS1_11target_archE1200ELNS1_3gpuE4ELNS1_3repE0EEENS1_30default_config_static_selectorELNS0_4arch9wavefront6targetE1EEEvT1_, .Lfunc_end334-_ZN7rocprim17ROCPRIM_400000_NS6detail17trampoline_kernelINS0_14default_configENS1_25partition_config_selectorILNS1_17partition_subalgoE5ElNS0_10empty_typeEbEEZZNS1_14partition_implILS5_5ELb0ES3_mN6hipcub16HIPCUB_304000_NS21CountingInputIteratorIllEEPS6_NSA_22TransformInputIteratorIb7NonZeroIdEPdlEENS0_5tupleIJPlS6_EEENSJ_IJSD_SD_EEES6_SK_JS6_EEE10hipError_tPvRmT3_T4_T5_T6_T7_T9_mT8_P12ihipStream_tbDpT10_ENKUlT_T0_E_clISt17integral_constantIbLb1EES16_EEDaS11_S12_EUlS11_E_NS1_11comp_targetILNS1_3genE10ELNS1_11target_archE1200ELNS1_3gpuE4ELNS1_3repE0EEENS1_30default_config_static_selectorELNS0_4arch9wavefront6targetE1EEEvT1_
                                        ; -- End function
	.set _ZN7rocprim17ROCPRIM_400000_NS6detail17trampoline_kernelINS0_14default_configENS1_25partition_config_selectorILNS1_17partition_subalgoE5ElNS0_10empty_typeEbEEZZNS1_14partition_implILS5_5ELb0ES3_mN6hipcub16HIPCUB_304000_NS21CountingInputIteratorIllEEPS6_NSA_22TransformInputIteratorIb7NonZeroIdEPdlEENS0_5tupleIJPlS6_EEENSJ_IJSD_SD_EEES6_SK_JS6_EEE10hipError_tPvRmT3_T4_T5_T6_T7_T9_mT8_P12ihipStream_tbDpT10_ENKUlT_T0_E_clISt17integral_constantIbLb1EES16_EEDaS11_S12_EUlS11_E_NS1_11comp_targetILNS1_3genE10ELNS1_11target_archE1200ELNS1_3gpuE4ELNS1_3repE0EEENS1_30default_config_static_selectorELNS0_4arch9wavefront6targetE1EEEvT1_.num_vgpr, 0
	.set _ZN7rocprim17ROCPRIM_400000_NS6detail17trampoline_kernelINS0_14default_configENS1_25partition_config_selectorILNS1_17partition_subalgoE5ElNS0_10empty_typeEbEEZZNS1_14partition_implILS5_5ELb0ES3_mN6hipcub16HIPCUB_304000_NS21CountingInputIteratorIllEEPS6_NSA_22TransformInputIteratorIb7NonZeroIdEPdlEENS0_5tupleIJPlS6_EEENSJ_IJSD_SD_EEES6_SK_JS6_EEE10hipError_tPvRmT3_T4_T5_T6_T7_T9_mT8_P12ihipStream_tbDpT10_ENKUlT_T0_E_clISt17integral_constantIbLb1EES16_EEDaS11_S12_EUlS11_E_NS1_11comp_targetILNS1_3genE10ELNS1_11target_archE1200ELNS1_3gpuE4ELNS1_3repE0EEENS1_30default_config_static_selectorELNS0_4arch9wavefront6targetE1EEEvT1_.num_agpr, 0
	.set _ZN7rocprim17ROCPRIM_400000_NS6detail17trampoline_kernelINS0_14default_configENS1_25partition_config_selectorILNS1_17partition_subalgoE5ElNS0_10empty_typeEbEEZZNS1_14partition_implILS5_5ELb0ES3_mN6hipcub16HIPCUB_304000_NS21CountingInputIteratorIllEEPS6_NSA_22TransformInputIteratorIb7NonZeroIdEPdlEENS0_5tupleIJPlS6_EEENSJ_IJSD_SD_EEES6_SK_JS6_EEE10hipError_tPvRmT3_T4_T5_T6_T7_T9_mT8_P12ihipStream_tbDpT10_ENKUlT_T0_E_clISt17integral_constantIbLb1EES16_EEDaS11_S12_EUlS11_E_NS1_11comp_targetILNS1_3genE10ELNS1_11target_archE1200ELNS1_3gpuE4ELNS1_3repE0EEENS1_30default_config_static_selectorELNS0_4arch9wavefront6targetE1EEEvT1_.numbered_sgpr, 0
	.set _ZN7rocprim17ROCPRIM_400000_NS6detail17trampoline_kernelINS0_14default_configENS1_25partition_config_selectorILNS1_17partition_subalgoE5ElNS0_10empty_typeEbEEZZNS1_14partition_implILS5_5ELb0ES3_mN6hipcub16HIPCUB_304000_NS21CountingInputIteratorIllEEPS6_NSA_22TransformInputIteratorIb7NonZeroIdEPdlEENS0_5tupleIJPlS6_EEENSJ_IJSD_SD_EEES6_SK_JS6_EEE10hipError_tPvRmT3_T4_T5_T6_T7_T9_mT8_P12ihipStream_tbDpT10_ENKUlT_T0_E_clISt17integral_constantIbLb1EES16_EEDaS11_S12_EUlS11_E_NS1_11comp_targetILNS1_3genE10ELNS1_11target_archE1200ELNS1_3gpuE4ELNS1_3repE0EEENS1_30default_config_static_selectorELNS0_4arch9wavefront6targetE1EEEvT1_.num_named_barrier, 0
	.set _ZN7rocprim17ROCPRIM_400000_NS6detail17trampoline_kernelINS0_14default_configENS1_25partition_config_selectorILNS1_17partition_subalgoE5ElNS0_10empty_typeEbEEZZNS1_14partition_implILS5_5ELb0ES3_mN6hipcub16HIPCUB_304000_NS21CountingInputIteratorIllEEPS6_NSA_22TransformInputIteratorIb7NonZeroIdEPdlEENS0_5tupleIJPlS6_EEENSJ_IJSD_SD_EEES6_SK_JS6_EEE10hipError_tPvRmT3_T4_T5_T6_T7_T9_mT8_P12ihipStream_tbDpT10_ENKUlT_T0_E_clISt17integral_constantIbLb1EES16_EEDaS11_S12_EUlS11_E_NS1_11comp_targetILNS1_3genE10ELNS1_11target_archE1200ELNS1_3gpuE4ELNS1_3repE0EEENS1_30default_config_static_selectorELNS0_4arch9wavefront6targetE1EEEvT1_.private_seg_size, 0
	.set _ZN7rocprim17ROCPRIM_400000_NS6detail17trampoline_kernelINS0_14default_configENS1_25partition_config_selectorILNS1_17partition_subalgoE5ElNS0_10empty_typeEbEEZZNS1_14partition_implILS5_5ELb0ES3_mN6hipcub16HIPCUB_304000_NS21CountingInputIteratorIllEEPS6_NSA_22TransformInputIteratorIb7NonZeroIdEPdlEENS0_5tupleIJPlS6_EEENSJ_IJSD_SD_EEES6_SK_JS6_EEE10hipError_tPvRmT3_T4_T5_T6_T7_T9_mT8_P12ihipStream_tbDpT10_ENKUlT_T0_E_clISt17integral_constantIbLb1EES16_EEDaS11_S12_EUlS11_E_NS1_11comp_targetILNS1_3genE10ELNS1_11target_archE1200ELNS1_3gpuE4ELNS1_3repE0EEENS1_30default_config_static_selectorELNS0_4arch9wavefront6targetE1EEEvT1_.uses_vcc, 0
	.set _ZN7rocprim17ROCPRIM_400000_NS6detail17trampoline_kernelINS0_14default_configENS1_25partition_config_selectorILNS1_17partition_subalgoE5ElNS0_10empty_typeEbEEZZNS1_14partition_implILS5_5ELb0ES3_mN6hipcub16HIPCUB_304000_NS21CountingInputIteratorIllEEPS6_NSA_22TransformInputIteratorIb7NonZeroIdEPdlEENS0_5tupleIJPlS6_EEENSJ_IJSD_SD_EEES6_SK_JS6_EEE10hipError_tPvRmT3_T4_T5_T6_T7_T9_mT8_P12ihipStream_tbDpT10_ENKUlT_T0_E_clISt17integral_constantIbLb1EES16_EEDaS11_S12_EUlS11_E_NS1_11comp_targetILNS1_3genE10ELNS1_11target_archE1200ELNS1_3gpuE4ELNS1_3repE0EEENS1_30default_config_static_selectorELNS0_4arch9wavefront6targetE1EEEvT1_.uses_flat_scratch, 0
	.set _ZN7rocprim17ROCPRIM_400000_NS6detail17trampoline_kernelINS0_14default_configENS1_25partition_config_selectorILNS1_17partition_subalgoE5ElNS0_10empty_typeEbEEZZNS1_14partition_implILS5_5ELb0ES3_mN6hipcub16HIPCUB_304000_NS21CountingInputIteratorIllEEPS6_NSA_22TransformInputIteratorIb7NonZeroIdEPdlEENS0_5tupleIJPlS6_EEENSJ_IJSD_SD_EEES6_SK_JS6_EEE10hipError_tPvRmT3_T4_T5_T6_T7_T9_mT8_P12ihipStream_tbDpT10_ENKUlT_T0_E_clISt17integral_constantIbLb1EES16_EEDaS11_S12_EUlS11_E_NS1_11comp_targetILNS1_3genE10ELNS1_11target_archE1200ELNS1_3gpuE4ELNS1_3repE0EEENS1_30default_config_static_selectorELNS0_4arch9wavefront6targetE1EEEvT1_.has_dyn_sized_stack, 0
	.set _ZN7rocprim17ROCPRIM_400000_NS6detail17trampoline_kernelINS0_14default_configENS1_25partition_config_selectorILNS1_17partition_subalgoE5ElNS0_10empty_typeEbEEZZNS1_14partition_implILS5_5ELb0ES3_mN6hipcub16HIPCUB_304000_NS21CountingInputIteratorIllEEPS6_NSA_22TransformInputIteratorIb7NonZeroIdEPdlEENS0_5tupleIJPlS6_EEENSJ_IJSD_SD_EEES6_SK_JS6_EEE10hipError_tPvRmT3_T4_T5_T6_T7_T9_mT8_P12ihipStream_tbDpT10_ENKUlT_T0_E_clISt17integral_constantIbLb1EES16_EEDaS11_S12_EUlS11_E_NS1_11comp_targetILNS1_3genE10ELNS1_11target_archE1200ELNS1_3gpuE4ELNS1_3repE0EEENS1_30default_config_static_selectorELNS0_4arch9wavefront6targetE1EEEvT1_.has_recursion, 0
	.set _ZN7rocprim17ROCPRIM_400000_NS6detail17trampoline_kernelINS0_14default_configENS1_25partition_config_selectorILNS1_17partition_subalgoE5ElNS0_10empty_typeEbEEZZNS1_14partition_implILS5_5ELb0ES3_mN6hipcub16HIPCUB_304000_NS21CountingInputIteratorIllEEPS6_NSA_22TransformInputIteratorIb7NonZeroIdEPdlEENS0_5tupleIJPlS6_EEENSJ_IJSD_SD_EEES6_SK_JS6_EEE10hipError_tPvRmT3_T4_T5_T6_T7_T9_mT8_P12ihipStream_tbDpT10_ENKUlT_T0_E_clISt17integral_constantIbLb1EES16_EEDaS11_S12_EUlS11_E_NS1_11comp_targetILNS1_3genE10ELNS1_11target_archE1200ELNS1_3gpuE4ELNS1_3repE0EEENS1_30default_config_static_selectorELNS0_4arch9wavefront6targetE1EEEvT1_.has_indirect_call, 0
	.section	.AMDGPU.csdata,"",@progbits
; Kernel info:
; codeLenInByte = 0
; TotalNumSgprs: 4
; NumVgprs: 0
; ScratchSize: 0
; MemoryBound: 0
; FloatMode: 240
; IeeeMode: 1
; LDSByteSize: 0 bytes/workgroup (compile time only)
; SGPRBlocks: 0
; VGPRBlocks: 0
; NumSGPRsForWavesPerEU: 4
; NumVGPRsForWavesPerEU: 1
; Occupancy: 10
; WaveLimiterHint : 0
; COMPUTE_PGM_RSRC2:SCRATCH_EN: 0
; COMPUTE_PGM_RSRC2:USER_SGPR: 6
; COMPUTE_PGM_RSRC2:TRAP_HANDLER: 0
; COMPUTE_PGM_RSRC2:TGID_X_EN: 1
; COMPUTE_PGM_RSRC2:TGID_Y_EN: 0
; COMPUTE_PGM_RSRC2:TGID_Z_EN: 0
; COMPUTE_PGM_RSRC2:TIDIG_COMP_CNT: 0
	.section	.text._ZN7rocprim17ROCPRIM_400000_NS6detail17trampoline_kernelINS0_14default_configENS1_25partition_config_selectorILNS1_17partition_subalgoE5ElNS0_10empty_typeEbEEZZNS1_14partition_implILS5_5ELb0ES3_mN6hipcub16HIPCUB_304000_NS21CountingInputIteratorIllEEPS6_NSA_22TransformInputIteratorIb7NonZeroIdEPdlEENS0_5tupleIJPlS6_EEENSJ_IJSD_SD_EEES6_SK_JS6_EEE10hipError_tPvRmT3_T4_T5_T6_T7_T9_mT8_P12ihipStream_tbDpT10_ENKUlT_T0_E_clISt17integral_constantIbLb1EES16_EEDaS11_S12_EUlS11_E_NS1_11comp_targetILNS1_3genE9ELNS1_11target_archE1100ELNS1_3gpuE3ELNS1_3repE0EEENS1_30default_config_static_selectorELNS0_4arch9wavefront6targetE1EEEvT1_,"axG",@progbits,_ZN7rocprim17ROCPRIM_400000_NS6detail17trampoline_kernelINS0_14default_configENS1_25partition_config_selectorILNS1_17partition_subalgoE5ElNS0_10empty_typeEbEEZZNS1_14partition_implILS5_5ELb0ES3_mN6hipcub16HIPCUB_304000_NS21CountingInputIteratorIllEEPS6_NSA_22TransformInputIteratorIb7NonZeroIdEPdlEENS0_5tupleIJPlS6_EEENSJ_IJSD_SD_EEES6_SK_JS6_EEE10hipError_tPvRmT3_T4_T5_T6_T7_T9_mT8_P12ihipStream_tbDpT10_ENKUlT_T0_E_clISt17integral_constantIbLb1EES16_EEDaS11_S12_EUlS11_E_NS1_11comp_targetILNS1_3genE9ELNS1_11target_archE1100ELNS1_3gpuE3ELNS1_3repE0EEENS1_30default_config_static_selectorELNS0_4arch9wavefront6targetE1EEEvT1_,comdat
	.protected	_ZN7rocprim17ROCPRIM_400000_NS6detail17trampoline_kernelINS0_14default_configENS1_25partition_config_selectorILNS1_17partition_subalgoE5ElNS0_10empty_typeEbEEZZNS1_14partition_implILS5_5ELb0ES3_mN6hipcub16HIPCUB_304000_NS21CountingInputIteratorIllEEPS6_NSA_22TransformInputIteratorIb7NonZeroIdEPdlEENS0_5tupleIJPlS6_EEENSJ_IJSD_SD_EEES6_SK_JS6_EEE10hipError_tPvRmT3_T4_T5_T6_T7_T9_mT8_P12ihipStream_tbDpT10_ENKUlT_T0_E_clISt17integral_constantIbLb1EES16_EEDaS11_S12_EUlS11_E_NS1_11comp_targetILNS1_3genE9ELNS1_11target_archE1100ELNS1_3gpuE3ELNS1_3repE0EEENS1_30default_config_static_selectorELNS0_4arch9wavefront6targetE1EEEvT1_ ; -- Begin function _ZN7rocprim17ROCPRIM_400000_NS6detail17trampoline_kernelINS0_14default_configENS1_25partition_config_selectorILNS1_17partition_subalgoE5ElNS0_10empty_typeEbEEZZNS1_14partition_implILS5_5ELb0ES3_mN6hipcub16HIPCUB_304000_NS21CountingInputIteratorIllEEPS6_NSA_22TransformInputIteratorIb7NonZeroIdEPdlEENS0_5tupleIJPlS6_EEENSJ_IJSD_SD_EEES6_SK_JS6_EEE10hipError_tPvRmT3_T4_T5_T6_T7_T9_mT8_P12ihipStream_tbDpT10_ENKUlT_T0_E_clISt17integral_constantIbLb1EES16_EEDaS11_S12_EUlS11_E_NS1_11comp_targetILNS1_3genE9ELNS1_11target_archE1100ELNS1_3gpuE3ELNS1_3repE0EEENS1_30default_config_static_selectorELNS0_4arch9wavefront6targetE1EEEvT1_
	.globl	_ZN7rocprim17ROCPRIM_400000_NS6detail17trampoline_kernelINS0_14default_configENS1_25partition_config_selectorILNS1_17partition_subalgoE5ElNS0_10empty_typeEbEEZZNS1_14partition_implILS5_5ELb0ES3_mN6hipcub16HIPCUB_304000_NS21CountingInputIteratorIllEEPS6_NSA_22TransformInputIteratorIb7NonZeroIdEPdlEENS0_5tupleIJPlS6_EEENSJ_IJSD_SD_EEES6_SK_JS6_EEE10hipError_tPvRmT3_T4_T5_T6_T7_T9_mT8_P12ihipStream_tbDpT10_ENKUlT_T0_E_clISt17integral_constantIbLb1EES16_EEDaS11_S12_EUlS11_E_NS1_11comp_targetILNS1_3genE9ELNS1_11target_archE1100ELNS1_3gpuE3ELNS1_3repE0EEENS1_30default_config_static_selectorELNS0_4arch9wavefront6targetE1EEEvT1_
	.p2align	8
	.type	_ZN7rocprim17ROCPRIM_400000_NS6detail17trampoline_kernelINS0_14default_configENS1_25partition_config_selectorILNS1_17partition_subalgoE5ElNS0_10empty_typeEbEEZZNS1_14partition_implILS5_5ELb0ES3_mN6hipcub16HIPCUB_304000_NS21CountingInputIteratorIllEEPS6_NSA_22TransformInputIteratorIb7NonZeroIdEPdlEENS0_5tupleIJPlS6_EEENSJ_IJSD_SD_EEES6_SK_JS6_EEE10hipError_tPvRmT3_T4_T5_T6_T7_T9_mT8_P12ihipStream_tbDpT10_ENKUlT_T0_E_clISt17integral_constantIbLb1EES16_EEDaS11_S12_EUlS11_E_NS1_11comp_targetILNS1_3genE9ELNS1_11target_archE1100ELNS1_3gpuE3ELNS1_3repE0EEENS1_30default_config_static_selectorELNS0_4arch9wavefront6targetE1EEEvT1_,@function
_ZN7rocprim17ROCPRIM_400000_NS6detail17trampoline_kernelINS0_14default_configENS1_25partition_config_selectorILNS1_17partition_subalgoE5ElNS0_10empty_typeEbEEZZNS1_14partition_implILS5_5ELb0ES3_mN6hipcub16HIPCUB_304000_NS21CountingInputIteratorIllEEPS6_NSA_22TransformInputIteratorIb7NonZeroIdEPdlEENS0_5tupleIJPlS6_EEENSJ_IJSD_SD_EEES6_SK_JS6_EEE10hipError_tPvRmT3_T4_T5_T6_T7_T9_mT8_P12ihipStream_tbDpT10_ENKUlT_T0_E_clISt17integral_constantIbLb1EES16_EEDaS11_S12_EUlS11_E_NS1_11comp_targetILNS1_3genE9ELNS1_11target_archE1100ELNS1_3gpuE3ELNS1_3repE0EEENS1_30default_config_static_selectorELNS0_4arch9wavefront6targetE1EEEvT1_: ; @_ZN7rocprim17ROCPRIM_400000_NS6detail17trampoline_kernelINS0_14default_configENS1_25partition_config_selectorILNS1_17partition_subalgoE5ElNS0_10empty_typeEbEEZZNS1_14partition_implILS5_5ELb0ES3_mN6hipcub16HIPCUB_304000_NS21CountingInputIteratorIllEEPS6_NSA_22TransformInputIteratorIb7NonZeroIdEPdlEENS0_5tupleIJPlS6_EEENSJ_IJSD_SD_EEES6_SK_JS6_EEE10hipError_tPvRmT3_T4_T5_T6_T7_T9_mT8_P12ihipStream_tbDpT10_ENKUlT_T0_E_clISt17integral_constantIbLb1EES16_EEDaS11_S12_EUlS11_E_NS1_11comp_targetILNS1_3genE9ELNS1_11target_archE1100ELNS1_3gpuE3ELNS1_3repE0EEENS1_30default_config_static_selectorELNS0_4arch9wavefront6targetE1EEEvT1_
; %bb.0:
	.section	.rodata,"a",@progbits
	.p2align	6, 0x0
	.amdhsa_kernel _ZN7rocprim17ROCPRIM_400000_NS6detail17trampoline_kernelINS0_14default_configENS1_25partition_config_selectorILNS1_17partition_subalgoE5ElNS0_10empty_typeEbEEZZNS1_14partition_implILS5_5ELb0ES3_mN6hipcub16HIPCUB_304000_NS21CountingInputIteratorIllEEPS6_NSA_22TransformInputIteratorIb7NonZeroIdEPdlEENS0_5tupleIJPlS6_EEENSJ_IJSD_SD_EEES6_SK_JS6_EEE10hipError_tPvRmT3_T4_T5_T6_T7_T9_mT8_P12ihipStream_tbDpT10_ENKUlT_T0_E_clISt17integral_constantIbLb1EES16_EEDaS11_S12_EUlS11_E_NS1_11comp_targetILNS1_3genE9ELNS1_11target_archE1100ELNS1_3gpuE3ELNS1_3repE0EEENS1_30default_config_static_selectorELNS0_4arch9wavefront6targetE1EEEvT1_
		.amdhsa_group_segment_fixed_size 0
		.amdhsa_private_segment_fixed_size 0
		.amdhsa_kernarg_size 136
		.amdhsa_user_sgpr_count 6
		.amdhsa_user_sgpr_private_segment_buffer 1
		.amdhsa_user_sgpr_dispatch_ptr 0
		.amdhsa_user_sgpr_queue_ptr 0
		.amdhsa_user_sgpr_kernarg_segment_ptr 1
		.amdhsa_user_sgpr_dispatch_id 0
		.amdhsa_user_sgpr_flat_scratch_init 0
		.amdhsa_user_sgpr_private_segment_size 0
		.amdhsa_uses_dynamic_stack 0
		.amdhsa_system_sgpr_private_segment_wavefront_offset 0
		.amdhsa_system_sgpr_workgroup_id_x 1
		.amdhsa_system_sgpr_workgroup_id_y 0
		.amdhsa_system_sgpr_workgroup_id_z 0
		.amdhsa_system_sgpr_workgroup_info 0
		.amdhsa_system_vgpr_workitem_id 0
		.amdhsa_next_free_vgpr 1
		.amdhsa_next_free_sgpr 0
		.amdhsa_reserve_vcc 0
		.amdhsa_reserve_flat_scratch 0
		.amdhsa_float_round_mode_32 0
		.amdhsa_float_round_mode_16_64 0
		.amdhsa_float_denorm_mode_32 3
		.amdhsa_float_denorm_mode_16_64 3
		.amdhsa_dx10_clamp 1
		.amdhsa_ieee_mode 1
		.amdhsa_fp16_overflow 0
		.amdhsa_exception_fp_ieee_invalid_op 0
		.amdhsa_exception_fp_denorm_src 0
		.amdhsa_exception_fp_ieee_div_zero 0
		.amdhsa_exception_fp_ieee_overflow 0
		.amdhsa_exception_fp_ieee_underflow 0
		.amdhsa_exception_fp_ieee_inexact 0
		.amdhsa_exception_int_div_zero 0
	.end_amdhsa_kernel
	.section	.text._ZN7rocprim17ROCPRIM_400000_NS6detail17trampoline_kernelINS0_14default_configENS1_25partition_config_selectorILNS1_17partition_subalgoE5ElNS0_10empty_typeEbEEZZNS1_14partition_implILS5_5ELb0ES3_mN6hipcub16HIPCUB_304000_NS21CountingInputIteratorIllEEPS6_NSA_22TransformInputIteratorIb7NonZeroIdEPdlEENS0_5tupleIJPlS6_EEENSJ_IJSD_SD_EEES6_SK_JS6_EEE10hipError_tPvRmT3_T4_T5_T6_T7_T9_mT8_P12ihipStream_tbDpT10_ENKUlT_T0_E_clISt17integral_constantIbLb1EES16_EEDaS11_S12_EUlS11_E_NS1_11comp_targetILNS1_3genE9ELNS1_11target_archE1100ELNS1_3gpuE3ELNS1_3repE0EEENS1_30default_config_static_selectorELNS0_4arch9wavefront6targetE1EEEvT1_,"axG",@progbits,_ZN7rocprim17ROCPRIM_400000_NS6detail17trampoline_kernelINS0_14default_configENS1_25partition_config_selectorILNS1_17partition_subalgoE5ElNS0_10empty_typeEbEEZZNS1_14partition_implILS5_5ELb0ES3_mN6hipcub16HIPCUB_304000_NS21CountingInputIteratorIllEEPS6_NSA_22TransformInputIteratorIb7NonZeroIdEPdlEENS0_5tupleIJPlS6_EEENSJ_IJSD_SD_EEES6_SK_JS6_EEE10hipError_tPvRmT3_T4_T5_T6_T7_T9_mT8_P12ihipStream_tbDpT10_ENKUlT_T0_E_clISt17integral_constantIbLb1EES16_EEDaS11_S12_EUlS11_E_NS1_11comp_targetILNS1_3genE9ELNS1_11target_archE1100ELNS1_3gpuE3ELNS1_3repE0EEENS1_30default_config_static_selectorELNS0_4arch9wavefront6targetE1EEEvT1_,comdat
.Lfunc_end335:
	.size	_ZN7rocprim17ROCPRIM_400000_NS6detail17trampoline_kernelINS0_14default_configENS1_25partition_config_selectorILNS1_17partition_subalgoE5ElNS0_10empty_typeEbEEZZNS1_14partition_implILS5_5ELb0ES3_mN6hipcub16HIPCUB_304000_NS21CountingInputIteratorIllEEPS6_NSA_22TransformInputIteratorIb7NonZeroIdEPdlEENS0_5tupleIJPlS6_EEENSJ_IJSD_SD_EEES6_SK_JS6_EEE10hipError_tPvRmT3_T4_T5_T6_T7_T9_mT8_P12ihipStream_tbDpT10_ENKUlT_T0_E_clISt17integral_constantIbLb1EES16_EEDaS11_S12_EUlS11_E_NS1_11comp_targetILNS1_3genE9ELNS1_11target_archE1100ELNS1_3gpuE3ELNS1_3repE0EEENS1_30default_config_static_selectorELNS0_4arch9wavefront6targetE1EEEvT1_, .Lfunc_end335-_ZN7rocprim17ROCPRIM_400000_NS6detail17trampoline_kernelINS0_14default_configENS1_25partition_config_selectorILNS1_17partition_subalgoE5ElNS0_10empty_typeEbEEZZNS1_14partition_implILS5_5ELb0ES3_mN6hipcub16HIPCUB_304000_NS21CountingInputIteratorIllEEPS6_NSA_22TransformInputIteratorIb7NonZeroIdEPdlEENS0_5tupleIJPlS6_EEENSJ_IJSD_SD_EEES6_SK_JS6_EEE10hipError_tPvRmT3_T4_T5_T6_T7_T9_mT8_P12ihipStream_tbDpT10_ENKUlT_T0_E_clISt17integral_constantIbLb1EES16_EEDaS11_S12_EUlS11_E_NS1_11comp_targetILNS1_3genE9ELNS1_11target_archE1100ELNS1_3gpuE3ELNS1_3repE0EEENS1_30default_config_static_selectorELNS0_4arch9wavefront6targetE1EEEvT1_
                                        ; -- End function
	.set _ZN7rocprim17ROCPRIM_400000_NS6detail17trampoline_kernelINS0_14default_configENS1_25partition_config_selectorILNS1_17partition_subalgoE5ElNS0_10empty_typeEbEEZZNS1_14partition_implILS5_5ELb0ES3_mN6hipcub16HIPCUB_304000_NS21CountingInputIteratorIllEEPS6_NSA_22TransformInputIteratorIb7NonZeroIdEPdlEENS0_5tupleIJPlS6_EEENSJ_IJSD_SD_EEES6_SK_JS6_EEE10hipError_tPvRmT3_T4_T5_T6_T7_T9_mT8_P12ihipStream_tbDpT10_ENKUlT_T0_E_clISt17integral_constantIbLb1EES16_EEDaS11_S12_EUlS11_E_NS1_11comp_targetILNS1_3genE9ELNS1_11target_archE1100ELNS1_3gpuE3ELNS1_3repE0EEENS1_30default_config_static_selectorELNS0_4arch9wavefront6targetE1EEEvT1_.num_vgpr, 0
	.set _ZN7rocprim17ROCPRIM_400000_NS6detail17trampoline_kernelINS0_14default_configENS1_25partition_config_selectorILNS1_17partition_subalgoE5ElNS0_10empty_typeEbEEZZNS1_14partition_implILS5_5ELb0ES3_mN6hipcub16HIPCUB_304000_NS21CountingInputIteratorIllEEPS6_NSA_22TransformInputIteratorIb7NonZeroIdEPdlEENS0_5tupleIJPlS6_EEENSJ_IJSD_SD_EEES6_SK_JS6_EEE10hipError_tPvRmT3_T4_T5_T6_T7_T9_mT8_P12ihipStream_tbDpT10_ENKUlT_T0_E_clISt17integral_constantIbLb1EES16_EEDaS11_S12_EUlS11_E_NS1_11comp_targetILNS1_3genE9ELNS1_11target_archE1100ELNS1_3gpuE3ELNS1_3repE0EEENS1_30default_config_static_selectorELNS0_4arch9wavefront6targetE1EEEvT1_.num_agpr, 0
	.set _ZN7rocprim17ROCPRIM_400000_NS6detail17trampoline_kernelINS0_14default_configENS1_25partition_config_selectorILNS1_17partition_subalgoE5ElNS0_10empty_typeEbEEZZNS1_14partition_implILS5_5ELb0ES3_mN6hipcub16HIPCUB_304000_NS21CountingInputIteratorIllEEPS6_NSA_22TransformInputIteratorIb7NonZeroIdEPdlEENS0_5tupleIJPlS6_EEENSJ_IJSD_SD_EEES6_SK_JS6_EEE10hipError_tPvRmT3_T4_T5_T6_T7_T9_mT8_P12ihipStream_tbDpT10_ENKUlT_T0_E_clISt17integral_constantIbLb1EES16_EEDaS11_S12_EUlS11_E_NS1_11comp_targetILNS1_3genE9ELNS1_11target_archE1100ELNS1_3gpuE3ELNS1_3repE0EEENS1_30default_config_static_selectorELNS0_4arch9wavefront6targetE1EEEvT1_.numbered_sgpr, 0
	.set _ZN7rocprim17ROCPRIM_400000_NS6detail17trampoline_kernelINS0_14default_configENS1_25partition_config_selectorILNS1_17partition_subalgoE5ElNS0_10empty_typeEbEEZZNS1_14partition_implILS5_5ELb0ES3_mN6hipcub16HIPCUB_304000_NS21CountingInputIteratorIllEEPS6_NSA_22TransformInputIteratorIb7NonZeroIdEPdlEENS0_5tupleIJPlS6_EEENSJ_IJSD_SD_EEES6_SK_JS6_EEE10hipError_tPvRmT3_T4_T5_T6_T7_T9_mT8_P12ihipStream_tbDpT10_ENKUlT_T0_E_clISt17integral_constantIbLb1EES16_EEDaS11_S12_EUlS11_E_NS1_11comp_targetILNS1_3genE9ELNS1_11target_archE1100ELNS1_3gpuE3ELNS1_3repE0EEENS1_30default_config_static_selectorELNS0_4arch9wavefront6targetE1EEEvT1_.num_named_barrier, 0
	.set _ZN7rocprim17ROCPRIM_400000_NS6detail17trampoline_kernelINS0_14default_configENS1_25partition_config_selectorILNS1_17partition_subalgoE5ElNS0_10empty_typeEbEEZZNS1_14partition_implILS5_5ELb0ES3_mN6hipcub16HIPCUB_304000_NS21CountingInputIteratorIllEEPS6_NSA_22TransformInputIteratorIb7NonZeroIdEPdlEENS0_5tupleIJPlS6_EEENSJ_IJSD_SD_EEES6_SK_JS6_EEE10hipError_tPvRmT3_T4_T5_T6_T7_T9_mT8_P12ihipStream_tbDpT10_ENKUlT_T0_E_clISt17integral_constantIbLb1EES16_EEDaS11_S12_EUlS11_E_NS1_11comp_targetILNS1_3genE9ELNS1_11target_archE1100ELNS1_3gpuE3ELNS1_3repE0EEENS1_30default_config_static_selectorELNS0_4arch9wavefront6targetE1EEEvT1_.private_seg_size, 0
	.set _ZN7rocprim17ROCPRIM_400000_NS6detail17trampoline_kernelINS0_14default_configENS1_25partition_config_selectorILNS1_17partition_subalgoE5ElNS0_10empty_typeEbEEZZNS1_14partition_implILS5_5ELb0ES3_mN6hipcub16HIPCUB_304000_NS21CountingInputIteratorIllEEPS6_NSA_22TransformInputIteratorIb7NonZeroIdEPdlEENS0_5tupleIJPlS6_EEENSJ_IJSD_SD_EEES6_SK_JS6_EEE10hipError_tPvRmT3_T4_T5_T6_T7_T9_mT8_P12ihipStream_tbDpT10_ENKUlT_T0_E_clISt17integral_constantIbLb1EES16_EEDaS11_S12_EUlS11_E_NS1_11comp_targetILNS1_3genE9ELNS1_11target_archE1100ELNS1_3gpuE3ELNS1_3repE0EEENS1_30default_config_static_selectorELNS0_4arch9wavefront6targetE1EEEvT1_.uses_vcc, 0
	.set _ZN7rocprim17ROCPRIM_400000_NS6detail17trampoline_kernelINS0_14default_configENS1_25partition_config_selectorILNS1_17partition_subalgoE5ElNS0_10empty_typeEbEEZZNS1_14partition_implILS5_5ELb0ES3_mN6hipcub16HIPCUB_304000_NS21CountingInputIteratorIllEEPS6_NSA_22TransformInputIteratorIb7NonZeroIdEPdlEENS0_5tupleIJPlS6_EEENSJ_IJSD_SD_EEES6_SK_JS6_EEE10hipError_tPvRmT3_T4_T5_T6_T7_T9_mT8_P12ihipStream_tbDpT10_ENKUlT_T0_E_clISt17integral_constantIbLb1EES16_EEDaS11_S12_EUlS11_E_NS1_11comp_targetILNS1_3genE9ELNS1_11target_archE1100ELNS1_3gpuE3ELNS1_3repE0EEENS1_30default_config_static_selectorELNS0_4arch9wavefront6targetE1EEEvT1_.uses_flat_scratch, 0
	.set _ZN7rocprim17ROCPRIM_400000_NS6detail17trampoline_kernelINS0_14default_configENS1_25partition_config_selectorILNS1_17partition_subalgoE5ElNS0_10empty_typeEbEEZZNS1_14partition_implILS5_5ELb0ES3_mN6hipcub16HIPCUB_304000_NS21CountingInputIteratorIllEEPS6_NSA_22TransformInputIteratorIb7NonZeroIdEPdlEENS0_5tupleIJPlS6_EEENSJ_IJSD_SD_EEES6_SK_JS6_EEE10hipError_tPvRmT3_T4_T5_T6_T7_T9_mT8_P12ihipStream_tbDpT10_ENKUlT_T0_E_clISt17integral_constantIbLb1EES16_EEDaS11_S12_EUlS11_E_NS1_11comp_targetILNS1_3genE9ELNS1_11target_archE1100ELNS1_3gpuE3ELNS1_3repE0EEENS1_30default_config_static_selectorELNS0_4arch9wavefront6targetE1EEEvT1_.has_dyn_sized_stack, 0
	.set _ZN7rocprim17ROCPRIM_400000_NS6detail17trampoline_kernelINS0_14default_configENS1_25partition_config_selectorILNS1_17partition_subalgoE5ElNS0_10empty_typeEbEEZZNS1_14partition_implILS5_5ELb0ES3_mN6hipcub16HIPCUB_304000_NS21CountingInputIteratorIllEEPS6_NSA_22TransformInputIteratorIb7NonZeroIdEPdlEENS0_5tupleIJPlS6_EEENSJ_IJSD_SD_EEES6_SK_JS6_EEE10hipError_tPvRmT3_T4_T5_T6_T7_T9_mT8_P12ihipStream_tbDpT10_ENKUlT_T0_E_clISt17integral_constantIbLb1EES16_EEDaS11_S12_EUlS11_E_NS1_11comp_targetILNS1_3genE9ELNS1_11target_archE1100ELNS1_3gpuE3ELNS1_3repE0EEENS1_30default_config_static_selectorELNS0_4arch9wavefront6targetE1EEEvT1_.has_recursion, 0
	.set _ZN7rocprim17ROCPRIM_400000_NS6detail17trampoline_kernelINS0_14default_configENS1_25partition_config_selectorILNS1_17partition_subalgoE5ElNS0_10empty_typeEbEEZZNS1_14partition_implILS5_5ELb0ES3_mN6hipcub16HIPCUB_304000_NS21CountingInputIteratorIllEEPS6_NSA_22TransformInputIteratorIb7NonZeroIdEPdlEENS0_5tupleIJPlS6_EEENSJ_IJSD_SD_EEES6_SK_JS6_EEE10hipError_tPvRmT3_T4_T5_T6_T7_T9_mT8_P12ihipStream_tbDpT10_ENKUlT_T0_E_clISt17integral_constantIbLb1EES16_EEDaS11_S12_EUlS11_E_NS1_11comp_targetILNS1_3genE9ELNS1_11target_archE1100ELNS1_3gpuE3ELNS1_3repE0EEENS1_30default_config_static_selectorELNS0_4arch9wavefront6targetE1EEEvT1_.has_indirect_call, 0
	.section	.AMDGPU.csdata,"",@progbits
; Kernel info:
; codeLenInByte = 0
; TotalNumSgprs: 4
; NumVgprs: 0
; ScratchSize: 0
; MemoryBound: 0
; FloatMode: 240
; IeeeMode: 1
; LDSByteSize: 0 bytes/workgroup (compile time only)
; SGPRBlocks: 0
; VGPRBlocks: 0
; NumSGPRsForWavesPerEU: 4
; NumVGPRsForWavesPerEU: 1
; Occupancy: 10
; WaveLimiterHint : 0
; COMPUTE_PGM_RSRC2:SCRATCH_EN: 0
; COMPUTE_PGM_RSRC2:USER_SGPR: 6
; COMPUTE_PGM_RSRC2:TRAP_HANDLER: 0
; COMPUTE_PGM_RSRC2:TGID_X_EN: 1
; COMPUTE_PGM_RSRC2:TGID_Y_EN: 0
; COMPUTE_PGM_RSRC2:TGID_Z_EN: 0
; COMPUTE_PGM_RSRC2:TIDIG_COMP_CNT: 0
	.section	.text._ZN7rocprim17ROCPRIM_400000_NS6detail17trampoline_kernelINS0_14default_configENS1_25partition_config_selectorILNS1_17partition_subalgoE5ElNS0_10empty_typeEbEEZZNS1_14partition_implILS5_5ELb0ES3_mN6hipcub16HIPCUB_304000_NS21CountingInputIteratorIllEEPS6_NSA_22TransformInputIteratorIb7NonZeroIdEPdlEENS0_5tupleIJPlS6_EEENSJ_IJSD_SD_EEES6_SK_JS6_EEE10hipError_tPvRmT3_T4_T5_T6_T7_T9_mT8_P12ihipStream_tbDpT10_ENKUlT_T0_E_clISt17integral_constantIbLb1EES16_EEDaS11_S12_EUlS11_E_NS1_11comp_targetILNS1_3genE8ELNS1_11target_archE1030ELNS1_3gpuE2ELNS1_3repE0EEENS1_30default_config_static_selectorELNS0_4arch9wavefront6targetE1EEEvT1_,"axG",@progbits,_ZN7rocprim17ROCPRIM_400000_NS6detail17trampoline_kernelINS0_14default_configENS1_25partition_config_selectorILNS1_17partition_subalgoE5ElNS0_10empty_typeEbEEZZNS1_14partition_implILS5_5ELb0ES3_mN6hipcub16HIPCUB_304000_NS21CountingInputIteratorIllEEPS6_NSA_22TransformInputIteratorIb7NonZeroIdEPdlEENS0_5tupleIJPlS6_EEENSJ_IJSD_SD_EEES6_SK_JS6_EEE10hipError_tPvRmT3_T4_T5_T6_T7_T9_mT8_P12ihipStream_tbDpT10_ENKUlT_T0_E_clISt17integral_constantIbLb1EES16_EEDaS11_S12_EUlS11_E_NS1_11comp_targetILNS1_3genE8ELNS1_11target_archE1030ELNS1_3gpuE2ELNS1_3repE0EEENS1_30default_config_static_selectorELNS0_4arch9wavefront6targetE1EEEvT1_,comdat
	.protected	_ZN7rocprim17ROCPRIM_400000_NS6detail17trampoline_kernelINS0_14default_configENS1_25partition_config_selectorILNS1_17partition_subalgoE5ElNS0_10empty_typeEbEEZZNS1_14partition_implILS5_5ELb0ES3_mN6hipcub16HIPCUB_304000_NS21CountingInputIteratorIllEEPS6_NSA_22TransformInputIteratorIb7NonZeroIdEPdlEENS0_5tupleIJPlS6_EEENSJ_IJSD_SD_EEES6_SK_JS6_EEE10hipError_tPvRmT3_T4_T5_T6_T7_T9_mT8_P12ihipStream_tbDpT10_ENKUlT_T0_E_clISt17integral_constantIbLb1EES16_EEDaS11_S12_EUlS11_E_NS1_11comp_targetILNS1_3genE8ELNS1_11target_archE1030ELNS1_3gpuE2ELNS1_3repE0EEENS1_30default_config_static_selectorELNS0_4arch9wavefront6targetE1EEEvT1_ ; -- Begin function _ZN7rocprim17ROCPRIM_400000_NS6detail17trampoline_kernelINS0_14default_configENS1_25partition_config_selectorILNS1_17partition_subalgoE5ElNS0_10empty_typeEbEEZZNS1_14partition_implILS5_5ELb0ES3_mN6hipcub16HIPCUB_304000_NS21CountingInputIteratorIllEEPS6_NSA_22TransformInputIteratorIb7NonZeroIdEPdlEENS0_5tupleIJPlS6_EEENSJ_IJSD_SD_EEES6_SK_JS6_EEE10hipError_tPvRmT3_T4_T5_T6_T7_T9_mT8_P12ihipStream_tbDpT10_ENKUlT_T0_E_clISt17integral_constantIbLb1EES16_EEDaS11_S12_EUlS11_E_NS1_11comp_targetILNS1_3genE8ELNS1_11target_archE1030ELNS1_3gpuE2ELNS1_3repE0EEENS1_30default_config_static_selectorELNS0_4arch9wavefront6targetE1EEEvT1_
	.globl	_ZN7rocprim17ROCPRIM_400000_NS6detail17trampoline_kernelINS0_14default_configENS1_25partition_config_selectorILNS1_17partition_subalgoE5ElNS0_10empty_typeEbEEZZNS1_14partition_implILS5_5ELb0ES3_mN6hipcub16HIPCUB_304000_NS21CountingInputIteratorIllEEPS6_NSA_22TransformInputIteratorIb7NonZeroIdEPdlEENS0_5tupleIJPlS6_EEENSJ_IJSD_SD_EEES6_SK_JS6_EEE10hipError_tPvRmT3_T4_T5_T6_T7_T9_mT8_P12ihipStream_tbDpT10_ENKUlT_T0_E_clISt17integral_constantIbLb1EES16_EEDaS11_S12_EUlS11_E_NS1_11comp_targetILNS1_3genE8ELNS1_11target_archE1030ELNS1_3gpuE2ELNS1_3repE0EEENS1_30default_config_static_selectorELNS0_4arch9wavefront6targetE1EEEvT1_
	.p2align	8
	.type	_ZN7rocprim17ROCPRIM_400000_NS6detail17trampoline_kernelINS0_14default_configENS1_25partition_config_selectorILNS1_17partition_subalgoE5ElNS0_10empty_typeEbEEZZNS1_14partition_implILS5_5ELb0ES3_mN6hipcub16HIPCUB_304000_NS21CountingInputIteratorIllEEPS6_NSA_22TransformInputIteratorIb7NonZeroIdEPdlEENS0_5tupleIJPlS6_EEENSJ_IJSD_SD_EEES6_SK_JS6_EEE10hipError_tPvRmT3_T4_T5_T6_T7_T9_mT8_P12ihipStream_tbDpT10_ENKUlT_T0_E_clISt17integral_constantIbLb1EES16_EEDaS11_S12_EUlS11_E_NS1_11comp_targetILNS1_3genE8ELNS1_11target_archE1030ELNS1_3gpuE2ELNS1_3repE0EEENS1_30default_config_static_selectorELNS0_4arch9wavefront6targetE1EEEvT1_,@function
_ZN7rocprim17ROCPRIM_400000_NS6detail17trampoline_kernelINS0_14default_configENS1_25partition_config_selectorILNS1_17partition_subalgoE5ElNS0_10empty_typeEbEEZZNS1_14partition_implILS5_5ELb0ES3_mN6hipcub16HIPCUB_304000_NS21CountingInputIteratorIllEEPS6_NSA_22TransformInputIteratorIb7NonZeroIdEPdlEENS0_5tupleIJPlS6_EEENSJ_IJSD_SD_EEES6_SK_JS6_EEE10hipError_tPvRmT3_T4_T5_T6_T7_T9_mT8_P12ihipStream_tbDpT10_ENKUlT_T0_E_clISt17integral_constantIbLb1EES16_EEDaS11_S12_EUlS11_E_NS1_11comp_targetILNS1_3genE8ELNS1_11target_archE1030ELNS1_3gpuE2ELNS1_3repE0EEENS1_30default_config_static_selectorELNS0_4arch9wavefront6targetE1EEEvT1_: ; @_ZN7rocprim17ROCPRIM_400000_NS6detail17trampoline_kernelINS0_14default_configENS1_25partition_config_selectorILNS1_17partition_subalgoE5ElNS0_10empty_typeEbEEZZNS1_14partition_implILS5_5ELb0ES3_mN6hipcub16HIPCUB_304000_NS21CountingInputIteratorIllEEPS6_NSA_22TransformInputIteratorIb7NonZeroIdEPdlEENS0_5tupleIJPlS6_EEENSJ_IJSD_SD_EEES6_SK_JS6_EEE10hipError_tPvRmT3_T4_T5_T6_T7_T9_mT8_P12ihipStream_tbDpT10_ENKUlT_T0_E_clISt17integral_constantIbLb1EES16_EEDaS11_S12_EUlS11_E_NS1_11comp_targetILNS1_3genE8ELNS1_11target_archE1030ELNS1_3gpuE2ELNS1_3repE0EEENS1_30default_config_static_selectorELNS0_4arch9wavefront6targetE1EEEvT1_
; %bb.0:
	.section	.rodata,"a",@progbits
	.p2align	6, 0x0
	.amdhsa_kernel _ZN7rocprim17ROCPRIM_400000_NS6detail17trampoline_kernelINS0_14default_configENS1_25partition_config_selectorILNS1_17partition_subalgoE5ElNS0_10empty_typeEbEEZZNS1_14partition_implILS5_5ELb0ES3_mN6hipcub16HIPCUB_304000_NS21CountingInputIteratorIllEEPS6_NSA_22TransformInputIteratorIb7NonZeroIdEPdlEENS0_5tupleIJPlS6_EEENSJ_IJSD_SD_EEES6_SK_JS6_EEE10hipError_tPvRmT3_T4_T5_T6_T7_T9_mT8_P12ihipStream_tbDpT10_ENKUlT_T0_E_clISt17integral_constantIbLb1EES16_EEDaS11_S12_EUlS11_E_NS1_11comp_targetILNS1_3genE8ELNS1_11target_archE1030ELNS1_3gpuE2ELNS1_3repE0EEENS1_30default_config_static_selectorELNS0_4arch9wavefront6targetE1EEEvT1_
		.amdhsa_group_segment_fixed_size 0
		.amdhsa_private_segment_fixed_size 0
		.amdhsa_kernarg_size 136
		.amdhsa_user_sgpr_count 6
		.amdhsa_user_sgpr_private_segment_buffer 1
		.amdhsa_user_sgpr_dispatch_ptr 0
		.amdhsa_user_sgpr_queue_ptr 0
		.amdhsa_user_sgpr_kernarg_segment_ptr 1
		.amdhsa_user_sgpr_dispatch_id 0
		.amdhsa_user_sgpr_flat_scratch_init 0
		.amdhsa_user_sgpr_private_segment_size 0
		.amdhsa_uses_dynamic_stack 0
		.amdhsa_system_sgpr_private_segment_wavefront_offset 0
		.amdhsa_system_sgpr_workgroup_id_x 1
		.amdhsa_system_sgpr_workgroup_id_y 0
		.amdhsa_system_sgpr_workgroup_id_z 0
		.amdhsa_system_sgpr_workgroup_info 0
		.amdhsa_system_vgpr_workitem_id 0
		.amdhsa_next_free_vgpr 1
		.amdhsa_next_free_sgpr 0
		.amdhsa_reserve_vcc 0
		.amdhsa_reserve_flat_scratch 0
		.amdhsa_float_round_mode_32 0
		.amdhsa_float_round_mode_16_64 0
		.amdhsa_float_denorm_mode_32 3
		.amdhsa_float_denorm_mode_16_64 3
		.amdhsa_dx10_clamp 1
		.amdhsa_ieee_mode 1
		.amdhsa_fp16_overflow 0
		.amdhsa_exception_fp_ieee_invalid_op 0
		.amdhsa_exception_fp_denorm_src 0
		.amdhsa_exception_fp_ieee_div_zero 0
		.amdhsa_exception_fp_ieee_overflow 0
		.amdhsa_exception_fp_ieee_underflow 0
		.amdhsa_exception_fp_ieee_inexact 0
		.amdhsa_exception_int_div_zero 0
	.end_amdhsa_kernel
	.section	.text._ZN7rocprim17ROCPRIM_400000_NS6detail17trampoline_kernelINS0_14default_configENS1_25partition_config_selectorILNS1_17partition_subalgoE5ElNS0_10empty_typeEbEEZZNS1_14partition_implILS5_5ELb0ES3_mN6hipcub16HIPCUB_304000_NS21CountingInputIteratorIllEEPS6_NSA_22TransformInputIteratorIb7NonZeroIdEPdlEENS0_5tupleIJPlS6_EEENSJ_IJSD_SD_EEES6_SK_JS6_EEE10hipError_tPvRmT3_T4_T5_T6_T7_T9_mT8_P12ihipStream_tbDpT10_ENKUlT_T0_E_clISt17integral_constantIbLb1EES16_EEDaS11_S12_EUlS11_E_NS1_11comp_targetILNS1_3genE8ELNS1_11target_archE1030ELNS1_3gpuE2ELNS1_3repE0EEENS1_30default_config_static_selectorELNS0_4arch9wavefront6targetE1EEEvT1_,"axG",@progbits,_ZN7rocprim17ROCPRIM_400000_NS6detail17trampoline_kernelINS0_14default_configENS1_25partition_config_selectorILNS1_17partition_subalgoE5ElNS0_10empty_typeEbEEZZNS1_14partition_implILS5_5ELb0ES3_mN6hipcub16HIPCUB_304000_NS21CountingInputIteratorIllEEPS6_NSA_22TransformInputIteratorIb7NonZeroIdEPdlEENS0_5tupleIJPlS6_EEENSJ_IJSD_SD_EEES6_SK_JS6_EEE10hipError_tPvRmT3_T4_T5_T6_T7_T9_mT8_P12ihipStream_tbDpT10_ENKUlT_T0_E_clISt17integral_constantIbLb1EES16_EEDaS11_S12_EUlS11_E_NS1_11comp_targetILNS1_3genE8ELNS1_11target_archE1030ELNS1_3gpuE2ELNS1_3repE0EEENS1_30default_config_static_selectorELNS0_4arch9wavefront6targetE1EEEvT1_,comdat
.Lfunc_end336:
	.size	_ZN7rocprim17ROCPRIM_400000_NS6detail17trampoline_kernelINS0_14default_configENS1_25partition_config_selectorILNS1_17partition_subalgoE5ElNS0_10empty_typeEbEEZZNS1_14partition_implILS5_5ELb0ES3_mN6hipcub16HIPCUB_304000_NS21CountingInputIteratorIllEEPS6_NSA_22TransformInputIteratorIb7NonZeroIdEPdlEENS0_5tupleIJPlS6_EEENSJ_IJSD_SD_EEES6_SK_JS6_EEE10hipError_tPvRmT3_T4_T5_T6_T7_T9_mT8_P12ihipStream_tbDpT10_ENKUlT_T0_E_clISt17integral_constantIbLb1EES16_EEDaS11_S12_EUlS11_E_NS1_11comp_targetILNS1_3genE8ELNS1_11target_archE1030ELNS1_3gpuE2ELNS1_3repE0EEENS1_30default_config_static_selectorELNS0_4arch9wavefront6targetE1EEEvT1_, .Lfunc_end336-_ZN7rocprim17ROCPRIM_400000_NS6detail17trampoline_kernelINS0_14default_configENS1_25partition_config_selectorILNS1_17partition_subalgoE5ElNS0_10empty_typeEbEEZZNS1_14partition_implILS5_5ELb0ES3_mN6hipcub16HIPCUB_304000_NS21CountingInputIteratorIllEEPS6_NSA_22TransformInputIteratorIb7NonZeroIdEPdlEENS0_5tupleIJPlS6_EEENSJ_IJSD_SD_EEES6_SK_JS6_EEE10hipError_tPvRmT3_T4_T5_T6_T7_T9_mT8_P12ihipStream_tbDpT10_ENKUlT_T0_E_clISt17integral_constantIbLb1EES16_EEDaS11_S12_EUlS11_E_NS1_11comp_targetILNS1_3genE8ELNS1_11target_archE1030ELNS1_3gpuE2ELNS1_3repE0EEENS1_30default_config_static_selectorELNS0_4arch9wavefront6targetE1EEEvT1_
                                        ; -- End function
	.set _ZN7rocprim17ROCPRIM_400000_NS6detail17trampoline_kernelINS0_14default_configENS1_25partition_config_selectorILNS1_17partition_subalgoE5ElNS0_10empty_typeEbEEZZNS1_14partition_implILS5_5ELb0ES3_mN6hipcub16HIPCUB_304000_NS21CountingInputIteratorIllEEPS6_NSA_22TransformInputIteratorIb7NonZeroIdEPdlEENS0_5tupleIJPlS6_EEENSJ_IJSD_SD_EEES6_SK_JS6_EEE10hipError_tPvRmT3_T4_T5_T6_T7_T9_mT8_P12ihipStream_tbDpT10_ENKUlT_T0_E_clISt17integral_constantIbLb1EES16_EEDaS11_S12_EUlS11_E_NS1_11comp_targetILNS1_3genE8ELNS1_11target_archE1030ELNS1_3gpuE2ELNS1_3repE0EEENS1_30default_config_static_selectorELNS0_4arch9wavefront6targetE1EEEvT1_.num_vgpr, 0
	.set _ZN7rocprim17ROCPRIM_400000_NS6detail17trampoline_kernelINS0_14default_configENS1_25partition_config_selectorILNS1_17partition_subalgoE5ElNS0_10empty_typeEbEEZZNS1_14partition_implILS5_5ELb0ES3_mN6hipcub16HIPCUB_304000_NS21CountingInputIteratorIllEEPS6_NSA_22TransformInputIteratorIb7NonZeroIdEPdlEENS0_5tupleIJPlS6_EEENSJ_IJSD_SD_EEES6_SK_JS6_EEE10hipError_tPvRmT3_T4_T5_T6_T7_T9_mT8_P12ihipStream_tbDpT10_ENKUlT_T0_E_clISt17integral_constantIbLb1EES16_EEDaS11_S12_EUlS11_E_NS1_11comp_targetILNS1_3genE8ELNS1_11target_archE1030ELNS1_3gpuE2ELNS1_3repE0EEENS1_30default_config_static_selectorELNS0_4arch9wavefront6targetE1EEEvT1_.num_agpr, 0
	.set _ZN7rocprim17ROCPRIM_400000_NS6detail17trampoline_kernelINS0_14default_configENS1_25partition_config_selectorILNS1_17partition_subalgoE5ElNS0_10empty_typeEbEEZZNS1_14partition_implILS5_5ELb0ES3_mN6hipcub16HIPCUB_304000_NS21CountingInputIteratorIllEEPS6_NSA_22TransformInputIteratorIb7NonZeroIdEPdlEENS0_5tupleIJPlS6_EEENSJ_IJSD_SD_EEES6_SK_JS6_EEE10hipError_tPvRmT3_T4_T5_T6_T7_T9_mT8_P12ihipStream_tbDpT10_ENKUlT_T0_E_clISt17integral_constantIbLb1EES16_EEDaS11_S12_EUlS11_E_NS1_11comp_targetILNS1_3genE8ELNS1_11target_archE1030ELNS1_3gpuE2ELNS1_3repE0EEENS1_30default_config_static_selectorELNS0_4arch9wavefront6targetE1EEEvT1_.numbered_sgpr, 0
	.set _ZN7rocprim17ROCPRIM_400000_NS6detail17trampoline_kernelINS0_14default_configENS1_25partition_config_selectorILNS1_17partition_subalgoE5ElNS0_10empty_typeEbEEZZNS1_14partition_implILS5_5ELb0ES3_mN6hipcub16HIPCUB_304000_NS21CountingInputIteratorIllEEPS6_NSA_22TransformInputIteratorIb7NonZeroIdEPdlEENS0_5tupleIJPlS6_EEENSJ_IJSD_SD_EEES6_SK_JS6_EEE10hipError_tPvRmT3_T4_T5_T6_T7_T9_mT8_P12ihipStream_tbDpT10_ENKUlT_T0_E_clISt17integral_constantIbLb1EES16_EEDaS11_S12_EUlS11_E_NS1_11comp_targetILNS1_3genE8ELNS1_11target_archE1030ELNS1_3gpuE2ELNS1_3repE0EEENS1_30default_config_static_selectorELNS0_4arch9wavefront6targetE1EEEvT1_.num_named_barrier, 0
	.set _ZN7rocprim17ROCPRIM_400000_NS6detail17trampoline_kernelINS0_14default_configENS1_25partition_config_selectorILNS1_17partition_subalgoE5ElNS0_10empty_typeEbEEZZNS1_14partition_implILS5_5ELb0ES3_mN6hipcub16HIPCUB_304000_NS21CountingInputIteratorIllEEPS6_NSA_22TransformInputIteratorIb7NonZeroIdEPdlEENS0_5tupleIJPlS6_EEENSJ_IJSD_SD_EEES6_SK_JS6_EEE10hipError_tPvRmT3_T4_T5_T6_T7_T9_mT8_P12ihipStream_tbDpT10_ENKUlT_T0_E_clISt17integral_constantIbLb1EES16_EEDaS11_S12_EUlS11_E_NS1_11comp_targetILNS1_3genE8ELNS1_11target_archE1030ELNS1_3gpuE2ELNS1_3repE0EEENS1_30default_config_static_selectorELNS0_4arch9wavefront6targetE1EEEvT1_.private_seg_size, 0
	.set _ZN7rocprim17ROCPRIM_400000_NS6detail17trampoline_kernelINS0_14default_configENS1_25partition_config_selectorILNS1_17partition_subalgoE5ElNS0_10empty_typeEbEEZZNS1_14partition_implILS5_5ELb0ES3_mN6hipcub16HIPCUB_304000_NS21CountingInputIteratorIllEEPS6_NSA_22TransformInputIteratorIb7NonZeroIdEPdlEENS0_5tupleIJPlS6_EEENSJ_IJSD_SD_EEES6_SK_JS6_EEE10hipError_tPvRmT3_T4_T5_T6_T7_T9_mT8_P12ihipStream_tbDpT10_ENKUlT_T0_E_clISt17integral_constantIbLb1EES16_EEDaS11_S12_EUlS11_E_NS1_11comp_targetILNS1_3genE8ELNS1_11target_archE1030ELNS1_3gpuE2ELNS1_3repE0EEENS1_30default_config_static_selectorELNS0_4arch9wavefront6targetE1EEEvT1_.uses_vcc, 0
	.set _ZN7rocprim17ROCPRIM_400000_NS6detail17trampoline_kernelINS0_14default_configENS1_25partition_config_selectorILNS1_17partition_subalgoE5ElNS0_10empty_typeEbEEZZNS1_14partition_implILS5_5ELb0ES3_mN6hipcub16HIPCUB_304000_NS21CountingInputIteratorIllEEPS6_NSA_22TransformInputIteratorIb7NonZeroIdEPdlEENS0_5tupleIJPlS6_EEENSJ_IJSD_SD_EEES6_SK_JS6_EEE10hipError_tPvRmT3_T4_T5_T6_T7_T9_mT8_P12ihipStream_tbDpT10_ENKUlT_T0_E_clISt17integral_constantIbLb1EES16_EEDaS11_S12_EUlS11_E_NS1_11comp_targetILNS1_3genE8ELNS1_11target_archE1030ELNS1_3gpuE2ELNS1_3repE0EEENS1_30default_config_static_selectorELNS0_4arch9wavefront6targetE1EEEvT1_.uses_flat_scratch, 0
	.set _ZN7rocprim17ROCPRIM_400000_NS6detail17trampoline_kernelINS0_14default_configENS1_25partition_config_selectorILNS1_17partition_subalgoE5ElNS0_10empty_typeEbEEZZNS1_14partition_implILS5_5ELb0ES3_mN6hipcub16HIPCUB_304000_NS21CountingInputIteratorIllEEPS6_NSA_22TransformInputIteratorIb7NonZeroIdEPdlEENS0_5tupleIJPlS6_EEENSJ_IJSD_SD_EEES6_SK_JS6_EEE10hipError_tPvRmT3_T4_T5_T6_T7_T9_mT8_P12ihipStream_tbDpT10_ENKUlT_T0_E_clISt17integral_constantIbLb1EES16_EEDaS11_S12_EUlS11_E_NS1_11comp_targetILNS1_3genE8ELNS1_11target_archE1030ELNS1_3gpuE2ELNS1_3repE0EEENS1_30default_config_static_selectorELNS0_4arch9wavefront6targetE1EEEvT1_.has_dyn_sized_stack, 0
	.set _ZN7rocprim17ROCPRIM_400000_NS6detail17trampoline_kernelINS0_14default_configENS1_25partition_config_selectorILNS1_17partition_subalgoE5ElNS0_10empty_typeEbEEZZNS1_14partition_implILS5_5ELb0ES3_mN6hipcub16HIPCUB_304000_NS21CountingInputIteratorIllEEPS6_NSA_22TransformInputIteratorIb7NonZeroIdEPdlEENS0_5tupleIJPlS6_EEENSJ_IJSD_SD_EEES6_SK_JS6_EEE10hipError_tPvRmT3_T4_T5_T6_T7_T9_mT8_P12ihipStream_tbDpT10_ENKUlT_T0_E_clISt17integral_constantIbLb1EES16_EEDaS11_S12_EUlS11_E_NS1_11comp_targetILNS1_3genE8ELNS1_11target_archE1030ELNS1_3gpuE2ELNS1_3repE0EEENS1_30default_config_static_selectorELNS0_4arch9wavefront6targetE1EEEvT1_.has_recursion, 0
	.set _ZN7rocprim17ROCPRIM_400000_NS6detail17trampoline_kernelINS0_14default_configENS1_25partition_config_selectorILNS1_17partition_subalgoE5ElNS0_10empty_typeEbEEZZNS1_14partition_implILS5_5ELb0ES3_mN6hipcub16HIPCUB_304000_NS21CountingInputIteratorIllEEPS6_NSA_22TransformInputIteratorIb7NonZeroIdEPdlEENS0_5tupleIJPlS6_EEENSJ_IJSD_SD_EEES6_SK_JS6_EEE10hipError_tPvRmT3_T4_T5_T6_T7_T9_mT8_P12ihipStream_tbDpT10_ENKUlT_T0_E_clISt17integral_constantIbLb1EES16_EEDaS11_S12_EUlS11_E_NS1_11comp_targetILNS1_3genE8ELNS1_11target_archE1030ELNS1_3gpuE2ELNS1_3repE0EEENS1_30default_config_static_selectorELNS0_4arch9wavefront6targetE1EEEvT1_.has_indirect_call, 0
	.section	.AMDGPU.csdata,"",@progbits
; Kernel info:
; codeLenInByte = 0
; TotalNumSgprs: 4
; NumVgprs: 0
; ScratchSize: 0
; MemoryBound: 0
; FloatMode: 240
; IeeeMode: 1
; LDSByteSize: 0 bytes/workgroup (compile time only)
; SGPRBlocks: 0
; VGPRBlocks: 0
; NumSGPRsForWavesPerEU: 4
; NumVGPRsForWavesPerEU: 1
; Occupancy: 10
; WaveLimiterHint : 0
; COMPUTE_PGM_RSRC2:SCRATCH_EN: 0
; COMPUTE_PGM_RSRC2:USER_SGPR: 6
; COMPUTE_PGM_RSRC2:TRAP_HANDLER: 0
; COMPUTE_PGM_RSRC2:TGID_X_EN: 1
; COMPUTE_PGM_RSRC2:TGID_Y_EN: 0
; COMPUTE_PGM_RSRC2:TGID_Z_EN: 0
; COMPUTE_PGM_RSRC2:TIDIG_COMP_CNT: 0
	.section	.text._ZN7rocprim17ROCPRIM_400000_NS6detail17trampoline_kernelINS0_14default_configENS1_25partition_config_selectorILNS1_17partition_subalgoE5ElNS0_10empty_typeEbEEZZNS1_14partition_implILS5_5ELb0ES3_mN6hipcub16HIPCUB_304000_NS21CountingInputIteratorIllEEPS6_NSA_22TransformInputIteratorIb7NonZeroIdEPdlEENS0_5tupleIJPlS6_EEENSJ_IJSD_SD_EEES6_SK_JS6_EEE10hipError_tPvRmT3_T4_T5_T6_T7_T9_mT8_P12ihipStream_tbDpT10_ENKUlT_T0_E_clISt17integral_constantIbLb1EES15_IbLb0EEEEDaS11_S12_EUlS11_E_NS1_11comp_targetILNS1_3genE0ELNS1_11target_archE4294967295ELNS1_3gpuE0ELNS1_3repE0EEENS1_30default_config_static_selectorELNS0_4arch9wavefront6targetE1EEEvT1_,"axG",@progbits,_ZN7rocprim17ROCPRIM_400000_NS6detail17trampoline_kernelINS0_14default_configENS1_25partition_config_selectorILNS1_17partition_subalgoE5ElNS0_10empty_typeEbEEZZNS1_14partition_implILS5_5ELb0ES3_mN6hipcub16HIPCUB_304000_NS21CountingInputIteratorIllEEPS6_NSA_22TransformInputIteratorIb7NonZeroIdEPdlEENS0_5tupleIJPlS6_EEENSJ_IJSD_SD_EEES6_SK_JS6_EEE10hipError_tPvRmT3_T4_T5_T6_T7_T9_mT8_P12ihipStream_tbDpT10_ENKUlT_T0_E_clISt17integral_constantIbLb1EES15_IbLb0EEEEDaS11_S12_EUlS11_E_NS1_11comp_targetILNS1_3genE0ELNS1_11target_archE4294967295ELNS1_3gpuE0ELNS1_3repE0EEENS1_30default_config_static_selectorELNS0_4arch9wavefront6targetE1EEEvT1_,comdat
	.protected	_ZN7rocprim17ROCPRIM_400000_NS6detail17trampoline_kernelINS0_14default_configENS1_25partition_config_selectorILNS1_17partition_subalgoE5ElNS0_10empty_typeEbEEZZNS1_14partition_implILS5_5ELb0ES3_mN6hipcub16HIPCUB_304000_NS21CountingInputIteratorIllEEPS6_NSA_22TransformInputIteratorIb7NonZeroIdEPdlEENS0_5tupleIJPlS6_EEENSJ_IJSD_SD_EEES6_SK_JS6_EEE10hipError_tPvRmT3_T4_T5_T6_T7_T9_mT8_P12ihipStream_tbDpT10_ENKUlT_T0_E_clISt17integral_constantIbLb1EES15_IbLb0EEEEDaS11_S12_EUlS11_E_NS1_11comp_targetILNS1_3genE0ELNS1_11target_archE4294967295ELNS1_3gpuE0ELNS1_3repE0EEENS1_30default_config_static_selectorELNS0_4arch9wavefront6targetE1EEEvT1_ ; -- Begin function _ZN7rocprim17ROCPRIM_400000_NS6detail17trampoline_kernelINS0_14default_configENS1_25partition_config_selectorILNS1_17partition_subalgoE5ElNS0_10empty_typeEbEEZZNS1_14partition_implILS5_5ELb0ES3_mN6hipcub16HIPCUB_304000_NS21CountingInputIteratorIllEEPS6_NSA_22TransformInputIteratorIb7NonZeroIdEPdlEENS0_5tupleIJPlS6_EEENSJ_IJSD_SD_EEES6_SK_JS6_EEE10hipError_tPvRmT3_T4_T5_T6_T7_T9_mT8_P12ihipStream_tbDpT10_ENKUlT_T0_E_clISt17integral_constantIbLb1EES15_IbLb0EEEEDaS11_S12_EUlS11_E_NS1_11comp_targetILNS1_3genE0ELNS1_11target_archE4294967295ELNS1_3gpuE0ELNS1_3repE0EEENS1_30default_config_static_selectorELNS0_4arch9wavefront6targetE1EEEvT1_
	.globl	_ZN7rocprim17ROCPRIM_400000_NS6detail17trampoline_kernelINS0_14default_configENS1_25partition_config_selectorILNS1_17partition_subalgoE5ElNS0_10empty_typeEbEEZZNS1_14partition_implILS5_5ELb0ES3_mN6hipcub16HIPCUB_304000_NS21CountingInputIteratorIllEEPS6_NSA_22TransformInputIteratorIb7NonZeroIdEPdlEENS0_5tupleIJPlS6_EEENSJ_IJSD_SD_EEES6_SK_JS6_EEE10hipError_tPvRmT3_T4_T5_T6_T7_T9_mT8_P12ihipStream_tbDpT10_ENKUlT_T0_E_clISt17integral_constantIbLb1EES15_IbLb0EEEEDaS11_S12_EUlS11_E_NS1_11comp_targetILNS1_3genE0ELNS1_11target_archE4294967295ELNS1_3gpuE0ELNS1_3repE0EEENS1_30default_config_static_selectorELNS0_4arch9wavefront6targetE1EEEvT1_
	.p2align	8
	.type	_ZN7rocprim17ROCPRIM_400000_NS6detail17trampoline_kernelINS0_14default_configENS1_25partition_config_selectorILNS1_17partition_subalgoE5ElNS0_10empty_typeEbEEZZNS1_14partition_implILS5_5ELb0ES3_mN6hipcub16HIPCUB_304000_NS21CountingInputIteratorIllEEPS6_NSA_22TransformInputIteratorIb7NonZeroIdEPdlEENS0_5tupleIJPlS6_EEENSJ_IJSD_SD_EEES6_SK_JS6_EEE10hipError_tPvRmT3_T4_T5_T6_T7_T9_mT8_P12ihipStream_tbDpT10_ENKUlT_T0_E_clISt17integral_constantIbLb1EES15_IbLb0EEEEDaS11_S12_EUlS11_E_NS1_11comp_targetILNS1_3genE0ELNS1_11target_archE4294967295ELNS1_3gpuE0ELNS1_3repE0EEENS1_30default_config_static_selectorELNS0_4arch9wavefront6targetE1EEEvT1_,@function
_ZN7rocprim17ROCPRIM_400000_NS6detail17trampoline_kernelINS0_14default_configENS1_25partition_config_selectorILNS1_17partition_subalgoE5ElNS0_10empty_typeEbEEZZNS1_14partition_implILS5_5ELb0ES3_mN6hipcub16HIPCUB_304000_NS21CountingInputIteratorIllEEPS6_NSA_22TransformInputIteratorIb7NonZeroIdEPdlEENS0_5tupleIJPlS6_EEENSJ_IJSD_SD_EEES6_SK_JS6_EEE10hipError_tPvRmT3_T4_T5_T6_T7_T9_mT8_P12ihipStream_tbDpT10_ENKUlT_T0_E_clISt17integral_constantIbLb1EES15_IbLb0EEEEDaS11_S12_EUlS11_E_NS1_11comp_targetILNS1_3genE0ELNS1_11target_archE4294967295ELNS1_3gpuE0ELNS1_3repE0EEENS1_30default_config_static_selectorELNS0_4arch9wavefront6targetE1EEEvT1_: ; @_ZN7rocprim17ROCPRIM_400000_NS6detail17trampoline_kernelINS0_14default_configENS1_25partition_config_selectorILNS1_17partition_subalgoE5ElNS0_10empty_typeEbEEZZNS1_14partition_implILS5_5ELb0ES3_mN6hipcub16HIPCUB_304000_NS21CountingInputIteratorIllEEPS6_NSA_22TransformInputIteratorIb7NonZeroIdEPdlEENS0_5tupleIJPlS6_EEENSJ_IJSD_SD_EEES6_SK_JS6_EEE10hipError_tPvRmT3_T4_T5_T6_T7_T9_mT8_P12ihipStream_tbDpT10_ENKUlT_T0_E_clISt17integral_constantIbLb1EES15_IbLb0EEEEDaS11_S12_EUlS11_E_NS1_11comp_targetILNS1_3genE0ELNS1_11target_archE4294967295ELNS1_3gpuE0ELNS1_3repE0EEENS1_30default_config_static_selectorELNS0_4arch9wavefront6targetE1EEEvT1_
; %bb.0:
	.section	.rodata,"a",@progbits
	.p2align	6, 0x0
	.amdhsa_kernel _ZN7rocprim17ROCPRIM_400000_NS6detail17trampoline_kernelINS0_14default_configENS1_25partition_config_selectorILNS1_17partition_subalgoE5ElNS0_10empty_typeEbEEZZNS1_14partition_implILS5_5ELb0ES3_mN6hipcub16HIPCUB_304000_NS21CountingInputIteratorIllEEPS6_NSA_22TransformInputIteratorIb7NonZeroIdEPdlEENS0_5tupleIJPlS6_EEENSJ_IJSD_SD_EEES6_SK_JS6_EEE10hipError_tPvRmT3_T4_T5_T6_T7_T9_mT8_P12ihipStream_tbDpT10_ENKUlT_T0_E_clISt17integral_constantIbLb1EES15_IbLb0EEEEDaS11_S12_EUlS11_E_NS1_11comp_targetILNS1_3genE0ELNS1_11target_archE4294967295ELNS1_3gpuE0ELNS1_3repE0EEENS1_30default_config_static_selectorELNS0_4arch9wavefront6targetE1EEEvT1_
		.amdhsa_group_segment_fixed_size 0
		.amdhsa_private_segment_fixed_size 0
		.amdhsa_kernarg_size 120
		.amdhsa_user_sgpr_count 6
		.amdhsa_user_sgpr_private_segment_buffer 1
		.amdhsa_user_sgpr_dispatch_ptr 0
		.amdhsa_user_sgpr_queue_ptr 0
		.amdhsa_user_sgpr_kernarg_segment_ptr 1
		.amdhsa_user_sgpr_dispatch_id 0
		.amdhsa_user_sgpr_flat_scratch_init 0
		.amdhsa_user_sgpr_private_segment_size 0
		.amdhsa_uses_dynamic_stack 0
		.amdhsa_system_sgpr_private_segment_wavefront_offset 0
		.amdhsa_system_sgpr_workgroup_id_x 1
		.amdhsa_system_sgpr_workgroup_id_y 0
		.amdhsa_system_sgpr_workgroup_id_z 0
		.amdhsa_system_sgpr_workgroup_info 0
		.amdhsa_system_vgpr_workitem_id 0
		.amdhsa_next_free_vgpr 1
		.amdhsa_next_free_sgpr 0
		.amdhsa_reserve_vcc 0
		.amdhsa_reserve_flat_scratch 0
		.amdhsa_float_round_mode_32 0
		.amdhsa_float_round_mode_16_64 0
		.amdhsa_float_denorm_mode_32 3
		.amdhsa_float_denorm_mode_16_64 3
		.amdhsa_dx10_clamp 1
		.amdhsa_ieee_mode 1
		.amdhsa_fp16_overflow 0
		.amdhsa_exception_fp_ieee_invalid_op 0
		.amdhsa_exception_fp_denorm_src 0
		.amdhsa_exception_fp_ieee_div_zero 0
		.amdhsa_exception_fp_ieee_overflow 0
		.amdhsa_exception_fp_ieee_underflow 0
		.amdhsa_exception_fp_ieee_inexact 0
		.amdhsa_exception_int_div_zero 0
	.end_amdhsa_kernel
	.section	.text._ZN7rocprim17ROCPRIM_400000_NS6detail17trampoline_kernelINS0_14default_configENS1_25partition_config_selectorILNS1_17partition_subalgoE5ElNS0_10empty_typeEbEEZZNS1_14partition_implILS5_5ELb0ES3_mN6hipcub16HIPCUB_304000_NS21CountingInputIteratorIllEEPS6_NSA_22TransformInputIteratorIb7NonZeroIdEPdlEENS0_5tupleIJPlS6_EEENSJ_IJSD_SD_EEES6_SK_JS6_EEE10hipError_tPvRmT3_T4_T5_T6_T7_T9_mT8_P12ihipStream_tbDpT10_ENKUlT_T0_E_clISt17integral_constantIbLb1EES15_IbLb0EEEEDaS11_S12_EUlS11_E_NS1_11comp_targetILNS1_3genE0ELNS1_11target_archE4294967295ELNS1_3gpuE0ELNS1_3repE0EEENS1_30default_config_static_selectorELNS0_4arch9wavefront6targetE1EEEvT1_,"axG",@progbits,_ZN7rocprim17ROCPRIM_400000_NS6detail17trampoline_kernelINS0_14default_configENS1_25partition_config_selectorILNS1_17partition_subalgoE5ElNS0_10empty_typeEbEEZZNS1_14partition_implILS5_5ELb0ES3_mN6hipcub16HIPCUB_304000_NS21CountingInputIteratorIllEEPS6_NSA_22TransformInputIteratorIb7NonZeroIdEPdlEENS0_5tupleIJPlS6_EEENSJ_IJSD_SD_EEES6_SK_JS6_EEE10hipError_tPvRmT3_T4_T5_T6_T7_T9_mT8_P12ihipStream_tbDpT10_ENKUlT_T0_E_clISt17integral_constantIbLb1EES15_IbLb0EEEEDaS11_S12_EUlS11_E_NS1_11comp_targetILNS1_3genE0ELNS1_11target_archE4294967295ELNS1_3gpuE0ELNS1_3repE0EEENS1_30default_config_static_selectorELNS0_4arch9wavefront6targetE1EEEvT1_,comdat
.Lfunc_end337:
	.size	_ZN7rocprim17ROCPRIM_400000_NS6detail17trampoline_kernelINS0_14default_configENS1_25partition_config_selectorILNS1_17partition_subalgoE5ElNS0_10empty_typeEbEEZZNS1_14partition_implILS5_5ELb0ES3_mN6hipcub16HIPCUB_304000_NS21CountingInputIteratorIllEEPS6_NSA_22TransformInputIteratorIb7NonZeroIdEPdlEENS0_5tupleIJPlS6_EEENSJ_IJSD_SD_EEES6_SK_JS6_EEE10hipError_tPvRmT3_T4_T5_T6_T7_T9_mT8_P12ihipStream_tbDpT10_ENKUlT_T0_E_clISt17integral_constantIbLb1EES15_IbLb0EEEEDaS11_S12_EUlS11_E_NS1_11comp_targetILNS1_3genE0ELNS1_11target_archE4294967295ELNS1_3gpuE0ELNS1_3repE0EEENS1_30default_config_static_selectorELNS0_4arch9wavefront6targetE1EEEvT1_, .Lfunc_end337-_ZN7rocprim17ROCPRIM_400000_NS6detail17trampoline_kernelINS0_14default_configENS1_25partition_config_selectorILNS1_17partition_subalgoE5ElNS0_10empty_typeEbEEZZNS1_14partition_implILS5_5ELb0ES3_mN6hipcub16HIPCUB_304000_NS21CountingInputIteratorIllEEPS6_NSA_22TransformInputIteratorIb7NonZeroIdEPdlEENS0_5tupleIJPlS6_EEENSJ_IJSD_SD_EEES6_SK_JS6_EEE10hipError_tPvRmT3_T4_T5_T6_T7_T9_mT8_P12ihipStream_tbDpT10_ENKUlT_T0_E_clISt17integral_constantIbLb1EES15_IbLb0EEEEDaS11_S12_EUlS11_E_NS1_11comp_targetILNS1_3genE0ELNS1_11target_archE4294967295ELNS1_3gpuE0ELNS1_3repE0EEENS1_30default_config_static_selectorELNS0_4arch9wavefront6targetE1EEEvT1_
                                        ; -- End function
	.set _ZN7rocprim17ROCPRIM_400000_NS6detail17trampoline_kernelINS0_14default_configENS1_25partition_config_selectorILNS1_17partition_subalgoE5ElNS0_10empty_typeEbEEZZNS1_14partition_implILS5_5ELb0ES3_mN6hipcub16HIPCUB_304000_NS21CountingInputIteratorIllEEPS6_NSA_22TransformInputIteratorIb7NonZeroIdEPdlEENS0_5tupleIJPlS6_EEENSJ_IJSD_SD_EEES6_SK_JS6_EEE10hipError_tPvRmT3_T4_T5_T6_T7_T9_mT8_P12ihipStream_tbDpT10_ENKUlT_T0_E_clISt17integral_constantIbLb1EES15_IbLb0EEEEDaS11_S12_EUlS11_E_NS1_11comp_targetILNS1_3genE0ELNS1_11target_archE4294967295ELNS1_3gpuE0ELNS1_3repE0EEENS1_30default_config_static_selectorELNS0_4arch9wavefront6targetE1EEEvT1_.num_vgpr, 0
	.set _ZN7rocprim17ROCPRIM_400000_NS6detail17trampoline_kernelINS0_14default_configENS1_25partition_config_selectorILNS1_17partition_subalgoE5ElNS0_10empty_typeEbEEZZNS1_14partition_implILS5_5ELb0ES3_mN6hipcub16HIPCUB_304000_NS21CountingInputIteratorIllEEPS6_NSA_22TransformInputIteratorIb7NonZeroIdEPdlEENS0_5tupleIJPlS6_EEENSJ_IJSD_SD_EEES6_SK_JS6_EEE10hipError_tPvRmT3_T4_T5_T6_T7_T9_mT8_P12ihipStream_tbDpT10_ENKUlT_T0_E_clISt17integral_constantIbLb1EES15_IbLb0EEEEDaS11_S12_EUlS11_E_NS1_11comp_targetILNS1_3genE0ELNS1_11target_archE4294967295ELNS1_3gpuE0ELNS1_3repE0EEENS1_30default_config_static_selectorELNS0_4arch9wavefront6targetE1EEEvT1_.num_agpr, 0
	.set _ZN7rocprim17ROCPRIM_400000_NS6detail17trampoline_kernelINS0_14default_configENS1_25partition_config_selectorILNS1_17partition_subalgoE5ElNS0_10empty_typeEbEEZZNS1_14partition_implILS5_5ELb0ES3_mN6hipcub16HIPCUB_304000_NS21CountingInputIteratorIllEEPS6_NSA_22TransformInputIteratorIb7NonZeroIdEPdlEENS0_5tupleIJPlS6_EEENSJ_IJSD_SD_EEES6_SK_JS6_EEE10hipError_tPvRmT3_T4_T5_T6_T7_T9_mT8_P12ihipStream_tbDpT10_ENKUlT_T0_E_clISt17integral_constantIbLb1EES15_IbLb0EEEEDaS11_S12_EUlS11_E_NS1_11comp_targetILNS1_3genE0ELNS1_11target_archE4294967295ELNS1_3gpuE0ELNS1_3repE0EEENS1_30default_config_static_selectorELNS0_4arch9wavefront6targetE1EEEvT1_.numbered_sgpr, 0
	.set _ZN7rocprim17ROCPRIM_400000_NS6detail17trampoline_kernelINS0_14default_configENS1_25partition_config_selectorILNS1_17partition_subalgoE5ElNS0_10empty_typeEbEEZZNS1_14partition_implILS5_5ELb0ES3_mN6hipcub16HIPCUB_304000_NS21CountingInputIteratorIllEEPS6_NSA_22TransformInputIteratorIb7NonZeroIdEPdlEENS0_5tupleIJPlS6_EEENSJ_IJSD_SD_EEES6_SK_JS6_EEE10hipError_tPvRmT3_T4_T5_T6_T7_T9_mT8_P12ihipStream_tbDpT10_ENKUlT_T0_E_clISt17integral_constantIbLb1EES15_IbLb0EEEEDaS11_S12_EUlS11_E_NS1_11comp_targetILNS1_3genE0ELNS1_11target_archE4294967295ELNS1_3gpuE0ELNS1_3repE0EEENS1_30default_config_static_selectorELNS0_4arch9wavefront6targetE1EEEvT1_.num_named_barrier, 0
	.set _ZN7rocprim17ROCPRIM_400000_NS6detail17trampoline_kernelINS0_14default_configENS1_25partition_config_selectorILNS1_17partition_subalgoE5ElNS0_10empty_typeEbEEZZNS1_14partition_implILS5_5ELb0ES3_mN6hipcub16HIPCUB_304000_NS21CountingInputIteratorIllEEPS6_NSA_22TransformInputIteratorIb7NonZeroIdEPdlEENS0_5tupleIJPlS6_EEENSJ_IJSD_SD_EEES6_SK_JS6_EEE10hipError_tPvRmT3_T4_T5_T6_T7_T9_mT8_P12ihipStream_tbDpT10_ENKUlT_T0_E_clISt17integral_constantIbLb1EES15_IbLb0EEEEDaS11_S12_EUlS11_E_NS1_11comp_targetILNS1_3genE0ELNS1_11target_archE4294967295ELNS1_3gpuE0ELNS1_3repE0EEENS1_30default_config_static_selectorELNS0_4arch9wavefront6targetE1EEEvT1_.private_seg_size, 0
	.set _ZN7rocprim17ROCPRIM_400000_NS6detail17trampoline_kernelINS0_14default_configENS1_25partition_config_selectorILNS1_17partition_subalgoE5ElNS0_10empty_typeEbEEZZNS1_14partition_implILS5_5ELb0ES3_mN6hipcub16HIPCUB_304000_NS21CountingInputIteratorIllEEPS6_NSA_22TransformInputIteratorIb7NonZeroIdEPdlEENS0_5tupleIJPlS6_EEENSJ_IJSD_SD_EEES6_SK_JS6_EEE10hipError_tPvRmT3_T4_T5_T6_T7_T9_mT8_P12ihipStream_tbDpT10_ENKUlT_T0_E_clISt17integral_constantIbLb1EES15_IbLb0EEEEDaS11_S12_EUlS11_E_NS1_11comp_targetILNS1_3genE0ELNS1_11target_archE4294967295ELNS1_3gpuE0ELNS1_3repE0EEENS1_30default_config_static_selectorELNS0_4arch9wavefront6targetE1EEEvT1_.uses_vcc, 0
	.set _ZN7rocprim17ROCPRIM_400000_NS6detail17trampoline_kernelINS0_14default_configENS1_25partition_config_selectorILNS1_17partition_subalgoE5ElNS0_10empty_typeEbEEZZNS1_14partition_implILS5_5ELb0ES3_mN6hipcub16HIPCUB_304000_NS21CountingInputIteratorIllEEPS6_NSA_22TransformInputIteratorIb7NonZeroIdEPdlEENS0_5tupleIJPlS6_EEENSJ_IJSD_SD_EEES6_SK_JS6_EEE10hipError_tPvRmT3_T4_T5_T6_T7_T9_mT8_P12ihipStream_tbDpT10_ENKUlT_T0_E_clISt17integral_constantIbLb1EES15_IbLb0EEEEDaS11_S12_EUlS11_E_NS1_11comp_targetILNS1_3genE0ELNS1_11target_archE4294967295ELNS1_3gpuE0ELNS1_3repE0EEENS1_30default_config_static_selectorELNS0_4arch9wavefront6targetE1EEEvT1_.uses_flat_scratch, 0
	.set _ZN7rocprim17ROCPRIM_400000_NS6detail17trampoline_kernelINS0_14default_configENS1_25partition_config_selectorILNS1_17partition_subalgoE5ElNS0_10empty_typeEbEEZZNS1_14partition_implILS5_5ELb0ES3_mN6hipcub16HIPCUB_304000_NS21CountingInputIteratorIllEEPS6_NSA_22TransformInputIteratorIb7NonZeroIdEPdlEENS0_5tupleIJPlS6_EEENSJ_IJSD_SD_EEES6_SK_JS6_EEE10hipError_tPvRmT3_T4_T5_T6_T7_T9_mT8_P12ihipStream_tbDpT10_ENKUlT_T0_E_clISt17integral_constantIbLb1EES15_IbLb0EEEEDaS11_S12_EUlS11_E_NS1_11comp_targetILNS1_3genE0ELNS1_11target_archE4294967295ELNS1_3gpuE0ELNS1_3repE0EEENS1_30default_config_static_selectorELNS0_4arch9wavefront6targetE1EEEvT1_.has_dyn_sized_stack, 0
	.set _ZN7rocprim17ROCPRIM_400000_NS6detail17trampoline_kernelINS0_14default_configENS1_25partition_config_selectorILNS1_17partition_subalgoE5ElNS0_10empty_typeEbEEZZNS1_14partition_implILS5_5ELb0ES3_mN6hipcub16HIPCUB_304000_NS21CountingInputIteratorIllEEPS6_NSA_22TransformInputIteratorIb7NonZeroIdEPdlEENS0_5tupleIJPlS6_EEENSJ_IJSD_SD_EEES6_SK_JS6_EEE10hipError_tPvRmT3_T4_T5_T6_T7_T9_mT8_P12ihipStream_tbDpT10_ENKUlT_T0_E_clISt17integral_constantIbLb1EES15_IbLb0EEEEDaS11_S12_EUlS11_E_NS1_11comp_targetILNS1_3genE0ELNS1_11target_archE4294967295ELNS1_3gpuE0ELNS1_3repE0EEENS1_30default_config_static_selectorELNS0_4arch9wavefront6targetE1EEEvT1_.has_recursion, 0
	.set _ZN7rocprim17ROCPRIM_400000_NS6detail17trampoline_kernelINS0_14default_configENS1_25partition_config_selectorILNS1_17partition_subalgoE5ElNS0_10empty_typeEbEEZZNS1_14partition_implILS5_5ELb0ES3_mN6hipcub16HIPCUB_304000_NS21CountingInputIteratorIllEEPS6_NSA_22TransformInputIteratorIb7NonZeroIdEPdlEENS0_5tupleIJPlS6_EEENSJ_IJSD_SD_EEES6_SK_JS6_EEE10hipError_tPvRmT3_T4_T5_T6_T7_T9_mT8_P12ihipStream_tbDpT10_ENKUlT_T0_E_clISt17integral_constantIbLb1EES15_IbLb0EEEEDaS11_S12_EUlS11_E_NS1_11comp_targetILNS1_3genE0ELNS1_11target_archE4294967295ELNS1_3gpuE0ELNS1_3repE0EEENS1_30default_config_static_selectorELNS0_4arch9wavefront6targetE1EEEvT1_.has_indirect_call, 0
	.section	.AMDGPU.csdata,"",@progbits
; Kernel info:
; codeLenInByte = 0
; TotalNumSgprs: 4
; NumVgprs: 0
; ScratchSize: 0
; MemoryBound: 0
; FloatMode: 240
; IeeeMode: 1
; LDSByteSize: 0 bytes/workgroup (compile time only)
; SGPRBlocks: 0
; VGPRBlocks: 0
; NumSGPRsForWavesPerEU: 4
; NumVGPRsForWavesPerEU: 1
; Occupancy: 10
; WaveLimiterHint : 0
; COMPUTE_PGM_RSRC2:SCRATCH_EN: 0
; COMPUTE_PGM_RSRC2:USER_SGPR: 6
; COMPUTE_PGM_RSRC2:TRAP_HANDLER: 0
; COMPUTE_PGM_RSRC2:TGID_X_EN: 1
; COMPUTE_PGM_RSRC2:TGID_Y_EN: 0
; COMPUTE_PGM_RSRC2:TGID_Z_EN: 0
; COMPUTE_PGM_RSRC2:TIDIG_COMP_CNT: 0
	.section	.text._ZN7rocprim17ROCPRIM_400000_NS6detail17trampoline_kernelINS0_14default_configENS1_25partition_config_selectorILNS1_17partition_subalgoE5ElNS0_10empty_typeEbEEZZNS1_14partition_implILS5_5ELb0ES3_mN6hipcub16HIPCUB_304000_NS21CountingInputIteratorIllEEPS6_NSA_22TransformInputIteratorIb7NonZeroIdEPdlEENS0_5tupleIJPlS6_EEENSJ_IJSD_SD_EEES6_SK_JS6_EEE10hipError_tPvRmT3_T4_T5_T6_T7_T9_mT8_P12ihipStream_tbDpT10_ENKUlT_T0_E_clISt17integral_constantIbLb1EES15_IbLb0EEEEDaS11_S12_EUlS11_E_NS1_11comp_targetILNS1_3genE5ELNS1_11target_archE942ELNS1_3gpuE9ELNS1_3repE0EEENS1_30default_config_static_selectorELNS0_4arch9wavefront6targetE1EEEvT1_,"axG",@progbits,_ZN7rocprim17ROCPRIM_400000_NS6detail17trampoline_kernelINS0_14default_configENS1_25partition_config_selectorILNS1_17partition_subalgoE5ElNS0_10empty_typeEbEEZZNS1_14partition_implILS5_5ELb0ES3_mN6hipcub16HIPCUB_304000_NS21CountingInputIteratorIllEEPS6_NSA_22TransformInputIteratorIb7NonZeroIdEPdlEENS0_5tupleIJPlS6_EEENSJ_IJSD_SD_EEES6_SK_JS6_EEE10hipError_tPvRmT3_T4_T5_T6_T7_T9_mT8_P12ihipStream_tbDpT10_ENKUlT_T0_E_clISt17integral_constantIbLb1EES15_IbLb0EEEEDaS11_S12_EUlS11_E_NS1_11comp_targetILNS1_3genE5ELNS1_11target_archE942ELNS1_3gpuE9ELNS1_3repE0EEENS1_30default_config_static_selectorELNS0_4arch9wavefront6targetE1EEEvT1_,comdat
	.protected	_ZN7rocprim17ROCPRIM_400000_NS6detail17trampoline_kernelINS0_14default_configENS1_25partition_config_selectorILNS1_17partition_subalgoE5ElNS0_10empty_typeEbEEZZNS1_14partition_implILS5_5ELb0ES3_mN6hipcub16HIPCUB_304000_NS21CountingInputIteratorIllEEPS6_NSA_22TransformInputIteratorIb7NonZeroIdEPdlEENS0_5tupleIJPlS6_EEENSJ_IJSD_SD_EEES6_SK_JS6_EEE10hipError_tPvRmT3_T4_T5_T6_T7_T9_mT8_P12ihipStream_tbDpT10_ENKUlT_T0_E_clISt17integral_constantIbLb1EES15_IbLb0EEEEDaS11_S12_EUlS11_E_NS1_11comp_targetILNS1_3genE5ELNS1_11target_archE942ELNS1_3gpuE9ELNS1_3repE0EEENS1_30default_config_static_selectorELNS0_4arch9wavefront6targetE1EEEvT1_ ; -- Begin function _ZN7rocprim17ROCPRIM_400000_NS6detail17trampoline_kernelINS0_14default_configENS1_25partition_config_selectorILNS1_17partition_subalgoE5ElNS0_10empty_typeEbEEZZNS1_14partition_implILS5_5ELb0ES3_mN6hipcub16HIPCUB_304000_NS21CountingInputIteratorIllEEPS6_NSA_22TransformInputIteratorIb7NonZeroIdEPdlEENS0_5tupleIJPlS6_EEENSJ_IJSD_SD_EEES6_SK_JS6_EEE10hipError_tPvRmT3_T4_T5_T6_T7_T9_mT8_P12ihipStream_tbDpT10_ENKUlT_T0_E_clISt17integral_constantIbLb1EES15_IbLb0EEEEDaS11_S12_EUlS11_E_NS1_11comp_targetILNS1_3genE5ELNS1_11target_archE942ELNS1_3gpuE9ELNS1_3repE0EEENS1_30default_config_static_selectorELNS0_4arch9wavefront6targetE1EEEvT1_
	.globl	_ZN7rocprim17ROCPRIM_400000_NS6detail17trampoline_kernelINS0_14default_configENS1_25partition_config_selectorILNS1_17partition_subalgoE5ElNS0_10empty_typeEbEEZZNS1_14partition_implILS5_5ELb0ES3_mN6hipcub16HIPCUB_304000_NS21CountingInputIteratorIllEEPS6_NSA_22TransformInputIteratorIb7NonZeroIdEPdlEENS0_5tupleIJPlS6_EEENSJ_IJSD_SD_EEES6_SK_JS6_EEE10hipError_tPvRmT3_T4_T5_T6_T7_T9_mT8_P12ihipStream_tbDpT10_ENKUlT_T0_E_clISt17integral_constantIbLb1EES15_IbLb0EEEEDaS11_S12_EUlS11_E_NS1_11comp_targetILNS1_3genE5ELNS1_11target_archE942ELNS1_3gpuE9ELNS1_3repE0EEENS1_30default_config_static_selectorELNS0_4arch9wavefront6targetE1EEEvT1_
	.p2align	8
	.type	_ZN7rocprim17ROCPRIM_400000_NS6detail17trampoline_kernelINS0_14default_configENS1_25partition_config_selectorILNS1_17partition_subalgoE5ElNS0_10empty_typeEbEEZZNS1_14partition_implILS5_5ELb0ES3_mN6hipcub16HIPCUB_304000_NS21CountingInputIteratorIllEEPS6_NSA_22TransformInputIteratorIb7NonZeroIdEPdlEENS0_5tupleIJPlS6_EEENSJ_IJSD_SD_EEES6_SK_JS6_EEE10hipError_tPvRmT3_T4_T5_T6_T7_T9_mT8_P12ihipStream_tbDpT10_ENKUlT_T0_E_clISt17integral_constantIbLb1EES15_IbLb0EEEEDaS11_S12_EUlS11_E_NS1_11comp_targetILNS1_3genE5ELNS1_11target_archE942ELNS1_3gpuE9ELNS1_3repE0EEENS1_30default_config_static_selectorELNS0_4arch9wavefront6targetE1EEEvT1_,@function
_ZN7rocprim17ROCPRIM_400000_NS6detail17trampoline_kernelINS0_14default_configENS1_25partition_config_selectorILNS1_17partition_subalgoE5ElNS0_10empty_typeEbEEZZNS1_14partition_implILS5_5ELb0ES3_mN6hipcub16HIPCUB_304000_NS21CountingInputIteratorIllEEPS6_NSA_22TransformInputIteratorIb7NonZeroIdEPdlEENS0_5tupleIJPlS6_EEENSJ_IJSD_SD_EEES6_SK_JS6_EEE10hipError_tPvRmT3_T4_T5_T6_T7_T9_mT8_P12ihipStream_tbDpT10_ENKUlT_T0_E_clISt17integral_constantIbLb1EES15_IbLb0EEEEDaS11_S12_EUlS11_E_NS1_11comp_targetILNS1_3genE5ELNS1_11target_archE942ELNS1_3gpuE9ELNS1_3repE0EEENS1_30default_config_static_selectorELNS0_4arch9wavefront6targetE1EEEvT1_: ; @_ZN7rocprim17ROCPRIM_400000_NS6detail17trampoline_kernelINS0_14default_configENS1_25partition_config_selectorILNS1_17partition_subalgoE5ElNS0_10empty_typeEbEEZZNS1_14partition_implILS5_5ELb0ES3_mN6hipcub16HIPCUB_304000_NS21CountingInputIteratorIllEEPS6_NSA_22TransformInputIteratorIb7NonZeroIdEPdlEENS0_5tupleIJPlS6_EEENSJ_IJSD_SD_EEES6_SK_JS6_EEE10hipError_tPvRmT3_T4_T5_T6_T7_T9_mT8_P12ihipStream_tbDpT10_ENKUlT_T0_E_clISt17integral_constantIbLb1EES15_IbLb0EEEEDaS11_S12_EUlS11_E_NS1_11comp_targetILNS1_3genE5ELNS1_11target_archE942ELNS1_3gpuE9ELNS1_3repE0EEENS1_30default_config_static_selectorELNS0_4arch9wavefront6targetE1EEEvT1_
; %bb.0:
	.section	.rodata,"a",@progbits
	.p2align	6, 0x0
	.amdhsa_kernel _ZN7rocprim17ROCPRIM_400000_NS6detail17trampoline_kernelINS0_14default_configENS1_25partition_config_selectorILNS1_17partition_subalgoE5ElNS0_10empty_typeEbEEZZNS1_14partition_implILS5_5ELb0ES3_mN6hipcub16HIPCUB_304000_NS21CountingInputIteratorIllEEPS6_NSA_22TransformInputIteratorIb7NonZeroIdEPdlEENS0_5tupleIJPlS6_EEENSJ_IJSD_SD_EEES6_SK_JS6_EEE10hipError_tPvRmT3_T4_T5_T6_T7_T9_mT8_P12ihipStream_tbDpT10_ENKUlT_T0_E_clISt17integral_constantIbLb1EES15_IbLb0EEEEDaS11_S12_EUlS11_E_NS1_11comp_targetILNS1_3genE5ELNS1_11target_archE942ELNS1_3gpuE9ELNS1_3repE0EEENS1_30default_config_static_selectorELNS0_4arch9wavefront6targetE1EEEvT1_
		.amdhsa_group_segment_fixed_size 0
		.amdhsa_private_segment_fixed_size 0
		.amdhsa_kernarg_size 120
		.amdhsa_user_sgpr_count 6
		.amdhsa_user_sgpr_private_segment_buffer 1
		.amdhsa_user_sgpr_dispatch_ptr 0
		.amdhsa_user_sgpr_queue_ptr 0
		.amdhsa_user_sgpr_kernarg_segment_ptr 1
		.amdhsa_user_sgpr_dispatch_id 0
		.amdhsa_user_sgpr_flat_scratch_init 0
		.amdhsa_user_sgpr_private_segment_size 0
		.amdhsa_uses_dynamic_stack 0
		.amdhsa_system_sgpr_private_segment_wavefront_offset 0
		.amdhsa_system_sgpr_workgroup_id_x 1
		.amdhsa_system_sgpr_workgroup_id_y 0
		.amdhsa_system_sgpr_workgroup_id_z 0
		.amdhsa_system_sgpr_workgroup_info 0
		.amdhsa_system_vgpr_workitem_id 0
		.amdhsa_next_free_vgpr 1
		.amdhsa_next_free_sgpr 0
		.amdhsa_reserve_vcc 0
		.amdhsa_reserve_flat_scratch 0
		.amdhsa_float_round_mode_32 0
		.amdhsa_float_round_mode_16_64 0
		.amdhsa_float_denorm_mode_32 3
		.amdhsa_float_denorm_mode_16_64 3
		.amdhsa_dx10_clamp 1
		.amdhsa_ieee_mode 1
		.amdhsa_fp16_overflow 0
		.amdhsa_exception_fp_ieee_invalid_op 0
		.amdhsa_exception_fp_denorm_src 0
		.amdhsa_exception_fp_ieee_div_zero 0
		.amdhsa_exception_fp_ieee_overflow 0
		.amdhsa_exception_fp_ieee_underflow 0
		.amdhsa_exception_fp_ieee_inexact 0
		.amdhsa_exception_int_div_zero 0
	.end_amdhsa_kernel
	.section	.text._ZN7rocprim17ROCPRIM_400000_NS6detail17trampoline_kernelINS0_14default_configENS1_25partition_config_selectorILNS1_17partition_subalgoE5ElNS0_10empty_typeEbEEZZNS1_14partition_implILS5_5ELb0ES3_mN6hipcub16HIPCUB_304000_NS21CountingInputIteratorIllEEPS6_NSA_22TransformInputIteratorIb7NonZeroIdEPdlEENS0_5tupleIJPlS6_EEENSJ_IJSD_SD_EEES6_SK_JS6_EEE10hipError_tPvRmT3_T4_T5_T6_T7_T9_mT8_P12ihipStream_tbDpT10_ENKUlT_T0_E_clISt17integral_constantIbLb1EES15_IbLb0EEEEDaS11_S12_EUlS11_E_NS1_11comp_targetILNS1_3genE5ELNS1_11target_archE942ELNS1_3gpuE9ELNS1_3repE0EEENS1_30default_config_static_selectorELNS0_4arch9wavefront6targetE1EEEvT1_,"axG",@progbits,_ZN7rocprim17ROCPRIM_400000_NS6detail17trampoline_kernelINS0_14default_configENS1_25partition_config_selectorILNS1_17partition_subalgoE5ElNS0_10empty_typeEbEEZZNS1_14partition_implILS5_5ELb0ES3_mN6hipcub16HIPCUB_304000_NS21CountingInputIteratorIllEEPS6_NSA_22TransformInputIteratorIb7NonZeroIdEPdlEENS0_5tupleIJPlS6_EEENSJ_IJSD_SD_EEES6_SK_JS6_EEE10hipError_tPvRmT3_T4_T5_T6_T7_T9_mT8_P12ihipStream_tbDpT10_ENKUlT_T0_E_clISt17integral_constantIbLb1EES15_IbLb0EEEEDaS11_S12_EUlS11_E_NS1_11comp_targetILNS1_3genE5ELNS1_11target_archE942ELNS1_3gpuE9ELNS1_3repE0EEENS1_30default_config_static_selectorELNS0_4arch9wavefront6targetE1EEEvT1_,comdat
.Lfunc_end338:
	.size	_ZN7rocprim17ROCPRIM_400000_NS6detail17trampoline_kernelINS0_14default_configENS1_25partition_config_selectorILNS1_17partition_subalgoE5ElNS0_10empty_typeEbEEZZNS1_14partition_implILS5_5ELb0ES3_mN6hipcub16HIPCUB_304000_NS21CountingInputIteratorIllEEPS6_NSA_22TransformInputIteratorIb7NonZeroIdEPdlEENS0_5tupleIJPlS6_EEENSJ_IJSD_SD_EEES6_SK_JS6_EEE10hipError_tPvRmT3_T4_T5_T6_T7_T9_mT8_P12ihipStream_tbDpT10_ENKUlT_T0_E_clISt17integral_constantIbLb1EES15_IbLb0EEEEDaS11_S12_EUlS11_E_NS1_11comp_targetILNS1_3genE5ELNS1_11target_archE942ELNS1_3gpuE9ELNS1_3repE0EEENS1_30default_config_static_selectorELNS0_4arch9wavefront6targetE1EEEvT1_, .Lfunc_end338-_ZN7rocprim17ROCPRIM_400000_NS6detail17trampoline_kernelINS0_14default_configENS1_25partition_config_selectorILNS1_17partition_subalgoE5ElNS0_10empty_typeEbEEZZNS1_14partition_implILS5_5ELb0ES3_mN6hipcub16HIPCUB_304000_NS21CountingInputIteratorIllEEPS6_NSA_22TransformInputIteratorIb7NonZeroIdEPdlEENS0_5tupleIJPlS6_EEENSJ_IJSD_SD_EEES6_SK_JS6_EEE10hipError_tPvRmT3_T4_T5_T6_T7_T9_mT8_P12ihipStream_tbDpT10_ENKUlT_T0_E_clISt17integral_constantIbLb1EES15_IbLb0EEEEDaS11_S12_EUlS11_E_NS1_11comp_targetILNS1_3genE5ELNS1_11target_archE942ELNS1_3gpuE9ELNS1_3repE0EEENS1_30default_config_static_selectorELNS0_4arch9wavefront6targetE1EEEvT1_
                                        ; -- End function
	.set _ZN7rocprim17ROCPRIM_400000_NS6detail17trampoline_kernelINS0_14default_configENS1_25partition_config_selectorILNS1_17partition_subalgoE5ElNS0_10empty_typeEbEEZZNS1_14partition_implILS5_5ELb0ES3_mN6hipcub16HIPCUB_304000_NS21CountingInputIteratorIllEEPS6_NSA_22TransformInputIteratorIb7NonZeroIdEPdlEENS0_5tupleIJPlS6_EEENSJ_IJSD_SD_EEES6_SK_JS6_EEE10hipError_tPvRmT3_T4_T5_T6_T7_T9_mT8_P12ihipStream_tbDpT10_ENKUlT_T0_E_clISt17integral_constantIbLb1EES15_IbLb0EEEEDaS11_S12_EUlS11_E_NS1_11comp_targetILNS1_3genE5ELNS1_11target_archE942ELNS1_3gpuE9ELNS1_3repE0EEENS1_30default_config_static_selectorELNS0_4arch9wavefront6targetE1EEEvT1_.num_vgpr, 0
	.set _ZN7rocprim17ROCPRIM_400000_NS6detail17trampoline_kernelINS0_14default_configENS1_25partition_config_selectorILNS1_17partition_subalgoE5ElNS0_10empty_typeEbEEZZNS1_14partition_implILS5_5ELb0ES3_mN6hipcub16HIPCUB_304000_NS21CountingInputIteratorIllEEPS6_NSA_22TransformInputIteratorIb7NonZeroIdEPdlEENS0_5tupleIJPlS6_EEENSJ_IJSD_SD_EEES6_SK_JS6_EEE10hipError_tPvRmT3_T4_T5_T6_T7_T9_mT8_P12ihipStream_tbDpT10_ENKUlT_T0_E_clISt17integral_constantIbLb1EES15_IbLb0EEEEDaS11_S12_EUlS11_E_NS1_11comp_targetILNS1_3genE5ELNS1_11target_archE942ELNS1_3gpuE9ELNS1_3repE0EEENS1_30default_config_static_selectorELNS0_4arch9wavefront6targetE1EEEvT1_.num_agpr, 0
	.set _ZN7rocprim17ROCPRIM_400000_NS6detail17trampoline_kernelINS0_14default_configENS1_25partition_config_selectorILNS1_17partition_subalgoE5ElNS0_10empty_typeEbEEZZNS1_14partition_implILS5_5ELb0ES3_mN6hipcub16HIPCUB_304000_NS21CountingInputIteratorIllEEPS6_NSA_22TransformInputIteratorIb7NonZeroIdEPdlEENS0_5tupleIJPlS6_EEENSJ_IJSD_SD_EEES6_SK_JS6_EEE10hipError_tPvRmT3_T4_T5_T6_T7_T9_mT8_P12ihipStream_tbDpT10_ENKUlT_T0_E_clISt17integral_constantIbLb1EES15_IbLb0EEEEDaS11_S12_EUlS11_E_NS1_11comp_targetILNS1_3genE5ELNS1_11target_archE942ELNS1_3gpuE9ELNS1_3repE0EEENS1_30default_config_static_selectorELNS0_4arch9wavefront6targetE1EEEvT1_.numbered_sgpr, 0
	.set _ZN7rocprim17ROCPRIM_400000_NS6detail17trampoline_kernelINS0_14default_configENS1_25partition_config_selectorILNS1_17partition_subalgoE5ElNS0_10empty_typeEbEEZZNS1_14partition_implILS5_5ELb0ES3_mN6hipcub16HIPCUB_304000_NS21CountingInputIteratorIllEEPS6_NSA_22TransformInputIteratorIb7NonZeroIdEPdlEENS0_5tupleIJPlS6_EEENSJ_IJSD_SD_EEES6_SK_JS6_EEE10hipError_tPvRmT3_T4_T5_T6_T7_T9_mT8_P12ihipStream_tbDpT10_ENKUlT_T0_E_clISt17integral_constantIbLb1EES15_IbLb0EEEEDaS11_S12_EUlS11_E_NS1_11comp_targetILNS1_3genE5ELNS1_11target_archE942ELNS1_3gpuE9ELNS1_3repE0EEENS1_30default_config_static_selectorELNS0_4arch9wavefront6targetE1EEEvT1_.num_named_barrier, 0
	.set _ZN7rocprim17ROCPRIM_400000_NS6detail17trampoline_kernelINS0_14default_configENS1_25partition_config_selectorILNS1_17partition_subalgoE5ElNS0_10empty_typeEbEEZZNS1_14partition_implILS5_5ELb0ES3_mN6hipcub16HIPCUB_304000_NS21CountingInputIteratorIllEEPS6_NSA_22TransformInputIteratorIb7NonZeroIdEPdlEENS0_5tupleIJPlS6_EEENSJ_IJSD_SD_EEES6_SK_JS6_EEE10hipError_tPvRmT3_T4_T5_T6_T7_T9_mT8_P12ihipStream_tbDpT10_ENKUlT_T0_E_clISt17integral_constantIbLb1EES15_IbLb0EEEEDaS11_S12_EUlS11_E_NS1_11comp_targetILNS1_3genE5ELNS1_11target_archE942ELNS1_3gpuE9ELNS1_3repE0EEENS1_30default_config_static_selectorELNS0_4arch9wavefront6targetE1EEEvT1_.private_seg_size, 0
	.set _ZN7rocprim17ROCPRIM_400000_NS6detail17trampoline_kernelINS0_14default_configENS1_25partition_config_selectorILNS1_17partition_subalgoE5ElNS0_10empty_typeEbEEZZNS1_14partition_implILS5_5ELb0ES3_mN6hipcub16HIPCUB_304000_NS21CountingInputIteratorIllEEPS6_NSA_22TransformInputIteratorIb7NonZeroIdEPdlEENS0_5tupleIJPlS6_EEENSJ_IJSD_SD_EEES6_SK_JS6_EEE10hipError_tPvRmT3_T4_T5_T6_T7_T9_mT8_P12ihipStream_tbDpT10_ENKUlT_T0_E_clISt17integral_constantIbLb1EES15_IbLb0EEEEDaS11_S12_EUlS11_E_NS1_11comp_targetILNS1_3genE5ELNS1_11target_archE942ELNS1_3gpuE9ELNS1_3repE0EEENS1_30default_config_static_selectorELNS0_4arch9wavefront6targetE1EEEvT1_.uses_vcc, 0
	.set _ZN7rocprim17ROCPRIM_400000_NS6detail17trampoline_kernelINS0_14default_configENS1_25partition_config_selectorILNS1_17partition_subalgoE5ElNS0_10empty_typeEbEEZZNS1_14partition_implILS5_5ELb0ES3_mN6hipcub16HIPCUB_304000_NS21CountingInputIteratorIllEEPS6_NSA_22TransformInputIteratorIb7NonZeroIdEPdlEENS0_5tupleIJPlS6_EEENSJ_IJSD_SD_EEES6_SK_JS6_EEE10hipError_tPvRmT3_T4_T5_T6_T7_T9_mT8_P12ihipStream_tbDpT10_ENKUlT_T0_E_clISt17integral_constantIbLb1EES15_IbLb0EEEEDaS11_S12_EUlS11_E_NS1_11comp_targetILNS1_3genE5ELNS1_11target_archE942ELNS1_3gpuE9ELNS1_3repE0EEENS1_30default_config_static_selectorELNS0_4arch9wavefront6targetE1EEEvT1_.uses_flat_scratch, 0
	.set _ZN7rocprim17ROCPRIM_400000_NS6detail17trampoline_kernelINS0_14default_configENS1_25partition_config_selectorILNS1_17partition_subalgoE5ElNS0_10empty_typeEbEEZZNS1_14partition_implILS5_5ELb0ES3_mN6hipcub16HIPCUB_304000_NS21CountingInputIteratorIllEEPS6_NSA_22TransformInputIteratorIb7NonZeroIdEPdlEENS0_5tupleIJPlS6_EEENSJ_IJSD_SD_EEES6_SK_JS6_EEE10hipError_tPvRmT3_T4_T5_T6_T7_T9_mT8_P12ihipStream_tbDpT10_ENKUlT_T0_E_clISt17integral_constantIbLb1EES15_IbLb0EEEEDaS11_S12_EUlS11_E_NS1_11comp_targetILNS1_3genE5ELNS1_11target_archE942ELNS1_3gpuE9ELNS1_3repE0EEENS1_30default_config_static_selectorELNS0_4arch9wavefront6targetE1EEEvT1_.has_dyn_sized_stack, 0
	.set _ZN7rocprim17ROCPRIM_400000_NS6detail17trampoline_kernelINS0_14default_configENS1_25partition_config_selectorILNS1_17partition_subalgoE5ElNS0_10empty_typeEbEEZZNS1_14partition_implILS5_5ELb0ES3_mN6hipcub16HIPCUB_304000_NS21CountingInputIteratorIllEEPS6_NSA_22TransformInputIteratorIb7NonZeroIdEPdlEENS0_5tupleIJPlS6_EEENSJ_IJSD_SD_EEES6_SK_JS6_EEE10hipError_tPvRmT3_T4_T5_T6_T7_T9_mT8_P12ihipStream_tbDpT10_ENKUlT_T0_E_clISt17integral_constantIbLb1EES15_IbLb0EEEEDaS11_S12_EUlS11_E_NS1_11comp_targetILNS1_3genE5ELNS1_11target_archE942ELNS1_3gpuE9ELNS1_3repE0EEENS1_30default_config_static_selectorELNS0_4arch9wavefront6targetE1EEEvT1_.has_recursion, 0
	.set _ZN7rocprim17ROCPRIM_400000_NS6detail17trampoline_kernelINS0_14default_configENS1_25partition_config_selectorILNS1_17partition_subalgoE5ElNS0_10empty_typeEbEEZZNS1_14partition_implILS5_5ELb0ES3_mN6hipcub16HIPCUB_304000_NS21CountingInputIteratorIllEEPS6_NSA_22TransformInputIteratorIb7NonZeroIdEPdlEENS0_5tupleIJPlS6_EEENSJ_IJSD_SD_EEES6_SK_JS6_EEE10hipError_tPvRmT3_T4_T5_T6_T7_T9_mT8_P12ihipStream_tbDpT10_ENKUlT_T0_E_clISt17integral_constantIbLb1EES15_IbLb0EEEEDaS11_S12_EUlS11_E_NS1_11comp_targetILNS1_3genE5ELNS1_11target_archE942ELNS1_3gpuE9ELNS1_3repE0EEENS1_30default_config_static_selectorELNS0_4arch9wavefront6targetE1EEEvT1_.has_indirect_call, 0
	.section	.AMDGPU.csdata,"",@progbits
; Kernel info:
; codeLenInByte = 0
; TotalNumSgprs: 4
; NumVgprs: 0
; ScratchSize: 0
; MemoryBound: 0
; FloatMode: 240
; IeeeMode: 1
; LDSByteSize: 0 bytes/workgroup (compile time only)
; SGPRBlocks: 0
; VGPRBlocks: 0
; NumSGPRsForWavesPerEU: 4
; NumVGPRsForWavesPerEU: 1
; Occupancy: 10
; WaveLimiterHint : 0
; COMPUTE_PGM_RSRC2:SCRATCH_EN: 0
; COMPUTE_PGM_RSRC2:USER_SGPR: 6
; COMPUTE_PGM_RSRC2:TRAP_HANDLER: 0
; COMPUTE_PGM_RSRC2:TGID_X_EN: 1
; COMPUTE_PGM_RSRC2:TGID_Y_EN: 0
; COMPUTE_PGM_RSRC2:TGID_Z_EN: 0
; COMPUTE_PGM_RSRC2:TIDIG_COMP_CNT: 0
	.section	.text._ZN7rocprim17ROCPRIM_400000_NS6detail17trampoline_kernelINS0_14default_configENS1_25partition_config_selectorILNS1_17partition_subalgoE5ElNS0_10empty_typeEbEEZZNS1_14partition_implILS5_5ELb0ES3_mN6hipcub16HIPCUB_304000_NS21CountingInputIteratorIllEEPS6_NSA_22TransformInputIteratorIb7NonZeroIdEPdlEENS0_5tupleIJPlS6_EEENSJ_IJSD_SD_EEES6_SK_JS6_EEE10hipError_tPvRmT3_T4_T5_T6_T7_T9_mT8_P12ihipStream_tbDpT10_ENKUlT_T0_E_clISt17integral_constantIbLb1EES15_IbLb0EEEEDaS11_S12_EUlS11_E_NS1_11comp_targetILNS1_3genE4ELNS1_11target_archE910ELNS1_3gpuE8ELNS1_3repE0EEENS1_30default_config_static_selectorELNS0_4arch9wavefront6targetE1EEEvT1_,"axG",@progbits,_ZN7rocprim17ROCPRIM_400000_NS6detail17trampoline_kernelINS0_14default_configENS1_25partition_config_selectorILNS1_17partition_subalgoE5ElNS0_10empty_typeEbEEZZNS1_14partition_implILS5_5ELb0ES3_mN6hipcub16HIPCUB_304000_NS21CountingInputIteratorIllEEPS6_NSA_22TransformInputIteratorIb7NonZeroIdEPdlEENS0_5tupleIJPlS6_EEENSJ_IJSD_SD_EEES6_SK_JS6_EEE10hipError_tPvRmT3_T4_T5_T6_T7_T9_mT8_P12ihipStream_tbDpT10_ENKUlT_T0_E_clISt17integral_constantIbLb1EES15_IbLb0EEEEDaS11_S12_EUlS11_E_NS1_11comp_targetILNS1_3genE4ELNS1_11target_archE910ELNS1_3gpuE8ELNS1_3repE0EEENS1_30default_config_static_selectorELNS0_4arch9wavefront6targetE1EEEvT1_,comdat
	.protected	_ZN7rocprim17ROCPRIM_400000_NS6detail17trampoline_kernelINS0_14default_configENS1_25partition_config_selectorILNS1_17partition_subalgoE5ElNS0_10empty_typeEbEEZZNS1_14partition_implILS5_5ELb0ES3_mN6hipcub16HIPCUB_304000_NS21CountingInputIteratorIllEEPS6_NSA_22TransformInputIteratorIb7NonZeroIdEPdlEENS0_5tupleIJPlS6_EEENSJ_IJSD_SD_EEES6_SK_JS6_EEE10hipError_tPvRmT3_T4_T5_T6_T7_T9_mT8_P12ihipStream_tbDpT10_ENKUlT_T0_E_clISt17integral_constantIbLb1EES15_IbLb0EEEEDaS11_S12_EUlS11_E_NS1_11comp_targetILNS1_3genE4ELNS1_11target_archE910ELNS1_3gpuE8ELNS1_3repE0EEENS1_30default_config_static_selectorELNS0_4arch9wavefront6targetE1EEEvT1_ ; -- Begin function _ZN7rocprim17ROCPRIM_400000_NS6detail17trampoline_kernelINS0_14default_configENS1_25partition_config_selectorILNS1_17partition_subalgoE5ElNS0_10empty_typeEbEEZZNS1_14partition_implILS5_5ELb0ES3_mN6hipcub16HIPCUB_304000_NS21CountingInputIteratorIllEEPS6_NSA_22TransformInputIteratorIb7NonZeroIdEPdlEENS0_5tupleIJPlS6_EEENSJ_IJSD_SD_EEES6_SK_JS6_EEE10hipError_tPvRmT3_T4_T5_T6_T7_T9_mT8_P12ihipStream_tbDpT10_ENKUlT_T0_E_clISt17integral_constantIbLb1EES15_IbLb0EEEEDaS11_S12_EUlS11_E_NS1_11comp_targetILNS1_3genE4ELNS1_11target_archE910ELNS1_3gpuE8ELNS1_3repE0EEENS1_30default_config_static_selectorELNS0_4arch9wavefront6targetE1EEEvT1_
	.globl	_ZN7rocprim17ROCPRIM_400000_NS6detail17trampoline_kernelINS0_14default_configENS1_25partition_config_selectorILNS1_17partition_subalgoE5ElNS0_10empty_typeEbEEZZNS1_14partition_implILS5_5ELb0ES3_mN6hipcub16HIPCUB_304000_NS21CountingInputIteratorIllEEPS6_NSA_22TransformInputIteratorIb7NonZeroIdEPdlEENS0_5tupleIJPlS6_EEENSJ_IJSD_SD_EEES6_SK_JS6_EEE10hipError_tPvRmT3_T4_T5_T6_T7_T9_mT8_P12ihipStream_tbDpT10_ENKUlT_T0_E_clISt17integral_constantIbLb1EES15_IbLb0EEEEDaS11_S12_EUlS11_E_NS1_11comp_targetILNS1_3genE4ELNS1_11target_archE910ELNS1_3gpuE8ELNS1_3repE0EEENS1_30default_config_static_selectorELNS0_4arch9wavefront6targetE1EEEvT1_
	.p2align	8
	.type	_ZN7rocprim17ROCPRIM_400000_NS6detail17trampoline_kernelINS0_14default_configENS1_25partition_config_selectorILNS1_17partition_subalgoE5ElNS0_10empty_typeEbEEZZNS1_14partition_implILS5_5ELb0ES3_mN6hipcub16HIPCUB_304000_NS21CountingInputIteratorIllEEPS6_NSA_22TransformInputIteratorIb7NonZeroIdEPdlEENS0_5tupleIJPlS6_EEENSJ_IJSD_SD_EEES6_SK_JS6_EEE10hipError_tPvRmT3_T4_T5_T6_T7_T9_mT8_P12ihipStream_tbDpT10_ENKUlT_T0_E_clISt17integral_constantIbLb1EES15_IbLb0EEEEDaS11_S12_EUlS11_E_NS1_11comp_targetILNS1_3genE4ELNS1_11target_archE910ELNS1_3gpuE8ELNS1_3repE0EEENS1_30default_config_static_selectorELNS0_4arch9wavefront6targetE1EEEvT1_,@function
_ZN7rocprim17ROCPRIM_400000_NS6detail17trampoline_kernelINS0_14default_configENS1_25partition_config_selectorILNS1_17partition_subalgoE5ElNS0_10empty_typeEbEEZZNS1_14partition_implILS5_5ELb0ES3_mN6hipcub16HIPCUB_304000_NS21CountingInputIteratorIllEEPS6_NSA_22TransformInputIteratorIb7NonZeroIdEPdlEENS0_5tupleIJPlS6_EEENSJ_IJSD_SD_EEES6_SK_JS6_EEE10hipError_tPvRmT3_T4_T5_T6_T7_T9_mT8_P12ihipStream_tbDpT10_ENKUlT_T0_E_clISt17integral_constantIbLb1EES15_IbLb0EEEEDaS11_S12_EUlS11_E_NS1_11comp_targetILNS1_3genE4ELNS1_11target_archE910ELNS1_3gpuE8ELNS1_3repE0EEENS1_30default_config_static_selectorELNS0_4arch9wavefront6targetE1EEEvT1_: ; @_ZN7rocprim17ROCPRIM_400000_NS6detail17trampoline_kernelINS0_14default_configENS1_25partition_config_selectorILNS1_17partition_subalgoE5ElNS0_10empty_typeEbEEZZNS1_14partition_implILS5_5ELb0ES3_mN6hipcub16HIPCUB_304000_NS21CountingInputIteratorIllEEPS6_NSA_22TransformInputIteratorIb7NonZeroIdEPdlEENS0_5tupleIJPlS6_EEENSJ_IJSD_SD_EEES6_SK_JS6_EEE10hipError_tPvRmT3_T4_T5_T6_T7_T9_mT8_P12ihipStream_tbDpT10_ENKUlT_T0_E_clISt17integral_constantIbLb1EES15_IbLb0EEEEDaS11_S12_EUlS11_E_NS1_11comp_targetILNS1_3genE4ELNS1_11target_archE910ELNS1_3gpuE8ELNS1_3repE0EEENS1_30default_config_static_selectorELNS0_4arch9wavefront6targetE1EEEvT1_
; %bb.0:
	.section	.rodata,"a",@progbits
	.p2align	6, 0x0
	.amdhsa_kernel _ZN7rocprim17ROCPRIM_400000_NS6detail17trampoline_kernelINS0_14default_configENS1_25partition_config_selectorILNS1_17partition_subalgoE5ElNS0_10empty_typeEbEEZZNS1_14partition_implILS5_5ELb0ES3_mN6hipcub16HIPCUB_304000_NS21CountingInputIteratorIllEEPS6_NSA_22TransformInputIteratorIb7NonZeroIdEPdlEENS0_5tupleIJPlS6_EEENSJ_IJSD_SD_EEES6_SK_JS6_EEE10hipError_tPvRmT3_T4_T5_T6_T7_T9_mT8_P12ihipStream_tbDpT10_ENKUlT_T0_E_clISt17integral_constantIbLb1EES15_IbLb0EEEEDaS11_S12_EUlS11_E_NS1_11comp_targetILNS1_3genE4ELNS1_11target_archE910ELNS1_3gpuE8ELNS1_3repE0EEENS1_30default_config_static_selectorELNS0_4arch9wavefront6targetE1EEEvT1_
		.amdhsa_group_segment_fixed_size 0
		.amdhsa_private_segment_fixed_size 0
		.amdhsa_kernarg_size 120
		.amdhsa_user_sgpr_count 6
		.amdhsa_user_sgpr_private_segment_buffer 1
		.amdhsa_user_sgpr_dispatch_ptr 0
		.amdhsa_user_sgpr_queue_ptr 0
		.amdhsa_user_sgpr_kernarg_segment_ptr 1
		.amdhsa_user_sgpr_dispatch_id 0
		.amdhsa_user_sgpr_flat_scratch_init 0
		.amdhsa_user_sgpr_private_segment_size 0
		.amdhsa_uses_dynamic_stack 0
		.amdhsa_system_sgpr_private_segment_wavefront_offset 0
		.amdhsa_system_sgpr_workgroup_id_x 1
		.amdhsa_system_sgpr_workgroup_id_y 0
		.amdhsa_system_sgpr_workgroup_id_z 0
		.amdhsa_system_sgpr_workgroup_info 0
		.amdhsa_system_vgpr_workitem_id 0
		.amdhsa_next_free_vgpr 1
		.amdhsa_next_free_sgpr 0
		.amdhsa_reserve_vcc 0
		.amdhsa_reserve_flat_scratch 0
		.amdhsa_float_round_mode_32 0
		.amdhsa_float_round_mode_16_64 0
		.amdhsa_float_denorm_mode_32 3
		.amdhsa_float_denorm_mode_16_64 3
		.amdhsa_dx10_clamp 1
		.amdhsa_ieee_mode 1
		.amdhsa_fp16_overflow 0
		.amdhsa_exception_fp_ieee_invalid_op 0
		.amdhsa_exception_fp_denorm_src 0
		.amdhsa_exception_fp_ieee_div_zero 0
		.amdhsa_exception_fp_ieee_overflow 0
		.amdhsa_exception_fp_ieee_underflow 0
		.amdhsa_exception_fp_ieee_inexact 0
		.amdhsa_exception_int_div_zero 0
	.end_amdhsa_kernel
	.section	.text._ZN7rocprim17ROCPRIM_400000_NS6detail17trampoline_kernelINS0_14default_configENS1_25partition_config_selectorILNS1_17partition_subalgoE5ElNS0_10empty_typeEbEEZZNS1_14partition_implILS5_5ELb0ES3_mN6hipcub16HIPCUB_304000_NS21CountingInputIteratorIllEEPS6_NSA_22TransformInputIteratorIb7NonZeroIdEPdlEENS0_5tupleIJPlS6_EEENSJ_IJSD_SD_EEES6_SK_JS6_EEE10hipError_tPvRmT3_T4_T5_T6_T7_T9_mT8_P12ihipStream_tbDpT10_ENKUlT_T0_E_clISt17integral_constantIbLb1EES15_IbLb0EEEEDaS11_S12_EUlS11_E_NS1_11comp_targetILNS1_3genE4ELNS1_11target_archE910ELNS1_3gpuE8ELNS1_3repE0EEENS1_30default_config_static_selectorELNS0_4arch9wavefront6targetE1EEEvT1_,"axG",@progbits,_ZN7rocprim17ROCPRIM_400000_NS6detail17trampoline_kernelINS0_14default_configENS1_25partition_config_selectorILNS1_17partition_subalgoE5ElNS0_10empty_typeEbEEZZNS1_14partition_implILS5_5ELb0ES3_mN6hipcub16HIPCUB_304000_NS21CountingInputIteratorIllEEPS6_NSA_22TransformInputIteratorIb7NonZeroIdEPdlEENS0_5tupleIJPlS6_EEENSJ_IJSD_SD_EEES6_SK_JS6_EEE10hipError_tPvRmT3_T4_T5_T6_T7_T9_mT8_P12ihipStream_tbDpT10_ENKUlT_T0_E_clISt17integral_constantIbLb1EES15_IbLb0EEEEDaS11_S12_EUlS11_E_NS1_11comp_targetILNS1_3genE4ELNS1_11target_archE910ELNS1_3gpuE8ELNS1_3repE0EEENS1_30default_config_static_selectorELNS0_4arch9wavefront6targetE1EEEvT1_,comdat
.Lfunc_end339:
	.size	_ZN7rocprim17ROCPRIM_400000_NS6detail17trampoline_kernelINS0_14default_configENS1_25partition_config_selectorILNS1_17partition_subalgoE5ElNS0_10empty_typeEbEEZZNS1_14partition_implILS5_5ELb0ES3_mN6hipcub16HIPCUB_304000_NS21CountingInputIteratorIllEEPS6_NSA_22TransformInputIteratorIb7NonZeroIdEPdlEENS0_5tupleIJPlS6_EEENSJ_IJSD_SD_EEES6_SK_JS6_EEE10hipError_tPvRmT3_T4_T5_T6_T7_T9_mT8_P12ihipStream_tbDpT10_ENKUlT_T0_E_clISt17integral_constantIbLb1EES15_IbLb0EEEEDaS11_S12_EUlS11_E_NS1_11comp_targetILNS1_3genE4ELNS1_11target_archE910ELNS1_3gpuE8ELNS1_3repE0EEENS1_30default_config_static_selectorELNS0_4arch9wavefront6targetE1EEEvT1_, .Lfunc_end339-_ZN7rocprim17ROCPRIM_400000_NS6detail17trampoline_kernelINS0_14default_configENS1_25partition_config_selectorILNS1_17partition_subalgoE5ElNS0_10empty_typeEbEEZZNS1_14partition_implILS5_5ELb0ES3_mN6hipcub16HIPCUB_304000_NS21CountingInputIteratorIllEEPS6_NSA_22TransformInputIteratorIb7NonZeroIdEPdlEENS0_5tupleIJPlS6_EEENSJ_IJSD_SD_EEES6_SK_JS6_EEE10hipError_tPvRmT3_T4_T5_T6_T7_T9_mT8_P12ihipStream_tbDpT10_ENKUlT_T0_E_clISt17integral_constantIbLb1EES15_IbLb0EEEEDaS11_S12_EUlS11_E_NS1_11comp_targetILNS1_3genE4ELNS1_11target_archE910ELNS1_3gpuE8ELNS1_3repE0EEENS1_30default_config_static_selectorELNS0_4arch9wavefront6targetE1EEEvT1_
                                        ; -- End function
	.set _ZN7rocprim17ROCPRIM_400000_NS6detail17trampoline_kernelINS0_14default_configENS1_25partition_config_selectorILNS1_17partition_subalgoE5ElNS0_10empty_typeEbEEZZNS1_14partition_implILS5_5ELb0ES3_mN6hipcub16HIPCUB_304000_NS21CountingInputIteratorIllEEPS6_NSA_22TransformInputIteratorIb7NonZeroIdEPdlEENS0_5tupleIJPlS6_EEENSJ_IJSD_SD_EEES6_SK_JS6_EEE10hipError_tPvRmT3_T4_T5_T6_T7_T9_mT8_P12ihipStream_tbDpT10_ENKUlT_T0_E_clISt17integral_constantIbLb1EES15_IbLb0EEEEDaS11_S12_EUlS11_E_NS1_11comp_targetILNS1_3genE4ELNS1_11target_archE910ELNS1_3gpuE8ELNS1_3repE0EEENS1_30default_config_static_selectorELNS0_4arch9wavefront6targetE1EEEvT1_.num_vgpr, 0
	.set _ZN7rocprim17ROCPRIM_400000_NS6detail17trampoline_kernelINS0_14default_configENS1_25partition_config_selectorILNS1_17partition_subalgoE5ElNS0_10empty_typeEbEEZZNS1_14partition_implILS5_5ELb0ES3_mN6hipcub16HIPCUB_304000_NS21CountingInputIteratorIllEEPS6_NSA_22TransformInputIteratorIb7NonZeroIdEPdlEENS0_5tupleIJPlS6_EEENSJ_IJSD_SD_EEES6_SK_JS6_EEE10hipError_tPvRmT3_T4_T5_T6_T7_T9_mT8_P12ihipStream_tbDpT10_ENKUlT_T0_E_clISt17integral_constantIbLb1EES15_IbLb0EEEEDaS11_S12_EUlS11_E_NS1_11comp_targetILNS1_3genE4ELNS1_11target_archE910ELNS1_3gpuE8ELNS1_3repE0EEENS1_30default_config_static_selectorELNS0_4arch9wavefront6targetE1EEEvT1_.num_agpr, 0
	.set _ZN7rocprim17ROCPRIM_400000_NS6detail17trampoline_kernelINS0_14default_configENS1_25partition_config_selectorILNS1_17partition_subalgoE5ElNS0_10empty_typeEbEEZZNS1_14partition_implILS5_5ELb0ES3_mN6hipcub16HIPCUB_304000_NS21CountingInputIteratorIllEEPS6_NSA_22TransformInputIteratorIb7NonZeroIdEPdlEENS0_5tupleIJPlS6_EEENSJ_IJSD_SD_EEES6_SK_JS6_EEE10hipError_tPvRmT3_T4_T5_T6_T7_T9_mT8_P12ihipStream_tbDpT10_ENKUlT_T0_E_clISt17integral_constantIbLb1EES15_IbLb0EEEEDaS11_S12_EUlS11_E_NS1_11comp_targetILNS1_3genE4ELNS1_11target_archE910ELNS1_3gpuE8ELNS1_3repE0EEENS1_30default_config_static_selectorELNS0_4arch9wavefront6targetE1EEEvT1_.numbered_sgpr, 0
	.set _ZN7rocprim17ROCPRIM_400000_NS6detail17trampoline_kernelINS0_14default_configENS1_25partition_config_selectorILNS1_17partition_subalgoE5ElNS0_10empty_typeEbEEZZNS1_14partition_implILS5_5ELb0ES3_mN6hipcub16HIPCUB_304000_NS21CountingInputIteratorIllEEPS6_NSA_22TransformInputIteratorIb7NonZeroIdEPdlEENS0_5tupleIJPlS6_EEENSJ_IJSD_SD_EEES6_SK_JS6_EEE10hipError_tPvRmT3_T4_T5_T6_T7_T9_mT8_P12ihipStream_tbDpT10_ENKUlT_T0_E_clISt17integral_constantIbLb1EES15_IbLb0EEEEDaS11_S12_EUlS11_E_NS1_11comp_targetILNS1_3genE4ELNS1_11target_archE910ELNS1_3gpuE8ELNS1_3repE0EEENS1_30default_config_static_selectorELNS0_4arch9wavefront6targetE1EEEvT1_.num_named_barrier, 0
	.set _ZN7rocprim17ROCPRIM_400000_NS6detail17trampoline_kernelINS0_14default_configENS1_25partition_config_selectorILNS1_17partition_subalgoE5ElNS0_10empty_typeEbEEZZNS1_14partition_implILS5_5ELb0ES3_mN6hipcub16HIPCUB_304000_NS21CountingInputIteratorIllEEPS6_NSA_22TransformInputIteratorIb7NonZeroIdEPdlEENS0_5tupleIJPlS6_EEENSJ_IJSD_SD_EEES6_SK_JS6_EEE10hipError_tPvRmT3_T4_T5_T6_T7_T9_mT8_P12ihipStream_tbDpT10_ENKUlT_T0_E_clISt17integral_constantIbLb1EES15_IbLb0EEEEDaS11_S12_EUlS11_E_NS1_11comp_targetILNS1_3genE4ELNS1_11target_archE910ELNS1_3gpuE8ELNS1_3repE0EEENS1_30default_config_static_selectorELNS0_4arch9wavefront6targetE1EEEvT1_.private_seg_size, 0
	.set _ZN7rocprim17ROCPRIM_400000_NS6detail17trampoline_kernelINS0_14default_configENS1_25partition_config_selectorILNS1_17partition_subalgoE5ElNS0_10empty_typeEbEEZZNS1_14partition_implILS5_5ELb0ES3_mN6hipcub16HIPCUB_304000_NS21CountingInputIteratorIllEEPS6_NSA_22TransformInputIteratorIb7NonZeroIdEPdlEENS0_5tupleIJPlS6_EEENSJ_IJSD_SD_EEES6_SK_JS6_EEE10hipError_tPvRmT3_T4_T5_T6_T7_T9_mT8_P12ihipStream_tbDpT10_ENKUlT_T0_E_clISt17integral_constantIbLb1EES15_IbLb0EEEEDaS11_S12_EUlS11_E_NS1_11comp_targetILNS1_3genE4ELNS1_11target_archE910ELNS1_3gpuE8ELNS1_3repE0EEENS1_30default_config_static_selectorELNS0_4arch9wavefront6targetE1EEEvT1_.uses_vcc, 0
	.set _ZN7rocprim17ROCPRIM_400000_NS6detail17trampoline_kernelINS0_14default_configENS1_25partition_config_selectorILNS1_17partition_subalgoE5ElNS0_10empty_typeEbEEZZNS1_14partition_implILS5_5ELb0ES3_mN6hipcub16HIPCUB_304000_NS21CountingInputIteratorIllEEPS6_NSA_22TransformInputIteratorIb7NonZeroIdEPdlEENS0_5tupleIJPlS6_EEENSJ_IJSD_SD_EEES6_SK_JS6_EEE10hipError_tPvRmT3_T4_T5_T6_T7_T9_mT8_P12ihipStream_tbDpT10_ENKUlT_T0_E_clISt17integral_constantIbLb1EES15_IbLb0EEEEDaS11_S12_EUlS11_E_NS1_11comp_targetILNS1_3genE4ELNS1_11target_archE910ELNS1_3gpuE8ELNS1_3repE0EEENS1_30default_config_static_selectorELNS0_4arch9wavefront6targetE1EEEvT1_.uses_flat_scratch, 0
	.set _ZN7rocprim17ROCPRIM_400000_NS6detail17trampoline_kernelINS0_14default_configENS1_25partition_config_selectorILNS1_17partition_subalgoE5ElNS0_10empty_typeEbEEZZNS1_14partition_implILS5_5ELb0ES3_mN6hipcub16HIPCUB_304000_NS21CountingInputIteratorIllEEPS6_NSA_22TransformInputIteratorIb7NonZeroIdEPdlEENS0_5tupleIJPlS6_EEENSJ_IJSD_SD_EEES6_SK_JS6_EEE10hipError_tPvRmT3_T4_T5_T6_T7_T9_mT8_P12ihipStream_tbDpT10_ENKUlT_T0_E_clISt17integral_constantIbLb1EES15_IbLb0EEEEDaS11_S12_EUlS11_E_NS1_11comp_targetILNS1_3genE4ELNS1_11target_archE910ELNS1_3gpuE8ELNS1_3repE0EEENS1_30default_config_static_selectorELNS0_4arch9wavefront6targetE1EEEvT1_.has_dyn_sized_stack, 0
	.set _ZN7rocprim17ROCPRIM_400000_NS6detail17trampoline_kernelINS0_14default_configENS1_25partition_config_selectorILNS1_17partition_subalgoE5ElNS0_10empty_typeEbEEZZNS1_14partition_implILS5_5ELb0ES3_mN6hipcub16HIPCUB_304000_NS21CountingInputIteratorIllEEPS6_NSA_22TransformInputIteratorIb7NonZeroIdEPdlEENS0_5tupleIJPlS6_EEENSJ_IJSD_SD_EEES6_SK_JS6_EEE10hipError_tPvRmT3_T4_T5_T6_T7_T9_mT8_P12ihipStream_tbDpT10_ENKUlT_T0_E_clISt17integral_constantIbLb1EES15_IbLb0EEEEDaS11_S12_EUlS11_E_NS1_11comp_targetILNS1_3genE4ELNS1_11target_archE910ELNS1_3gpuE8ELNS1_3repE0EEENS1_30default_config_static_selectorELNS0_4arch9wavefront6targetE1EEEvT1_.has_recursion, 0
	.set _ZN7rocprim17ROCPRIM_400000_NS6detail17trampoline_kernelINS0_14default_configENS1_25partition_config_selectorILNS1_17partition_subalgoE5ElNS0_10empty_typeEbEEZZNS1_14partition_implILS5_5ELb0ES3_mN6hipcub16HIPCUB_304000_NS21CountingInputIteratorIllEEPS6_NSA_22TransformInputIteratorIb7NonZeroIdEPdlEENS0_5tupleIJPlS6_EEENSJ_IJSD_SD_EEES6_SK_JS6_EEE10hipError_tPvRmT3_T4_T5_T6_T7_T9_mT8_P12ihipStream_tbDpT10_ENKUlT_T0_E_clISt17integral_constantIbLb1EES15_IbLb0EEEEDaS11_S12_EUlS11_E_NS1_11comp_targetILNS1_3genE4ELNS1_11target_archE910ELNS1_3gpuE8ELNS1_3repE0EEENS1_30default_config_static_selectorELNS0_4arch9wavefront6targetE1EEEvT1_.has_indirect_call, 0
	.section	.AMDGPU.csdata,"",@progbits
; Kernel info:
; codeLenInByte = 0
; TotalNumSgprs: 4
; NumVgprs: 0
; ScratchSize: 0
; MemoryBound: 0
; FloatMode: 240
; IeeeMode: 1
; LDSByteSize: 0 bytes/workgroup (compile time only)
; SGPRBlocks: 0
; VGPRBlocks: 0
; NumSGPRsForWavesPerEU: 4
; NumVGPRsForWavesPerEU: 1
; Occupancy: 10
; WaveLimiterHint : 0
; COMPUTE_PGM_RSRC2:SCRATCH_EN: 0
; COMPUTE_PGM_RSRC2:USER_SGPR: 6
; COMPUTE_PGM_RSRC2:TRAP_HANDLER: 0
; COMPUTE_PGM_RSRC2:TGID_X_EN: 1
; COMPUTE_PGM_RSRC2:TGID_Y_EN: 0
; COMPUTE_PGM_RSRC2:TGID_Z_EN: 0
; COMPUTE_PGM_RSRC2:TIDIG_COMP_CNT: 0
	.section	.text._ZN7rocprim17ROCPRIM_400000_NS6detail17trampoline_kernelINS0_14default_configENS1_25partition_config_selectorILNS1_17partition_subalgoE5ElNS0_10empty_typeEbEEZZNS1_14partition_implILS5_5ELb0ES3_mN6hipcub16HIPCUB_304000_NS21CountingInputIteratorIllEEPS6_NSA_22TransformInputIteratorIb7NonZeroIdEPdlEENS0_5tupleIJPlS6_EEENSJ_IJSD_SD_EEES6_SK_JS6_EEE10hipError_tPvRmT3_T4_T5_T6_T7_T9_mT8_P12ihipStream_tbDpT10_ENKUlT_T0_E_clISt17integral_constantIbLb1EES15_IbLb0EEEEDaS11_S12_EUlS11_E_NS1_11comp_targetILNS1_3genE3ELNS1_11target_archE908ELNS1_3gpuE7ELNS1_3repE0EEENS1_30default_config_static_selectorELNS0_4arch9wavefront6targetE1EEEvT1_,"axG",@progbits,_ZN7rocprim17ROCPRIM_400000_NS6detail17trampoline_kernelINS0_14default_configENS1_25partition_config_selectorILNS1_17partition_subalgoE5ElNS0_10empty_typeEbEEZZNS1_14partition_implILS5_5ELb0ES3_mN6hipcub16HIPCUB_304000_NS21CountingInputIteratorIllEEPS6_NSA_22TransformInputIteratorIb7NonZeroIdEPdlEENS0_5tupleIJPlS6_EEENSJ_IJSD_SD_EEES6_SK_JS6_EEE10hipError_tPvRmT3_T4_T5_T6_T7_T9_mT8_P12ihipStream_tbDpT10_ENKUlT_T0_E_clISt17integral_constantIbLb1EES15_IbLb0EEEEDaS11_S12_EUlS11_E_NS1_11comp_targetILNS1_3genE3ELNS1_11target_archE908ELNS1_3gpuE7ELNS1_3repE0EEENS1_30default_config_static_selectorELNS0_4arch9wavefront6targetE1EEEvT1_,comdat
	.protected	_ZN7rocprim17ROCPRIM_400000_NS6detail17trampoline_kernelINS0_14default_configENS1_25partition_config_selectorILNS1_17partition_subalgoE5ElNS0_10empty_typeEbEEZZNS1_14partition_implILS5_5ELb0ES3_mN6hipcub16HIPCUB_304000_NS21CountingInputIteratorIllEEPS6_NSA_22TransformInputIteratorIb7NonZeroIdEPdlEENS0_5tupleIJPlS6_EEENSJ_IJSD_SD_EEES6_SK_JS6_EEE10hipError_tPvRmT3_T4_T5_T6_T7_T9_mT8_P12ihipStream_tbDpT10_ENKUlT_T0_E_clISt17integral_constantIbLb1EES15_IbLb0EEEEDaS11_S12_EUlS11_E_NS1_11comp_targetILNS1_3genE3ELNS1_11target_archE908ELNS1_3gpuE7ELNS1_3repE0EEENS1_30default_config_static_selectorELNS0_4arch9wavefront6targetE1EEEvT1_ ; -- Begin function _ZN7rocprim17ROCPRIM_400000_NS6detail17trampoline_kernelINS0_14default_configENS1_25partition_config_selectorILNS1_17partition_subalgoE5ElNS0_10empty_typeEbEEZZNS1_14partition_implILS5_5ELb0ES3_mN6hipcub16HIPCUB_304000_NS21CountingInputIteratorIllEEPS6_NSA_22TransformInputIteratorIb7NonZeroIdEPdlEENS0_5tupleIJPlS6_EEENSJ_IJSD_SD_EEES6_SK_JS6_EEE10hipError_tPvRmT3_T4_T5_T6_T7_T9_mT8_P12ihipStream_tbDpT10_ENKUlT_T0_E_clISt17integral_constantIbLb1EES15_IbLb0EEEEDaS11_S12_EUlS11_E_NS1_11comp_targetILNS1_3genE3ELNS1_11target_archE908ELNS1_3gpuE7ELNS1_3repE0EEENS1_30default_config_static_selectorELNS0_4arch9wavefront6targetE1EEEvT1_
	.globl	_ZN7rocprim17ROCPRIM_400000_NS6detail17trampoline_kernelINS0_14default_configENS1_25partition_config_selectorILNS1_17partition_subalgoE5ElNS0_10empty_typeEbEEZZNS1_14partition_implILS5_5ELb0ES3_mN6hipcub16HIPCUB_304000_NS21CountingInputIteratorIllEEPS6_NSA_22TransformInputIteratorIb7NonZeroIdEPdlEENS0_5tupleIJPlS6_EEENSJ_IJSD_SD_EEES6_SK_JS6_EEE10hipError_tPvRmT3_T4_T5_T6_T7_T9_mT8_P12ihipStream_tbDpT10_ENKUlT_T0_E_clISt17integral_constantIbLb1EES15_IbLb0EEEEDaS11_S12_EUlS11_E_NS1_11comp_targetILNS1_3genE3ELNS1_11target_archE908ELNS1_3gpuE7ELNS1_3repE0EEENS1_30default_config_static_selectorELNS0_4arch9wavefront6targetE1EEEvT1_
	.p2align	8
	.type	_ZN7rocprim17ROCPRIM_400000_NS6detail17trampoline_kernelINS0_14default_configENS1_25partition_config_selectorILNS1_17partition_subalgoE5ElNS0_10empty_typeEbEEZZNS1_14partition_implILS5_5ELb0ES3_mN6hipcub16HIPCUB_304000_NS21CountingInputIteratorIllEEPS6_NSA_22TransformInputIteratorIb7NonZeroIdEPdlEENS0_5tupleIJPlS6_EEENSJ_IJSD_SD_EEES6_SK_JS6_EEE10hipError_tPvRmT3_T4_T5_T6_T7_T9_mT8_P12ihipStream_tbDpT10_ENKUlT_T0_E_clISt17integral_constantIbLb1EES15_IbLb0EEEEDaS11_S12_EUlS11_E_NS1_11comp_targetILNS1_3genE3ELNS1_11target_archE908ELNS1_3gpuE7ELNS1_3repE0EEENS1_30default_config_static_selectorELNS0_4arch9wavefront6targetE1EEEvT1_,@function
_ZN7rocprim17ROCPRIM_400000_NS6detail17trampoline_kernelINS0_14default_configENS1_25partition_config_selectorILNS1_17partition_subalgoE5ElNS0_10empty_typeEbEEZZNS1_14partition_implILS5_5ELb0ES3_mN6hipcub16HIPCUB_304000_NS21CountingInputIteratorIllEEPS6_NSA_22TransformInputIteratorIb7NonZeroIdEPdlEENS0_5tupleIJPlS6_EEENSJ_IJSD_SD_EEES6_SK_JS6_EEE10hipError_tPvRmT3_T4_T5_T6_T7_T9_mT8_P12ihipStream_tbDpT10_ENKUlT_T0_E_clISt17integral_constantIbLb1EES15_IbLb0EEEEDaS11_S12_EUlS11_E_NS1_11comp_targetILNS1_3genE3ELNS1_11target_archE908ELNS1_3gpuE7ELNS1_3repE0EEENS1_30default_config_static_selectorELNS0_4arch9wavefront6targetE1EEEvT1_: ; @_ZN7rocprim17ROCPRIM_400000_NS6detail17trampoline_kernelINS0_14default_configENS1_25partition_config_selectorILNS1_17partition_subalgoE5ElNS0_10empty_typeEbEEZZNS1_14partition_implILS5_5ELb0ES3_mN6hipcub16HIPCUB_304000_NS21CountingInputIteratorIllEEPS6_NSA_22TransformInputIteratorIb7NonZeroIdEPdlEENS0_5tupleIJPlS6_EEENSJ_IJSD_SD_EEES6_SK_JS6_EEE10hipError_tPvRmT3_T4_T5_T6_T7_T9_mT8_P12ihipStream_tbDpT10_ENKUlT_T0_E_clISt17integral_constantIbLb1EES15_IbLb0EEEEDaS11_S12_EUlS11_E_NS1_11comp_targetILNS1_3genE3ELNS1_11target_archE908ELNS1_3gpuE7ELNS1_3repE0EEENS1_30default_config_static_selectorELNS0_4arch9wavefront6targetE1EEEvT1_
; %bb.0:
	.section	.rodata,"a",@progbits
	.p2align	6, 0x0
	.amdhsa_kernel _ZN7rocprim17ROCPRIM_400000_NS6detail17trampoline_kernelINS0_14default_configENS1_25partition_config_selectorILNS1_17partition_subalgoE5ElNS0_10empty_typeEbEEZZNS1_14partition_implILS5_5ELb0ES3_mN6hipcub16HIPCUB_304000_NS21CountingInputIteratorIllEEPS6_NSA_22TransformInputIteratorIb7NonZeroIdEPdlEENS0_5tupleIJPlS6_EEENSJ_IJSD_SD_EEES6_SK_JS6_EEE10hipError_tPvRmT3_T4_T5_T6_T7_T9_mT8_P12ihipStream_tbDpT10_ENKUlT_T0_E_clISt17integral_constantIbLb1EES15_IbLb0EEEEDaS11_S12_EUlS11_E_NS1_11comp_targetILNS1_3genE3ELNS1_11target_archE908ELNS1_3gpuE7ELNS1_3repE0EEENS1_30default_config_static_selectorELNS0_4arch9wavefront6targetE1EEEvT1_
		.amdhsa_group_segment_fixed_size 0
		.amdhsa_private_segment_fixed_size 0
		.amdhsa_kernarg_size 120
		.amdhsa_user_sgpr_count 6
		.amdhsa_user_sgpr_private_segment_buffer 1
		.amdhsa_user_sgpr_dispatch_ptr 0
		.amdhsa_user_sgpr_queue_ptr 0
		.amdhsa_user_sgpr_kernarg_segment_ptr 1
		.amdhsa_user_sgpr_dispatch_id 0
		.amdhsa_user_sgpr_flat_scratch_init 0
		.amdhsa_user_sgpr_private_segment_size 0
		.amdhsa_uses_dynamic_stack 0
		.amdhsa_system_sgpr_private_segment_wavefront_offset 0
		.amdhsa_system_sgpr_workgroup_id_x 1
		.amdhsa_system_sgpr_workgroup_id_y 0
		.amdhsa_system_sgpr_workgroup_id_z 0
		.amdhsa_system_sgpr_workgroup_info 0
		.amdhsa_system_vgpr_workitem_id 0
		.amdhsa_next_free_vgpr 1
		.amdhsa_next_free_sgpr 0
		.amdhsa_reserve_vcc 0
		.amdhsa_reserve_flat_scratch 0
		.amdhsa_float_round_mode_32 0
		.amdhsa_float_round_mode_16_64 0
		.amdhsa_float_denorm_mode_32 3
		.amdhsa_float_denorm_mode_16_64 3
		.amdhsa_dx10_clamp 1
		.amdhsa_ieee_mode 1
		.amdhsa_fp16_overflow 0
		.amdhsa_exception_fp_ieee_invalid_op 0
		.amdhsa_exception_fp_denorm_src 0
		.amdhsa_exception_fp_ieee_div_zero 0
		.amdhsa_exception_fp_ieee_overflow 0
		.amdhsa_exception_fp_ieee_underflow 0
		.amdhsa_exception_fp_ieee_inexact 0
		.amdhsa_exception_int_div_zero 0
	.end_amdhsa_kernel
	.section	.text._ZN7rocprim17ROCPRIM_400000_NS6detail17trampoline_kernelINS0_14default_configENS1_25partition_config_selectorILNS1_17partition_subalgoE5ElNS0_10empty_typeEbEEZZNS1_14partition_implILS5_5ELb0ES3_mN6hipcub16HIPCUB_304000_NS21CountingInputIteratorIllEEPS6_NSA_22TransformInputIteratorIb7NonZeroIdEPdlEENS0_5tupleIJPlS6_EEENSJ_IJSD_SD_EEES6_SK_JS6_EEE10hipError_tPvRmT3_T4_T5_T6_T7_T9_mT8_P12ihipStream_tbDpT10_ENKUlT_T0_E_clISt17integral_constantIbLb1EES15_IbLb0EEEEDaS11_S12_EUlS11_E_NS1_11comp_targetILNS1_3genE3ELNS1_11target_archE908ELNS1_3gpuE7ELNS1_3repE0EEENS1_30default_config_static_selectorELNS0_4arch9wavefront6targetE1EEEvT1_,"axG",@progbits,_ZN7rocprim17ROCPRIM_400000_NS6detail17trampoline_kernelINS0_14default_configENS1_25partition_config_selectorILNS1_17partition_subalgoE5ElNS0_10empty_typeEbEEZZNS1_14partition_implILS5_5ELb0ES3_mN6hipcub16HIPCUB_304000_NS21CountingInputIteratorIllEEPS6_NSA_22TransformInputIteratorIb7NonZeroIdEPdlEENS0_5tupleIJPlS6_EEENSJ_IJSD_SD_EEES6_SK_JS6_EEE10hipError_tPvRmT3_T4_T5_T6_T7_T9_mT8_P12ihipStream_tbDpT10_ENKUlT_T0_E_clISt17integral_constantIbLb1EES15_IbLb0EEEEDaS11_S12_EUlS11_E_NS1_11comp_targetILNS1_3genE3ELNS1_11target_archE908ELNS1_3gpuE7ELNS1_3repE0EEENS1_30default_config_static_selectorELNS0_4arch9wavefront6targetE1EEEvT1_,comdat
.Lfunc_end340:
	.size	_ZN7rocprim17ROCPRIM_400000_NS6detail17trampoline_kernelINS0_14default_configENS1_25partition_config_selectorILNS1_17partition_subalgoE5ElNS0_10empty_typeEbEEZZNS1_14partition_implILS5_5ELb0ES3_mN6hipcub16HIPCUB_304000_NS21CountingInputIteratorIllEEPS6_NSA_22TransformInputIteratorIb7NonZeroIdEPdlEENS0_5tupleIJPlS6_EEENSJ_IJSD_SD_EEES6_SK_JS6_EEE10hipError_tPvRmT3_T4_T5_T6_T7_T9_mT8_P12ihipStream_tbDpT10_ENKUlT_T0_E_clISt17integral_constantIbLb1EES15_IbLb0EEEEDaS11_S12_EUlS11_E_NS1_11comp_targetILNS1_3genE3ELNS1_11target_archE908ELNS1_3gpuE7ELNS1_3repE0EEENS1_30default_config_static_selectorELNS0_4arch9wavefront6targetE1EEEvT1_, .Lfunc_end340-_ZN7rocprim17ROCPRIM_400000_NS6detail17trampoline_kernelINS0_14default_configENS1_25partition_config_selectorILNS1_17partition_subalgoE5ElNS0_10empty_typeEbEEZZNS1_14partition_implILS5_5ELb0ES3_mN6hipcub16HIPCUB_304000_NS21CountingInputIteratorIllEEPS6_NSA_22TransformInputIteratorIb7NonZeroIdEPdlEENS0_5tupleIJPlS6_EEENSJ_IJSD_SD_EEES6_SK_JS6_EEE10hipError_tPvRmT3_T4_T5_T6_T7_T9_mT8_P12ihipStream_tbDpT10_ENKUlT_T0_E_clISt17integral_constantIbLb1EES15_IbLb0EEEEDaS11_S12_EUlS11_E_NS1_11comp_targetILNS1_3genE3ELNS1_11target_archE908ELNS1_3gpuE7ELNS1_3repE0EEENS1_30default_config_static_selectorELNS0_4arch9wavefront6targetE1EEEvT1_
                                        ; -- End function
	.set _ZN7rocprim17ROCPRIM_400000_NS6detail17trampoline_kernelINS0_14default_configENS1_25partition_config_selectorILNS1_17partition_subalgoE5ElNS0_10empty_typeEbEEZZNS1_14partition_implILS5_5ELb0ES3_mN6hipcub16HIPCUB_304000_NS21CountingInputIteratorIllEEPS6_NSA_22TransformInputIteratorIb7NonZeroIdEPdlEENS0_5tupleIJPlS6_EEENSJ_IJSD_SD_EEES6_SK_JS6_EEE10hipError_tPvRmT3_T4_T5_T6_T7_T9_mT8_P12ihipStream_tbDpT10_ENKUlT_T0_E_clISt17integral_constantIbLb1EES15_IbLb0EEEEDaS11_S12_EUlS11_E_NS1_11comp_targetILNS1_3genE3ELNS1_11target_archE908ELNS1_3gpuE7ELNS1_3repE0EEENS1_30default_config_static_selectorELNS0_4arch9wavefront6targetE1EEEvT1_.num_vgpr, 0
	.set _ZN7rocprim17ROCPRIM_400000_NS6detail17trampoline_kernelINS0_14default_configENS1_25partition_config_selectorILNS1_17partition_subalgoE5ElNS0_10empty_typeEbEEZZNS1_14partition_implILS5_5ELb0ES3_mN6hipcub16HIPCUB_304000_NS21CountingInputIteratorIllEEPS6_NSA_22TransformInputIteratorIb7NonZeroIdEPdlEENS0_5tupleIJPlS6_EEENSJ_IJSD_SD_EEES6_SK_JS6_EEE10hipError_tPvRmT3_T4_T5_T6_T7_T9_mT8_P12ihipStream_tbDpT10_ENKUlT_T0_E_clISt17integral_constantIbLb1EES15_IbLb0EEEEDaS11_S12_EUlS11_E_NS1_11comp_targetILNS1_3genE3ELNS1_11target_archE908ELNS1_3gpuE7ELNS1_3repE0EEENS1_30default_config_static_selectorELNS0_4arch9wavefront6targetE1EEEvT1_.num_agpr, 0
	.set _ZN7rocprim17ROCPRIM_400000_NS6detail17trampoline_kernelINS0_14default_configENS1_25partition_config_selectorILNS1_17partition_subalgoE5ElNS0_10empty_typeEbEEZZNS1_14partition_implILS5_5ELb0ES3_mN6hipcub16HIPCUB_304000_NS21CountingInputIteratorIllEEPS6_NSA_22TransformInputIteratorIb7NonZeroIdEPdlEENS0_5tupleIJPlS6_EEENSJ_IJSD_SD_EEES6_SK_JS6_EEE10hipError_tPvRmT3_T4_T5_T6_T7_T9_mT8_P12ihipStream_tbDpT10_ENKUlT_T0_E_clISt17integral_constantIbLb1EES15_IbLb0EEEEDaS11_S12_EUlS11_E_NS1_11comp_targetILNS1_3genE3ELNS1_11target_archE908ELNS1_3gpuE7ELNS1_3repE0EEENS1_30default_config_static_selectorELNS0_4arch9wavefront6targetE1EEEvT1_.numbered_sgpr, 0
	.set _ZN7rocprim17ROCPRIM_400000_NS6detail17trampoline_kernelINS0_14default_configENS1_25partition_config_selectorILNS1_17partition_subalgoE5ElNS0_10empty_typeEbEEZZNS1_14partition_implILS5_5ELb0ES3_mN6hipcub16HIPCUB_304000_NS21CountingInputIteratorIllEEPS6_NSA_22TransformInputIteratorIb7NonZeroIdEPdlEENS0_5tupleIJPlS6_EEENSJ_IJSD_SD_EEES6_SK_JS6_EEE10hipError_tPvRmT3_T4_T5_T6_T7_T9_mT8_P12ihipStream_tbDpT10_ENKUlT_T0_E_clISt17integral_constantIbLb1EES15_IbLb0EEEEDaS11_S12_EUlS11_E_NS1_11comp_targetILNS1_3genE3ELNS1_11target_archE908ELNS1_3gpuE7ELNS1_3repE0EEENS1_30default_config_static_selectorELNS0_4arch9wavefront6targetE1EEEvT1_.num_named_barrier, 0
	.set _ZN7rocprim17ROCPRIM_400000_NS6detail17trampoline_kernelINS0_14default_configENS1_25partition_config_selectorILNS1_17partition_subalgoE5ElNS0_10empty_typeEbEEZZNS1_14partition_implILS5_5ELb0ES3_mN6hipcub16HIPCUB_304000_NS21CountingInputIteratorIllEEPS6_NSA_22TransformInputIteratorIb7NonZeroIdEPdlEENS0_5tupleIJPlS6_EEENSJ_IJSD_SD_EEES6_SK_JS6_EEE10hipError_tPvRmT3_T4_T5_T6_T7_T9_mT8_P12ihipStream_tbDpT10_ENKUlT_T0_E_clISt17integral_constantIbLb1EES15_IbLb0EEEEDaS11_S12_EUlS11_E_NS1_11comp_targetILNS1_3genE3ELNS1_11target_archE908ELNS1_3gpuE7ELNS1_3repE0EEENS1_30default_config_static_selectorELNS0_4arch9wavefront6targetE1EEEvT1_.private_seg_size, 0
	.set _ZN7rocprim17ROCPRIM_400000_NS6detail17trampoline_kernelINS0_14default_configENS1_25partition_config_selectorILNS1_17partition_subalgoE5ElNS0_10empty_typeEbEEZZNS1_14partition_implILS5_5ELb0ES3_mN6hipcub16HIPCUB_304000_NS21CountingInputIteratorIllEEPS6_NSA_22TransformInputIteratorIb7NonZeroIdEPdlEENS0_5tupleIJPlS6_EEENSJ_IJSD_SD_EEES6_SK_JS6_EEE10hipError_tPvRmT3_T4_T5_T6_T7_T9_mT8_P12ihipStream_tbDpT10_ENKUlT_T0_E_clISt17integral_constantIbLb1EES15_IbLb0EEEEDaS11_S12_EUlS11_E_NS1_11comp_targetILNS1_3genE3ELNS1_11target_archE908ELNS1_3gpuE7ELNS1_3repE0EEENS1_30default_config_static_selectorELNS0_4arch9wavefront6targetE1EEEvT1_.uses_vcc, 0
	.set _ZN7rocprim17ROCPRIM_400000_NS6detail17trampoline_kernelINS0_14default_configENS1_25partition_config_selectorILNS1_17partition_subalgoE5ElNS0_10empty_typeEbEEZZNS1_14partition_implILS5_5ELb0ES3_mN6hipcub16HIPCUB_304000_NS21CountingInputIteratorIllEEPS6_NSA_22TransformInputIteratorIb7NonZeroIdEPdlEENS0_5tupleIJPlS6_EEENSJ_IJSD_SD_EEES6_SK_JS6_EEE10hipError_tPvRmT3_T4_T5_T6_T7_T9_mT8_P12ihipStream_tbDpT10_ENKUlT_T0_E_clISt17integral_constantIbLb1EES15_IbLb0EEEEDaS11_S12_EUlS11_E_NS1_11comp_targetILNS1_3genE3ELNS1_11target_archE908ELNS1_3gpuE7ELNS1_3repE0EEENS1_30default_config_static_selectorELNS0_4arch9wavefront6targetE1EEEvT1_.uses_flat_scratch, 0
	.set _ZN7rocprim17ROCPRIM_400000_NS6detail17trampoline_kernelINS0_14default_configENS1_25partition_config_selectorILNS1_17partition_subalgoE5ElNS0_10empty_typeEbEEZZNS1_14partition_implILS5_5ELb0ES3_mN6hipcub16HIPCUB_304000_NS21CountingInputIteratorIllEEPS6_NSA_22TransformInputIteratorIb7NonZeroIdEPdlEENS0_5tupleIJPlS6_EEENSJ_IJSD_SD_EEES6_SK_JS6_EEE10hipError_tPvRmT3_T4_T5_T6_T7_T9_mT8_P12ihipStream_tbDpT10_ENKUlT_T0_E_clISt17integral_constantIbLb1EES15_IbLb0EEEEDaS11_S12_EUlS11_E_NS1_11comp_targetILNS1_3genE3ELNS1_11target_archE908ELNS1_3gpuE7ELNS1_3repE0EEENS1_30default_config_static_selectorELNS0_4arch9wavefront6targetE1EEEvT1_.has_dyn_sized_stack, 0
	.set _ZN7rocprim17ROCPRIM_400000_NS6detail17trampoline_kernelINS0_14default_configENS1_25partition_config_selectorILNS1_17partition_subalgoE5ElNS0_10empty_typeEbEEZZNS1_14partition_implILS5_5ELb0ES3_mN6hipcub16HIPCUB_304000_NS21CountingInputIteratorIllEEPS6_NSA_22TransformInputIteratorIb7NonZeroIdEPdlEENS0_5tupleIJPlS6_EEENSJ_IJSD_SD_EEES6_SK_JS6_EEE10hipError_tPvRmT3_T4_T5_T6_T7_T9_mT8_P12ihipStream_tbDpT10_ENKUlT_T0_E_clISt17integral_constantIbLb1EES15_IbLb0EEEEDaS11_S12_EUlS11_E_NS1_11comp_targetILNS1_3genE3ELNS1_11target_archE908ELNS1_3gpuE7ELNS1_3repE0EEENS1_30default_config_static_selectorELNS0_4arch9wavefront6targetE1EEEvT1_.has_recursion, 0
	.set _ZN7rocprim17ROCPRIM_400000_NS6detail17trampoline_kernelINS0_14default_configENS1_25partition_config_selectorILNS1_17partition_subalgoE5ElNS0_10empty_typeEbEEZZNS1_14partition_implILS5_5ELb0ES3_mN6hipcub16HIPCUB_304000_NS21CountingInputIteratorIllEEPS6_NSA_22TransformInputIteratorIb7NonZeroIdEPdlEENS0_5tupleIJPlS6_EEENSJ_IJSD_SD_EEES6_SK_JS6_EEE10hipError_tPvRmT3_T4_T5_T6_T7_T9_mT8_P12ihipStream_tbDpT10_ENKUlT_T0_E_clISt17integral_constantIbLb1EES15_IbLb0EEEEDaS11_S12_EUlS11_E_NS1_11comp_targetILNS1_3genE3ELNS1_11target_archE908ELNS1_3gpuE7ELNS1_3repE0EEENS1_30default_config_static_selectorELNS0_4arch9wavefront6targetE1EEEvT1_.has_indirect_call, 0
	.section	.AMDGPU.csdata,"",@progbits
; Kernel info:
; codeLenInByte = 0
; TotalNumSgprs: 4
; NumVgprs: 0
; ScratchSize: 0
; MemoryBound: 0
; FloatMode: 240
; IeeeMode: 1
; LDSByteSize: 0 bytes/workgroup (compile time only)
; SGPRBlocks: 0
; VGPRBlocks: 0
; NumSGPRsForWavesPerEU: 4
; NumVGPRsForWavesPerEU: 1
; Occupancy: 10
; WaveLimiterHint : 0
; COMPUTE_PGM_RSRC2:SCRATCH_EN: 0
; COMPUTE_PGM_RSRC2:USER_SGPR: 6
; COMPUTE_PGM_RSRC2:TRAP_HANDLER: 0
; COMPUTE_PGM_RSRC2:TGID_X_EN: 1
; COMPUTE_PGM_RSRC2:TGID_Y_EN: 0
; COMPUTE_PGM_RSRC2:TGID_Z_EN: 0
; COMPUTE_PGM_RSRC2:TIDIG_COMP_CNT: 0
	.section	.text._ZN7rocprim17ROCPRIM_400000_NS6detail17trampoline_kernelINS0_14default_configENS1_25partition_config_selectorILNS1_17partition_subalgoE5ElNS0_10empty_typeEbEEZZNS1_14partition_implILS5_5ELb0ES3_mN6hipcub16HIPCUB_304000_NS21CountingInputIteratorIllEEPS6_NSA_22TransformInputIteratorIb7NonZeroIdEPdlEENS0_5tupleIJPlS6_EEENSJ_IJSD_SD_EEES6_SK_JS6_EEE10hipError_tPvRmT3_T4_T5_T6_T7_T9_mT8_P12ihipStream_tbDpT10_ENKUlT_T0_E_clISt17integral_constantIbLb1EES15_IbLb0EEEEDaS11_S12_EUlS11_E_NS1_11comp_targetILNS1_3genE2ELNS1_11target_archE906ELNS1_3gpuE6ELNS1_3repE0EEENS1_30default_config_static_selectorELNS0_4arch9wavefront6targetE1EEEvT1_,"axG",@progbits,_ZN7rocprim17ROCPRIM_400000_NS6detail17trampoline_kernelINS0_14default_configENS1_25partition_config_selectorILNS1_17partition_subalgoE5ElNS0_10empty_typeEbEEZZNS1_14partition_implILS5_5ELb0ES3_mN6hipcub16HIPCUB_304000_NS21CountingInputIteratorIllEEPS6_NSA_22TransformInputIteratorIb7NonZeroIdEPdlEENS0_5tupleIJPlS6_EEENSJ_IJSD_SD_EEES6_SK_JS6_EEE10hipError_tPvRmT3_T4_T5_T6_T7_T9_mT8_P12ihipStream_tbDpT10_ENKUlT_T0_E_clISt17integral_constantIbLb1EES15_IbLb0EEEEDaS11_S12_EUlS11_E_NS1_11comp_targetILNS1_3genE2ELNS1_11target_archE906ELNS1_3gpuE6ELNS1_3repE0EEENS1_30default_config_static_selectorELNS0_4arch9wavefront6targetE1EEEvT1_,comdat
	.protected	_ZN7rocprim17ROCPRIM_400000_NS6detail17trampoline_kernelINS0_14default_configENS1_25partition_config_selectorILNS1_17partition_subalgoE5ElNS0_10empty_typeEbEEZZNS1_14partition_implILS5_5ELb0ES3_mN6hipcub16HIPCUB_304000_NS21CountingInputIteratorIllEEPS6_NSA_22TransformInputIteratorIb7NonZeroIdEPdlEENS0_5tupleIJPlS6_EEENSJ_IJSD_SD_EEES6_SK_JS6_EEE10hipError_tPvRmT3_T4_T5_T6_T7_T9_mT8_P12ihipStream_tbDpT10_ENKUlT_T0_E_clISt17integral_constantIbLb1EES15_IbLb0EEEEDaS11_S12_EUlS11_E_NS1_11comp_targetILNS1_3genE2ELNS1_11target_archE906ELNS1_3gpuE6ELNS1_3repE0EEENS1_30default_config_static_selectorELNS0_4arch9wavefront6targetE1EEEvT1_ ; -- Begin function _ZN7rocprim17ROCPRIM_400000_NS6detail17trampoline_kernelINS0_14default_configENS1_25partition_config_selectorILNS1_17partition_subalgoE5ElNS0_10empty_typeEbEEZZNS1_14partition_implILS5_5ELb0ES3_mN6hipcub16HIPCUB_304000_NS21CountingInputIteratorIllEEPS6_NSA_22TransformInputIteratorIb7NonZeroIdEPdlEENS0_5tupleIJPlS6_EEENSJ_IJSD_SD_EEES6_SK_JS6_EEE10hipError_tPvRmT3_T4_T5_T6_T7_T9_mT8_P12ihipStream_tbDpT10_ENKUlT_T0_E_clISt17integral_constantIbLb1EES15_IbLb0EEEEDaS11_S12_EUlS11_E_NS1_11comp_targetILNS1_3genE2ELNS1_11target_archE906ELNS1_3gpuE6ELNS1_3repE0EEENS1_30default_config_static_selectorELNS0_4arch9wavefront6targetE1EEEvT1_
	.globl	_ZN7rocprim17ROCPRIM_400000_NS6detail17trampoline_kernelINS0_14default_configENS1_25partition_config_selectorILNS1_17partition_subalgoE5ElNS0_10empty_typeEbEEZZNS1_14partition_implILS5_5ELb0ES3_mN6hipcub16HIPCUB_304000_NS21CountingInputIteratorIllEEPS6_NSA_22TransformInputIteratorIb7NonZeroIdEPdlEENS0_5tupleIJPlS6_EEENSJ_IJSD_SD_EEES6_SK_JS6_EEE10hipError_tPvRmT3_T4_T5_T6_T7_T9_mT8_P12ihipStream_tbDpT10_ENKUlT_T0_E_clISt17integral_constantIbLb1EES15_IbLb0EEEEDaS11_S12_EUlS11_E_NS1_11comp_targetILNS1_3genE2ELNS1_11target_archE906ELNS1_3gpuE6ELNS1_3repE0EEENS1_30default_config_static_selectorELNS0_4arch9wavefront6targetE1EEEvT1_
	.p2align	8
	.type	_ZN7rocprim17ROCPRIM_400000_NS6detail17trampoline_kernelINS0_14default_configENS1_25partition_config_selectorILNS1_17partition_subalgoE5ElNS0_10empty_typeEbEEZZNS1_14partition_implILS5_5ELb0ES3_mN6hipcub16HIPCUB_304000_NS21CountingInputIteratorIllEEPS6_NSA_22TransformInputIteratorIb7NonZeroIdEPdlEENS0_5tupleIJPlS6_EEENSJ_IJSD_SD_EEES6_SK_JS6_EEE10hipError_tPvRmT3_T4_T5_T6_T7_T9_mT8_P12ihipStream_tbDpT10_ENKUlT_T0_E_clISt17integral_constantIbLb1EES15_IbLb0EEEEDaS11_S12_EUlS11_E_NS1_11comp_targetILNS1_3genE2ELNS1_11target_archE906ELNS1_3gpuE6ELNS1_3repE0EEENS1_30default_config_static_selectorELNS0_4arch9wavefront6targetE1EEEvT1_,@function
_ZN7rocprim17ROCPRIM_400000_NS6detail17trampoline_kernelINS0_14default_configENS1_25partition_config_selectorILNS1_17partition_subalgoE5ElNS0_10empty_typeEbEEZZNS1_14partition_implILS5_5ELb0ES3_mN6hipcub16HIPCUB_304000_NS21CountingInputIteratorIllEEPS6_NSA_22TransformInputIteratorIb7NonZeroIdEPdlEENS0_5tupleIJPlS6_EEENSJ_IJSD_SD_EEES6_SK_JS6_EEE10hipError_tPvRmT3_T4_T5_T6_T7_T9_mT8_P12ihipStream_tbDpT10_ENKUlT_T0_E_clISt17integral_constantIbLb1EES15_IbLb0EEEEDaS11_S12_EUlS11_E_NS1_11comp_targetILNS1_3genE2ELNS1_11target_archE906ELNS1_3gpuE6ELNS1_3repE0EEENS1_30default_config_static_selectorELNS0_4arch9wavefront6targetE1EEEvT1_: ; @_ZN7rocprim17ROCPRIM_400000_NS6detail17trampoline_kernelINS0_14default_configENS1_25partition_config_selectorILNS1_17partition_subalgoE5ElNS0_10empty_typeEbEEZZNS1_14partition_implILS5_5ELb0ES3_mN6hipcub16HIPCUB_304000_NS21CountingInputIteratorIllEEPS6_NSA_22TransformInputIteratorIb7NonZeroIdEPdlEENS0_5tupleIJPlS6_EEENSJ_IJSD_SD_EEES6_SK_JS6_EEE10hipError_tPvRmT3_T4_T5_T6_T7_T9_mT8_P12ihipStream_tbDpT10_ENKUlT_T0_E_clISt17integral_constantIbLb1EES15_IbLb0EEEEDaS11_S12_EUlS11_E_NS1_11comp_targetILNS1_3genE2ELNS1_11target_archE906ELNS1_3gpuE6ELNS1_3repE0EEENS1_30default_config_static_selectorELNS0_4arch9wavefront6targetE1EEEvT1_
; %bb.0:
	s_endpgm
	.section	.rodata,"a",@progbits
	.p2align	6, 0x0
	.amdhsa_kernel _ZN7rocprim17ROCPRIM_400000_NS6detail17trampoline_kernelINS0_14default_configENS1_25partition_config_selectorILNS1_17partition_subalgoE5ElNS0_10empty_typeEbEEZZNS1_14partition_implILS5_5ELb0ES3_mN6hipcub16HIPCUB_304000_NS21CountingInputIteratorIllEEPS6_NSA_22TransformInputIteratorIb7NonZeroIdEPdlEENS0_5tupleIJPlS6_EEENSJ_IJSD_SD_EEES6_SK_JS6_EEE10hipError_tPvRmT3_T4_T5_T6_T7_T9_mT8_P12ihipStream_tbDpT10_ENKUlT_T0_E_clISt17integral_constantIbLb1EES15_IbLb0EEEEDaS11_S12_EUlS11_E_NS1_11comp_targetILNS1_3genE2ELNS1_11target_archE906ELNS1_3gpuE6ELNS1_3repE0EEENS1_30default_config_static_selectorELNS0_4arch9wavefront6targetE1EEEvT1_
		.amdhsa_group_segment_fixed_size 0
		.amdhsa_private_segment_fixed_size 0
		.amdhsa_kernarg_size 120
		.amdhsa_user_sgpr_count 6
		.amdhsa_user_sgpr_private_segment_buffer 1
		.amdhsa_user_sgpr_dispatch_ptr 0
		.amdhsa_user_sgpr_queue_ptr 0
		.amdhsa_user_sgpr_kernarg_segment_ptr 1
		.amdhsa_user_sgpr_dispatch_id 0
		.amdhsa_user_sgpr_flat_scratch_init 0
		.amdhsa_user_sgpr_private_segment_size 0
		.amdhsa_uses_dynamic_stack 0
		.amdhsa_system_sgpr_private_segment_wavefront_offset 0
		.amdhsa_system_sgpr_workgroup_id_x 1
		.amdhsa_system_sgpr_workgroup_id_y 0
		.amdhsa_system_sgpr_workgroup_id_z 0
		.amdhsa_system_sgpr_workgroup_info 0
		.amdhsa_system_vgpr_workitem_id 0
		.amdhsa_next_free_vgpr 1
		.amdhsa_next_free_sgpr 0
		.amdhsa_reserve_vcc 0
		.amdhsa_reserve_flat_scratch 0
		.amdhsa_float_round_mode_32 0
		.amdhsa_float_round_mode_16_64 0
		.amdhsa_float_denorm_mode_32 3
		.amdhsa_float_denorm_mode_16_64 3
		.amdhsa_dx10_clamp 1
		.amdhsa_ieee_mode 1
		.amdhsa_fp16_overflow 0
		.amdhsa_exception_fp_ieee_invalid_op 0
		.amdhsa_exception_fp_denorm_src 0
		.amdhsa_exception_fp_ieee_div_zero 0
		.amdhsa_exception_fp_ieee_overflow 0
		.amdhsa_exception_fp_ieee_underflow 0
		.amdhsa_exception_fp_ieee_inexact 0
		.amdhsa_exception_int_div_zero 0
	.end_amdhsa_kernel
	.section	.text._ZN7rocprim17ROCPRIM_400000_NS6detail17trampoline_kernelINS0_14default_configENS1_25partition_config_selectorILNS1_17partition_subalgoE5ElNS0_10empty_typeEbEEZZNS1_14partition_implILS5_5ELb0ES3_mN6hipcub16HIPCUB_304000_NS21CountingInputIteratorIllEEPS6_NSA_22TransformInputIteratorIb7NonZeroIdEPdlEENS0_5tupleIJPlS6_EEENSJ_IJSD_SD_EEES6_SK_JS6_EEE10hipError_tPvRmT3_T4_T5_T6_T7_T9_mT8_P12ihipStream_tbDpT10_ENKUlT_T0_E_clISt17integral_constantIbLb1EES15_IbLb0EEEEDaS11_S12_EUlS11_E_NS1_11comp_targetILNS1_3genE2ELNS1_11target_archE906ELNS1_3gpuE6ELNS1_3repE0EEENS1_30default_config_static_selectorELNS0_4arch9wavefront6targetE1EEEvT1_,"axG",@progbits,_ZN7rocprim17ROCPRIM_400000_NS6detail17trampoline_kernelINS0_14default_configENS1_25partition_config_selectorILNS1_17partition_subalgoE5ElNS0_10empty_typeEbEEZZNS1_14partition_implILS5_5ELb0ES3_mN6hipcub16HIPCUB_304000_NS21CountingInputIteratorIllEEPS6_NSA_22TransformInputIteratorIb7NonZeroIdEPdlEENS0_5tupleIJPlS6_EEENSJ_IJSD_SD_EEES6_SK_JS6_EEE10hipError_tPvRmT3_T4_T5_T6_T7_T9_mT8_P12ihipStream_tbDpT10_ENKUlT_T0_E_clISt17integral_constantIbLb1EES15_IbLb0EEEEDaS11_S12_EUlS11_E_NS1_11comp_targetILNS1_3genE2ELNS1_11target_archE906ELNS1_3gpuE6ELNS1_3repE0EEENS1_30default_config_static_selectorELNS0_4arch9wavefront6targetE1EEEvT1_,comdat
.Lfunc_end341:
	.size	_ZN7rocprim17ROCPRIM_400000_NS6detail17trampoline_kernelINS0_14default_configENS1_25partition_config_selectorILNS1_17partition_subalgoE5ElNS0_10empty_typeEbEEZZNS1_14partition_implILS5_5ELb0ES3_mN6hipcub16HIPCUB_304000_NS21CountingInputIteratorIllEEPS6_NSA_22TransformInputIteratorIb7NonZeroIdEPdlEENS0_5tupleIJPlS6_EEENSJ_IJSD_SD_EEES6_SK_JS6_EEE10hipError_tPvRmT3_T4_T5_T6_T7_T9_mT8_P12ihipStream_tbDpT10_ENKUlT_T0_E_clISt17integral_constantIbLb1EES15_IbLb0EEEEDaS11_S12_EUlS11_E_NS1_11comp_targetILNS1_3genE2ELNS1_11target_archE906ELNS1_3gpuE6ELNS1_3repE0EEENS1_30default_config_static_selectorELNS0_4arch9wavefront6targetE1EEEvT1_, .Lfunc_end341-_ZN7rocprim17ROCPRIM_400000_NS6detail17trampoline_kernelINS0_14default_configENS1_25partition_config_selectorILNS1_17partition_subalgoE5ElNS0_10empty_typeEbEEZZNS1_14partition_implILS5_5ELb0ES3_mN6hipcub16HIPCUB_304000_NS21CountingInputIteratorIllEEPS6_NSA_22TransformInputIteratorIb7NonZeroIdEPdlEENS0_5tupleIJPlS6_EEENSJ_IJSD_SD_EEES6_SK_JS6_EEE10hipError_tPvRmT3_T4_T5_T6_T7_T9_mT8_P12ihipStream_tbDpT10_ENKUlT_T0_E_clISt17integral_constantIbLb1EES15_IbLb0EEEEDaS11_S12_EUlS11_E_NS1_11comp_targetILNS1_3genE2ELNS1_11target_archE906ELNS1_3gpuE6ELNS1_3repE0EEENS1_30default_config_static_selectorELNS0_4arch9wavefront6targetE1EEEvT1_
                                        ; -- End function
	.set _ZN7rocprim17ROCPRIM_400000_NS6detail17trampoline_kernelINS0_14default_configENS1_25partition_config_selectorILNS1_17partition_subalgoE5ElNS0_10empty_typeEbEEZZNS1_14partition_implILS5_5ELb0ES3_mN6hipcub16HIPCUB_304000_NS21CountingInputIteratorIllEEPS6_NSA_22TransformInputIteratorIb7NonZeroIdEPdlEENS0_5tupleIJPlS6_EEENSJ_IJSD_SD_EEES6_SK_JS6_EEE10hipError_tPvRmT3_T4_T5_T6_T7_T9_mT8_P12ihipStream_tbDpT10_ENKUlT_T0_E_clISt17integral_constantIbLb1EES15_IbLb0EEEEDaS11_S12_EUlS11_E_NS1_11comp_targetILNS1_3genE2ELNS1_11target_archE906ELNS1_3gpuE6ELNS1_3repE0EEENS1_30default_config_static_selectorELNS0_4arch9wavefront6targetE1EEEvT1_.num_vgpr, 0
	.set _ZN7rocprim17ROCPRIM_400000_NS6detail17trampoline_kernelINS0_14default_configENS1_25partition_config_selectorILNS1_17partition_subalgoE5ElNS0_10empty_typeEbEEZZNS1_14partition_implILS5_5ELb0ES3_mN6hipcub16HIPCUB_304000_NS21CountingInputIteratorIllEEPS6_NSA_22TransformInputIteratorIb7NonZeroIdEPdlEENS0_5tupleIJPlS6_EEENSJ_IJSD_SD_EEES6_SK_JS6_EEE10hipError_tPvRmT3_T4_T5_T6_T7_T9_mT8_P12ihipStream_tbDpT10_ENKUlT_T0_E_clISt17integral_constantIbLb1EES15_IbLb0EEEEDaS11_S12_EUlS11_E_NS1_11comp_targetILNS1_3genE2ELNS1_11target_archE906ELNS1_3gpuE6ELNS1_3repE0EEENS1_30default_config_static_selectorELNS0_4arch9wavefront6targetE1EEEvT1_.num_agpr, 0
	.set _ZN7rocprim17ROCPRIM_400000_NS6detail17trampoline_kernelINS0_14default_configENS1_25partition_config_selectorILNS1_17partition_subalgoE5ElNS0_10empty_typeEbEEZZNS1_14partition_implILS5_5ELb0ES3_mN6hipcub16HIPCUB_304000_NS21CountingInputIteratorIllEEPS6_NSA_22TransformInputIteratorIb7NonZeroIdEPdlEENS0_5tupleIJPlS6_EEENSJ_IJSD_SD_EEES6_SK_JS6_EEE10hipError_tPvRmT3_T4_T5_T6_T7_T9_mT8_P12ihipStream_tbDpT10_ENKUlT_T0_E_clISt17integral_constantIbLb1EES15_IbLb0EEEEDaS11_S12_EUlS11_E_NS1_11comp_targetILNS1_3genE2ELNS1_11target_archE906ELNS1_3gpuE6ELNS1_3repE0EEENS1_30default_config_static_selectorELNS0_4arch9wavefront6targetE1EEEvT1_.numbered_sgpr, 0
	.set _ZN7rocprim17ROCPRIM_400000_NS6detail17trampoline_kernelINS0_14default_configENS1_25partition_config_selectorILNS1_17partition_subalgoE5ElNS0_10empty_typeEbEEZZNS1_14partition_implILS5_5ELb0ES3_mN6hipcub16HIPCUB_304000_NS21CountingInputIteratorIllEEPS6_NSA_22TransformInputIteratorIb7NonZeroIdEPdlEENS0_5tupleIJPlS6_EEENSJ_IJSD_SD_EEES6_SK_JS6_EEE10hipError_tPvRmT3_T4_T5_T6_T7_T9_mT8_P12ihipStream_tbDpT10_ENKUlT_T0_E_clISt17integral_constantIbLb1EES15_IbLb0EEEEDaS11_S12_EUlS11_E_NS1_11comp_targetILNS1_3genE2ELNS1_11target_archE906ELNS1_3gpuE6ELNS1_3repE0EEENS1_30default_config_static_selectorELNS0_4arch9wavefront6targetE1EEEvT1_.num_named_barrier, 0
	.set _ZN7rocprim17ROCPRIM_400000_NS6detail17trampoline_kernelINS0_14default_configENS1_25partition_config_selectorILNS1_17partition_subalgoE5ElNS0_10empty_typeEbEEZZNS1_14partition_implILS5_5ELb0ES3_mN6hipcub16HIPCUB_304000_NS21CountingInputIteratorIllEEPS6_NSA_22TransformInputIteratorIb7NonZeroIdEPdlEENS0_5tupleIJPlS6_EEENSJ_IJSD_SD_EEES6_SK_JS6_EEE10hipError_tPvRmT3_T4_T5_T6_T7_T9_mT8_P12ihipStream_tbDpT10_ENKUlT_T0_E_clISt17integral_constantIbLb1EES15_IbLb0EEEEDaS11_S12_EUlS11_E_NS1_11comp_targetILNS1_3genE2ELNS1_11target_archE906ELNS1_3gpuE6ELNS1_3repE0EEENS1_30default_config_static_selectorELNS0_4arch9wavefront6targetE1EEEvT1_.private_seg_size, 0
	.set _ZN7rocprim17ROCPRIM_400000_NS6detail17trampoline_kernelINS0_14default_configENS1_25partition_config_selectorILNS1_17partition_subalgoE5ElNS0_10empty_typeEbEEZZNS1_14partition_implILS5_5ELb0ES3_mN6hipcub16HIPCUB_304000_NS21CountingInputIteratorIllEEPS6_NSA_22TransformInputIteratorIb7NonZeroIdEPdlEENS0_5tupleIJPlS6_EEENSJ_IJSD_SD_EEES6_SK_JS6_EEE10hipError_tPvRmT3_T4_T5_T6_T7_T9_mT8_P12ihipStream_tbDpT10_ENKUlT_T0_E_clISt17integral_constantIbLb1EES15_IbLb0EEEEDaS11_S12_EUlS11_E_NS1_11comp_targetILNS1_3genE2ELNS1_11target_archE906ELNS1_3gpuE6ELNS1_3repE0EEENS1_30default_config_static_selectorELNS0_4arch9wavefront6targetE1EEEvT1_.uses_vcc, 0
	.set _ZN7rocprim17ROCPRIM_400000_NS6detail17trampoline_kernelINS0_14default_configENS1_25partition_config_selectorILNS1_17partition_subalgoE5ElNS0_10empty_typeEbEEZZNS1_14partition_implILS5_5ELb0ES3_mN6hipcub16HIPCUB_304000_NS21CountingInputIteratorIllEEPS6_NSA_22TransformInputIteratorIb7NonZeroIdEPdlEENS0_5tupleIJPlS6_EEENSJ_IJSD_SD_EEES6_SK_JS6_EEE10hipError_tPvRmT3_T4_T5_T6_T7_T9_mT8_P12ihipStream_tbDpT10_ENKUlT_T0_E_clISt17integral_constantIbLb1EES15_IbLb0EEEEDaS11_S12_EUlS11_E_NS1_11comp_targetILNS1_3genE2ELNS1_11target_archE906ELNS1_3gpuE6ELNS1_3repE0EEENS1_30default_config_static_selectorELNS0_4arch9wavefront6targetE1EEEvT1_.uses_flat_scratch, 0
	.set _ZN7rocprim17ROCPRIM_400000_NS6detail17trampoline_kernelINS0_14default_configENS1_25partition_config_selectorILNS1_17partition_subalgoE5ElNS0_10empty_typeEbEEZZNS1_14partition_implILS5_5ELb0ES3_mN6hipcub16HIPCUB_304000_NS21CountingInputIteratorIllEEPS6_NSA_22TransformInputIteratorIb7NonZeroIdEPdlEENS0_5tupleIJPlS6_EEENSJ_IJSD_SD_EEES6_SK_JS6_EEE10hipError_tPvRmT3_T4_T5_T6_T7_T9_mT8_P12ihipStream_tbDpT10_ENKUlT_T0_E_clISt17integral_constantIbLb1EES15_IbLb0EEEEDaS11_S12_EUlS11_E_NS1_11comp_targetILNS1_3genE2ELNS1_11target_archE906ELNS1_3gpuE6ELNS1_3repE0EEENS1_30default_config_static_selectorELNS0_4arch9wavefront6targetE1EEEvT1_.has_dyn_sized_stack, 0
	.set _ZN7rocprim17ROCPRIM_400000_NS6detail17trampoline_kernelINS0_14default_configENS1_25partition_config_selectorILNS1_17partition_subalgoE5ElNS0_10empty_typeEbEEZZNS1_14partition_implILS5_5ELb0ES3_mN6hipcub16HIPCUB_304000_NS21CountingInputIteratorIllEEPS6_NSA_22TransformInputIteratorIb7NonZeroIdEPdlEENS0_5tupleIJPlS6_EEENSJ_IJSD_SD_EEES6_SK_JS6_EEE10hipError_tPvRmT3_T4_T5_T6_T7_T9_mT8_P12ihipStream_tbDpT10_ENKUlT_T0_E_clISt17integral_constantIbLb1EES15_IbLb0EEEEDaS11_S12_EUlS11_E_NS1_11comp_targetILNS1_3genE2ELNS1_11target_archE906ELNS1_3gpuE6ELNS1_3repE0EEENS1_30default_config_static_selectorELNS0_4arch9wavefront6targetE1EEEvT1_.has_recursion, 0
	.set _ZN7rocprim17ROCPRIM_400000_NS6detail17trampoline_kernelINS0_14default_configENS1_25partition_config_selectorILNS1_17partition_subalgoE5ElNS0_10empty_typeEbEEZZNS1_14partition_implILS5_5ELb0ES3_mN6hipcub16HIPCUB_304000_NS21CountingInputIteratorIllEEPS6_NSA_22TransformInputIteratorIb7NonZeroIdEPdlEENS0_5tupleIJPlS6_EEENSJ_IJSD_SD_EEES6_SK_JS6_EEE10hipError_tPvRmT3_T4_T5_T6_T7_T9_mT8_P12ihipStream_tbDpT10_ENKUlT_T0_E_clISt17integral_constantIbLb1EES15_IbLb0EEEEDaS11_S12_EUlS11_E_NS1_11comp_targetILNS1_3genE2ELNS1_11target_archE906ELNS1_3gpuE6ELNS1_3repE0EEENS1_30default_config_static_selectorELNS0_4arch9wavefront6targetE1EEEvT1_.has_indirect_call, 0
	.section	.AMDGPU.csdata,"",@progbits
; Kernel info:
; codeLenInByte = 4
; TotalNumSgprs: 4
; NumVgprs: 0
; ScratchSize: 0
; MemoryBound: 0
; FloatMode: 240
; IeeeMode: 1
; LDSByteSize: 0 bytes/workgroup (compile time only)
; SGPRBlocks: 0
; VGPRBlocks: 0
; NumSGPRsForWavesPerEU: 4
; NumVGPRsForWavesPerEU: 1
; Occupancy: 10
; WaveLimiterHint : 0
; COMPUTE_PGM_RSRC2:SCRATCH_EN: 0
; COMPUTE_PGM_RSRC2:USER_SGPR: 6
; COMPUTE_PGM_RSRC2:TRAP_HANDLER: 0
; COMPUTE_PGM_RSRC2:TGID_X_EN: 1
; COMPUTE_PGM_RSRC2:TGID_Y_EN: 0
; COMPUTE_PGM_RSRC2:TGID_Z_EN: 0
; COMPUTE_PGM_RSRC2:TIDIG_COMP_CNT: 0
	.section	.text._ZN7rocprim17ROCPRIM_400000_NS6detail17trampoline_kernelINS0_14default_configENS1_25partition_config_selectorILNS1_17partition_subalgoE5ElNS0_10empty_typeEbEEZZNS1_14partition_implILS5_5ELb0ES3_mN6hipcub16HIPCUB_304000_NS21CountingInputIteratorIllEEPS6_NSA_22TransformInputIteratorIb7NonZeroIdEPdlEENS0_5tupleIJPlS6_EEENSJ_IJSD_SD_EEES6_SK_JS6_EEE10hipError_tPvRmT3_T4_T5_T6_T7_T9_mT8_P12ihipStream_tbDpT10_ENKUlT_T0_E_clISt17integral_constantIbLb1EES15_IbLb0EEEEDaS11_S12_EUlS11_E_NS1_11comp_targetILNS1_3genE10ELNS1_11target_archE1200ELNS1_3gpuE4ELNS1_3repE0EEENS1_30default_config_static_selectorELNS0_4arch9wavefront6targetE1EEEvT1_,"axG",@progbits,_ZN7rocprim17ROCPRIM_400000_NS6detail17trampoline_kernelINS0_14default_configENS1_25partition_config_selectorILNS1_17partition_subalgoE5ElNS0_10empty_typeEbEEZZNS1_14partition_implILS5_5ELb0ES3_mN6hipcub16HIPCUB_304000_NS21CountingInputIteratorIllEEPS6_NSA_22TransformInputIteratorIb7NonZeroIdEPdlEENS0_5tupleIJPlS6_EEENSJ_IJSD_SD_EEES6_SK_JS6_EEE10hipError_tPvRmT3_T4_T5_T6_T7_T9_mT8_P12ihipStream_tbDpT10_ENKUlT_T0_E_clISt17integral_constantIbLb1EES15_IbLb0EEEEDaS11_S12_EUlS11_E_NS1_11comp_targetILNS1_3genE10ELNS1_11target_archE1200ELNS1_3gpuE4ELNS1_3repE0EEENS1_30default_config_static_selectorELNS0_4arch9wavefront6targetE1EEEvT1_,comdat
	.protected	_ZN7rocprim17ROCPRIM_400000_NS6detail17trampoline_kernelINS0_14default_configENS1_25partition_config_selectorILNS1_17partition_subalgoE5ElNS0_10empty_typeEbEEZZNS1_14partition_implILS5_5ELb0ES3_mN6hipcub16HIPCUB_304000_NS21CountingInputIteratorIllEEPS6_NSA_22TransformInputIteratorIb7NonZeroIdEPdlEENS0_5tupleIJPlS6_EEENSJ_IJSD_SD_EEES6_SK_JS6_EEE10hipError_tPvRmT3_T4_T5_T6_T7_T9_mT8_P12ihipStream_tbDpT10_ENKUlT_T0_E_clISt17integral_constantIbLb1EES15_IbLb0EEEEDaS11_S12_EUlS11_E_NS1_11comp_targetILNS1_3genE10ELNS1_11target_archE1200ELNS1_3gpuE4ELNS1_3repE0EEENS1_30default_config_static_selectorELNS0_4arch9wavefront6targetE1EEEvT1_ ; -- Begin function _ZN7rocprim17ROCPRIM_400000_NS6detail17trampoline_kernelINS0_14default_configENS1_25partition_config_selectorILNS1_17partition_subalgoE5ElNS0_10empty_typeEbEEZZNS1_14partition_implILS5_5ELb0ES3_mN6hipcub16HIPCUB_304000_NS21CountingInputIteratorIllEEPS6_NSA_22TransformInputIteratorIb7NonZeroIdEPdlEENS0_5tupleIJPlS6_EEENSJ_IJSD_SD_EEES6_SK_JS6_EEE10hipError_tPvRmT3_T4_T5_T6_T7_T9_mT8_P12ihipStream_tbDpT10_ENKUlT_T0_E_clISt17integral_constantIbLb1EES15_IbLb0EEEEDaS11_S12_EUlS11_E_NS1_11comp_targetILNS1_3genE10ELNS1_11target_archE1200ELNS1_3gpuE4ELNS1_3repE0EEENS1_30default_config_static_selectorELNS0_4arch9wavefront6targetE1EEEvT1_
	.globl	_ZN7rocprim17ROCPRIM_400000_NS6detail17trampoline_kernelINS0_14default_configENS1_25partition_config_selectorILNS1_17partition_subalgoE5ElNS0_10empty_typeEbEEZZNS1_14partition_implILS5_5ELb0ES3_mN6hipcub16HIPCUB_304000_NS21CountingInputIteratorIllEEPS6_NSA_22TransformInputIteratorIb7NonZeroIdEPdlEENS0_5tupleIJPlS6_EEENSJ_IJSD_SD_EEES6_SK_JS6_EEE10hipError_tPvRmT3_T4_T5_T6_T7_T9_mT8_P12ihipStream_tbDpT10_ENKUlT_T0_E_clISt17integral_constantIbLb1EES15_IbLb0EEEEDaS11_S12_EUlS11_E_NS1_11comp_targetILNS1_3genE10ELNS1_11target_archE1200ELNS1_3gpuE4ELNS1_3repE0EEENS1_30default_config_static_selectorELNS0_4arch9wavefront6targetE1EEEvT1_
	.p2align	8
	.type	_ZN7rocprim17ROCPRIM_400000_NS6detail17trampoline_kernelINS0_14default_configENS1_25partition_config_selectorILNS1_17partition_subalgoE5ElNS0_10empty_typeEbEEZZNS1_14partition_implILS5_5ELb0ES3_mN6hipcub16HIPCUB_304000_NS21CountingInputIteratorIllEEPS6_NSA_22TransformInputIteratorIb7NonZeroIdEPdlEENS0_5tupleIJPlS6_EEENSJ_IJSD_SD_EEES6_SK_JS6_EEE10hipError_tPvRmT3_T4_T5_T6_T7_T9_mT8_P12ihipStream_tbDpT10_ENKUlT_T0_E_clISt17integral_constantIbLb1EES15_IbLb0EEEEDaS11_S12_EUlS11_E_NS1_11comp_targetILNS1_3genE10ELNS1_11target_archE1200ELNS1_3gpuE4ELNS1_3repE0EEENS1_30default_config_static_selectorELNS0_4arch9wavefront6targetE1EEEvT1_,@function
_ZN7rocprim17ROCPRIM_400000_NS6detail17trampoline_kernelINS0_14default_configENS1_25partition_config_selectorILNS1_17partition_subalgoE5ElNS0_10empty_typeEbEEZZNS1_14partition_implILS5_5ELb0ES3_mN6hipcub16HIPCUB_304000_NS21CountingInputIteratorIllEEPS6_NSA_22TransformInputIteratorIb7NonZeroIdEPdlEENS0_5tupleIJPlS6_EEENSJ_IJSD_SD_EEES6_SK_JS6_EEE10hipError_tPvRmT3_T4_T5_T6_T7_T9_mT8_P12ihipStream_tbDpT10_ENKUlT_T0_E_clISt17integral_constantIbLb1EES15_IbLb0EEEEDaS11_S12_EUlS11_E_NS1_11comp_targetILNS1_3genE10ELNS1_11target_archE1200ELNS1_3gpuE4ELNS1_3repE0EEENS1_30default_config_static_selectorELNS0_4arch9wavefront6targetE1EEEvT1_: ; @_ZN7rocprim17ROCPRIM_400000_NS6detail17trampoline_kernelINS0_14default_configENS1_25partition_config_selectorILNS1_17partition_subalgoE5ElNS0_10empty_typeEbEEZZNS1_14partition_implILS5_5ELb0ES3_mN6hipcub16HIPCUB_304000_NS21CountingInputIteratorIllEEPS6_NSA_22TransformInputIteratorIb7NonZeroIdEPdlEENS0_5tupleIJPlS6_EEENSJ_IJSD_SD_EEES6_SK_JS6_EEE10hipError_tPvRmT3_T4_T5_T6_T7_T9_mT8_P12ihipStream_tbDpT10_ENKUlT_T0_E_clISt17integral_constantIbLb1EES15_IbLb0EEEEDaS11_S12_EUlS11_E_NS1_11comp_targetILNS1_3genE10ELNS1_11target_archE1200ELNS1_3gpuE4ELNS1_3repE0EEENS1_30default_config_static_selectorELNS0_4arch9wavefront6targetE1EEEvT1_
; %bb.0:
	.section	.rodata,"a",@progbits
	.p2align	6, 0x0
	.amdhsa_kernel _ZN7rocprim17ROCPRIM_400000_NS6detail17trampoline_kernelINS0_14default_configENS1_25partition_config_selectorILNS1_17partition_subalgoE5ElNS0_10empty_typeEbEEZZNS1_14partition_implILS5_5ELb0ES3_mN6hipcub16HIPCUB_304000_NS21CountingInputIteratorIllEEPS6_NSA_22TransformInputIteratorIb7NonZeroIdEPdlEENS0_5tupleIJPlS6_EEENSJ_IJSD_SD_EEES6_SK_JS6_EEE10hipError_tPvRmT3_T4_T5_T6_T7_T9_mT8_P12ihipStream_tbDpT10_ENKUlT_T0_E_clISt17integral_constantIbLb1EES15_IbLb0EEEEDaS11_S12_EUlS11_E_NS1_11comp_targetILNS1_3genE10ELNS1_11target_archE1200ELNS1_3gpuE4ELNS1_3repE0EEENS1_30default_config_static_selectorELNS0_4arch9wavefront6targetE1EEEvT1_
		.amdhsa_group_segment_fixed_size 0
		.amdhsa_private_segment_fixed_size 0
		.amdhsa_kernarg_size 120
		.amdhsa_user_sgpr_count 6
		.amdhsa_user_sgpr_private_segment_buffer 1
		.amdhsa_user_sgpr_dispatch_ptr 0
		.amdhsa_user_sgpr_queue_ptr 0
		.amdhsa_user_sgpr_kernarg_segment_ptr 1
		.amdhsa_user_sgpr_dispatch_id 0
		.amdhsa_user_sgpr_flat_scratch_init 0
		.amdhsa_user_sgpr_private_segment_size 0
		.amdhsa_uses_dynamic_stack 0
		.amdhsa_system_sgpr_private_segment_wavefront_offset 0
		.amdhsa_system_sgpr_workgroup_id_x 1
		.amdhsa_system_sgpr_workgroup_id_y 0
		.amdhsa_system_sgpr_workgroup_id_z 0
		.amdhsa_system_sgpr_workgroup_info 0
		.amdhsa_system_vgpr_workitem_id 0
		.amdhsa_next_free_vgpr 1
		.amdhsa_next_free_sgpr 0
		.amdhsa_reserve_vcc 0
		.amdhsa_reserve_flat_scratch 0
		.amdhsa_float_round_mode_32 0
		.amdhsa_float_round_mode_16_64 0
		.amdhsa_float_denorm_mode_32 3
		.amdhsa_float_denorm_mode_16_64 3
		.amdhsa_dx10_clamp 1
		.amdhsa_ieee_mode 1
		.amdhsa_fp16_overflow 0
		.amdhsa_exception_fp_ieee_invalid_op 0
		.amdhsa_exception_fp_denorm_src 0
		.amdhsa_exception_fp_ieee_div_zero 0
		.amdhsa_exception_fp_ieee_overflow 0
		.amdhsa_exception_fp_ieee_underflow 0
		.amdhsa_exception_fp_ieee_inexact 0
		.amdhsa_exception_int_div_zero 0
	.end_amdhsa_kernel
	.section	.text._ZN7rocprim17ROCPRIM_400000_NS6detail17trampoline_kernelINS0_14default_configENS1_25partition_config_selectorILNS1_17partition_subalgoE5ElNS0_10empty_typeEbEEZZNS1_14partition_implILS5_5ELb0ES3_mN6hipcub16HIPCUB_304000_NS21CountingInputIteratorIllEEPS6_NSA_22TransformInputIteratorIb7NonZeroIdEPdlEENS0_5tupleIJPlS6_EEENSJ_IJSD_SD_EEES6_SK_JS6_EEE10hipError_tPvRmT3_T4_T5_T6_T7_T9_mT8_P12ihipStream_tbDpT10_ENKUlT_T0_E_clISt17integral_constantIbLb1EES15_IbLb0EEEEDaS11_S12_EUlS11_E_NS1_11comp_targetILNS1_3genE10ELNS1_11target_archE1200ELNS1_3gpuE4ELNS1_3repE0EEENS1_30default_config_static_selectorELNS0_4arch9wavefront6targetE1EEEvT1_,"axG",@progbits,_ZN7rocprim17ROCPRIM_400000_NS6detail17trampoline_kernelINS0_14default_configENS1_25partition_config_selectorILNS1_17partition_subalgoE5ElNS0_10empty_typeEbEEZZNS1_14partition_implILS5_5ELb0ES3_mN6hipcub16HIPCUB_304000_NS21CountingInputIteratorIllEEPS6_NSA_22TransformInputIteratorIb7NonZeroIdEPdlEENS0_5tupleIJPlS6_EEENSJ_IJSD_SD_EEES6_SK_JS6_EEE10hipError_tPvRmT3_T4_T5_T6_T7_T9_mT8_P12ihipStream_tbDpT10_ENKUlT_T0_E_clISt17integral_constantIbLb1EES15_IbLb0EEEEDaS11_S12_EUlS11_E_NS1_11comp_targetILNS1_3genE10ELNS1_11target_archE1200ELNS1_3gpuE4ELNS1_3repE0EEENS1_30default_config_static_selectorELNS0_4arch9wavefront6targetE1EEEvT1_,comdat
.Lfunc_end342:
	.size	_ZN7rocprim17ROCPRIM_400000_NS6detail17trampoline_kernelINS0_14default_configENS1_25partition_config_selectorILNS1_17partition_subalgoE5ElNS0_10empty_typeEbEEZZNS1_14partition_implILS5_5ELb0ES3_mN6hipcub16HIPCUB_304000_NS21CountingInputIteratorIllEEPS6_NSA_22TransformInputIteratorIb7NonZeroIdEPdlEENS0_5tupleIJPlS6_EEENSJ_IJSD_SD_EEES6_SK_JS6_EEE10hipError_tPvRmT3_T4_T5_T6_T7_T9_mT8_P12ihipStream_tbDpT10_ENKUlT_T0_E_clISt17integral_constantIbLb1EES15_IbLb0EEEEDaS11_S12_EUlS11_E_NS1_11comp_targetILNS1_3genE10ELNS1_11target_archE1200ELNS1_3gpuE4ELNS1_3repE0EEENS1_30default_config_static_selectorELNS0_4arch9wavefront6targetE1EEEvT1_, .Lfunc_end342-_ZN7rocprim17ROCPRIM_400000_NS6detail17trampoline_kernelINS0_14default_configENS1_25partition_config_selectorILNS1_17partition_subalgoE5ElNS0_10empty_typeEbEEZZNS1_14partition_implILS5_5ELb0ES3_mN6hipcub16HIPCUB_304000_NS21CountingInputIteratorIllEEPS6_NSA_22TransformInputIteratorIb7NonZeroIdEPdlEENS0_5tupleIJPlS6_EEENSJ_IJSD_SD_EEES6_SK_JS6_EEE10hipError_tPvRmT3_T4_T5_T6_T7_T9_mT8_P12ihipStream_tbDpT10_ENKUlT_T0_E_clISt17integral_constantIbLb1EES15_IbLb0EEEEDaS11_S12_EUlS11_E_NS1_11comp_targetILNS1_3genE10ELNS1_11target_archE1200ELNS1_3gpuE4ELNS1_3repE0EEENS1_30default_config_static_selectorELNS0_4arch9wavefront6targetE1EEEvT1_
                                        ; -- End function
	.set _ZN7rocprim17ROCPRIM_400000_NS6detail17trampoline_kernelINS0_14default_configENS1_25partition_config_selectorILNS1_17partition_subalgoE5ElNS0_10empty_typeEbEEZZNS1_14partition_implILS5_5ELb0ES3_mN6hipcub16HIPCUB_304000_NS21CountingInputIteratorIllEEPS6_NSA_22TransformInputIteratorIb7NonZeroIdEPdlEENS0_5tupleIJPlS6_EEENSJ_IJSD_SD_EEES6_SK_JS6_EEE10hipError_tPvRmT3_T4_T5_T6_T7_T9_mT8_P12ihipStream_tbDpT10_ENKUlT_T0_E_clISt17integral_constantIbLb1EES15_IbLb0EEEEDaS11_S12_EUlS11_E_NS1_11comp_targetILNS1_3genE10ELNS1_11target_archE1200ELNS1_3gpuE4ELNS1_3repE0EEENS1_30default_config_static_selectorELNS0_4arch9wavefront6targetE1EEEvT1_.num_vgpr, 0
	.set _ZN7rocprim17ROCPRIM_400000_NS6detail17trampoline_kernelINS0_14default_configENS1_25partition_config_selectorILNS1_17partition_subalgoE5ElNS0_10empty_typeEbEEZZNS1_14partition_implILS5_5ELb0ES3_mN6hipcub16HIPCUB_304000_NS21CountingInputIteratorIllEEPS6_NSA_22TransformInputIteratorIb7NonZeroIdEPdlEENS0_5tupleIJPlS6_EEENSJ_IJSD_SD_EEES6_SK_JS6_EEE10hipError_tPvRmT3_T4_T5_T6_T7_T9_mT8_P12ihipStream_tbDpT10_ENKUlT_T0_E_clISt17integral_constantIbLb1EES15_IbLb0EEEEDaS11_S12_EUlS11_E_NS1_11comp_targetILNS1_3genE10ELNS1_11target_archE1200ELNS1_3gpuE4ELNS1_3repE0EEENS1_30default_config_static_selectorELNS0_4arch9wavefront6targetE1EEEvT1_.num_agpr, 0
	.set _ZN7rocprim17ROCPRIM_400000_NS6detail17trampoline_kernelINS0_14default_configENS1_25partition_config_selectorILNS1_17partition_subalgoE5ElNS0_10empty_typeEbEEZZNS1_14partition_implILS5_5ELb0ES3_mN6hipcub16HIPCUB_304000_NS21CountingInputIteratorIllEEPS6_NSA_22TransformInputIteratorIb7NonZeroIdEPdlEENS0_5tupleIJPlS6_EEENSJ_IJSD_SD_EEES6_SK_JS6_EEE10hipError_tPvRmT3_T4_T5_T6_T7_T9_mT8_P12ihipStream_tbDpT10_ENKUlT_T0_E_clISt17integral_constantIbLb1EES15_IbLb0EEEEDaS11_S12_EUlS11_E_NS1_11comp_targetILNS1_3genE10ELNS1_11target_archE1200ELNS1_3gpuE4ELNS1_3repE0EEENS1_30default_config_static_selectorELNS0_4arch9wavefront6targetE1EEEvT1_.numbered_sgpr, 0
	.set _ZN7rocprim17ROCPRIM_400000_NS6detail17trampoline_kernelINS0_14default_configENS1_25partition_config_selectorILNS1_17partition_subalgoE5ElNS0_10empty_typeEbEEZZNS1_14partition_implILS5_5ELb0ES3_mN6hipcub16HIPCUB_304000_NS21CountingInputIteratorIllEEPS6_NSA_22TransformInputIteratorIb7NonZeroIdEPdlEENS0_5tupleIJPlS6_EEENSJ_IJSD_SD_EEES6_SK_JS6_EEE10hipError_tPvRmT3_T4_T5_T6_T7_T9_mT8_P12ihipStream_tbDpT10_ENKUlT_T0_E_clISt17integral_constantIbLb1EES15_IbLb0EEEEDaS11_S12_EUlS11_E_NS1_11comp_targetILNS1_3genE10ELNS1_11target_archE1200ELNS1_3gpuE4ELNS1_3repE0EEENS1_30default_config_static_selectorELNS0_4arch9wavefront6targetE1EEEvT1_.num_named_barrier, 0
	.set _ZN7rocprim17ROCPRIM_400000_NS6detail17trampoline_kernelINS0_14default_configENS1_25partition_config_selectorILNS1_17partition_subalgoE5ElNS0_10empty_typeEbEEZZNS1_14partition_implILS5_5ELb0ES3_mN6hipcub16HIPCUB_304000_NS21CountingInputIteratorIllEEPS6_NSA_22TransformInputIteratorIb7NonZeroIdEPdlEENS0_5tupleIJPlS6_EEENSJ_IJSD_SD_EEES6_SK_JS6_EEE10hipError_tPvRmT3_T4_T5_T6_T7_T9_mT8_P12ihipStream_tbDpT10_ENKUlT_T0_E_clISt17integral_constantIbLb1EES15_IbLb0EEEEDaS11_S12_EUlS11_E_NS1_11comp_targetILNS1_3genE10ELNS1_11target_archE1200ELNS1_3gpuE4ELNS1_3repE0EEENS1_30default_config_static_selectorELNS0_4arch9wavefront6targetE1EEEvT1_.private_seg_size, 0
	.set _ZN7rocprim17ROCPRIM_400000_NS6detail17trampoline_kernelINS0_14default_configENS1_25partition_config_selectorILNS1_17partition_subalgoE5ElNS0_10empty_typeEbEEZZNS1_14partition_implILS5_5ELb0ES3_mN6hipcub16HIPCUB_304000_NS21CountingInputIteratorIllEEPS6_NSA_22TransformInputIteratorIb7NonZeroIdEPdlEENS0_5tupleIJPlS6_EEENSJ_IJSD_SD_EEES6_SK_JS6_EEE10hipError_tPvRmT3_T4_T5_T6_T7_T9_mT8_P12ihipStream_tbDpT10_ENKUlT_T0_E_clISt17integral_constantIbLb1EES15_IbLb0EEEEDaS11_S12_EUlS11_E_NS1_11comp_targetILNS1_3genE10ELNS1_11target_archE1200ELNS1_3gpuE4ELNS1_3repE0EEENS1_30default_config_static_selectorELNS0_4arch9wavefront6targetE1EEEvT1_.uses_vcc, 0
	.set _ZN7rocprim17ROCPRIM_400000_NS6detail17trampoline_kernelINS0_14default_configENS1_25partition_config_selectorILNS1_17partition_subalgoE5ElNS0_10empty_typeEbEEZZNS1_14partition_implILS5_5ELb0ES3_mN6hipcub16HIPCUB_304000_NS21CountingInputIteratorIllEEPS6_NSA_22TransformInputIteratorIb7NonZeroIdEPdlEENS0_5tupleIJPlS6_EEENSJ_IJSD_SD_EEES6_SK_JS6_EEE10hipError_tPvRmT3_T4_T5_T6_T7_T9_mT8_P12ihipStream_tbDpT10_ENKUlT_T0_E_clISt17integral_constantIbLb1EES15_IbLb0EEEEDaS11_S12_EUlS11_E_NS1_11comp_targetILNS1_3genE10ELNS1_11target_archE1200ELNS1_3gpuE4ELNS1_3repE0EEENS1_30default_config_static_selectorELNS0_4arch9wavefront6targetE1EEEvT1_.uses_flat_scratch, 0
	.set _ZN7rocprim17ROCPRIM_400000_NS6detail17trampoline_kernelINS0_14default_configENS1_25partition_config_selectorILNS1_17partition_subalgoE5ElNS0_10empty_typeEbEEZZNS1_14partition_implILS5_5ELb0ES3_mN6hipcub16HIPCUB_304000_NS21CountingInputIteratorIllEEPS6_NSA_22TransformInputIteratorIb7NonZeroIdEPdlEENS0_5tupleIJPlS6_EEENSJ_IJSD_SD_EEES6_SK_JS6_EEE10hipError_tPvRmT3_T4_T5_T6_T7_T9_mT8_P12ihipStream_tbDpT10_ENKUlT_T0_E_clISt17integral_constantIbLb1EES15_IbLb0EEEEDaS11_S12_EUlS11_E_NS1_11comp_targetILNS1_3genE10ELNS1_11target_archE1200ELNS1_3gpuE4ELNS1_3repE0EEENS1_30default_config_static_selectorELNS0_4arch9wavefront6targetE1EEEvT1_.has_dyn_sized_stack, 0
	.set _ZN7rocprim17ROCPRIM_400000_NS6detail17trampoline_kernelINS0_14default_configENS1_25partition_config_selectorILNS1_17partition_subalgoE5ElNS0_10empty_typeEbEEZZNS1_14partition_implILS5_5ELb0ES3_mN6hipcub16HIPCUB_304000_NS21CountingInputIteratorIllEEPS6_NSA_22TransformInputIteratorIb7NonZeroIdEPdlEENS0_5tupleIJPlS6_EEENSJ_IJSD_SD_EEES6_SK_JS6_EEE10hipError_tPvRmT3_T4_T5_T6_T7_T9_mT8_P12ihipStream_tbDpT10_ENKUlT_T0_E_clISt17integral_constantIbLb1EES15_IbLb0EEEEDaS11_S12_EUlS11_E_NS1_11comp_targetILNS1_3genE10ELNS1_11target_archE1200ELNS1_3gpuE4ELNS1_3repE0EEENS1_30default_config_static_selectorELNS0_4arch9wavefront6targetE1EEEvT1_.has_recursion, 0
	.set _ZN7rocprim17ROCPRIM_400000_NS6detail17trampoline_kernelINS0_14default_configENS1_25partition_config_selectorILNS1_17partition_subalgoE5ElNS0_10empty_typeEbEEZZNS1_14partition_implILS5_5ELb0ES3_mN6hipcub16HIPCUB_304000_NS21CountingInputIteratorIllEEPS6_NSA_22TransformInputIteratorIb7NonZeroIdEPdlEENS0_5tupleIJPlS6_EEENSJ_IJSD_SD_EEES6_SK_JS6_EEE10hipError_tPvRmT3_T4_T5_T6_T7_T9_mT8_P12ihipStream_tbDpT10_ENKUlT_T0_E_clISt17integral_constantIbLb1EES15_IbLb0EEEEDaS11_S12_EUlS11_E_NS1_11comp_targetILNS1_3genE10ELNS1_11target_archE1200ELNS1_3gpuE4ELNS1_3repE0EEENS1_30default_config_static_selectorELNS0_4arch9wavefront6targetE1EEEvT1_.has_indirect_call, 0
	.section	.AMDGPU.csdata,"",@progbits
; Kernel info:
; codeLenInByte = 0
; TotalNumSgprs: 4
; NumVgprs: 0
; ScratchSize: 0
; MemoryBound: 0
; FloatMode: 240
; IeeeMode: 1
; LDSByteSize: 0 bytes/workgroup (compile time only)
; SGPRBlocks: 0
; VGPRBlocks: 0
; NumSGPRsForWavesPerEU: 4
; NumVGPRsForWavesPerEU: 1
; Occupancy: 10
; WaveLimiterHint : 0
; COMPUTE_PGM_RSRC2:SCRATCH_EN: 0
; COMPUTE_PGM_RSRC2:USER_SGPR: 6
; COMPUTE_PGM_RSRC2:TRAP_HANDLER: 0
; COMPUTE_PGM_RSRC2:TGID_X_EN: 1
; COMPUTE_PGM_RSRC2:TGID_Y_EN: 0
; COMPUTE_PGM_RSRC2:TGID_Z_EN: 0
; COMPUTE_PGM_RSRC2:TIDIG_COMP_CNT: 0
	.section	.text._ZN7rocprim17ROCPRIM_400000_NS6detail17trampoline_kernelINS0_14default_configENS1_25partition_config_selectorILNS1_17partition_subalgoE5ElNS0_10empty_typeEbEEZZNS1_14partition_implILS5_5ELb0ES3_mN6hipcub16HIPCUB_304000_NS21CountingInputIteratorIllEEPS6_NSA_22TransformInputIteratorIb7NonZeroIdEPdlEENS0_5tupleIJPlS6_EEENSJ_IJSD_SD_EEES6_SK_JS6_EEE10hipError_tPvRmT3_T4_T5_T6_T7_T9_mT8_P12ihipStream_tbDpT10_ENKUlT_T0_E_clISt17integral_constantIbLb1EES15_IbLb0EEEEDaS11_S12_EUlS11_E_NS1_11comp_targetILNS1_3genE9ELNS1_11target_archE1100ELNS1_3gpuE3ELNS1_3repE0EEENS1_30default_config_static_selectorELNS0_4arch9wavefront6targetE1EEEvT1_,"axG",@progbits,_ZN7rocprim17ROCPRIM_400000_NS6detail17trampoline_kernelINS0_14default_configENS1_25partition_config_selectorILNS1_17partition_subalgoE5ElNS0_10empty_typeEbEEZZNS1_14partition_implILS5_5ELb0ES3_mN6hipcub16HIPCUB_304000_NS21CountingInputIteratorIllEEPS6_NSA_22TransformInputIteratorIb7NonZeroIdEPdlEENS0_5tupleIJPlS6_EEENSJ_IJSD_SD_EEES6_SK_JS6_EEE10hipError_tPvRmT3_T4_T5_T6_T7_T9_mT8_P12ihipStream_tbDpT10_ENKUlT_T0_E_clISt17integral_constantIbLb1EES15_IbLb0EEEEDaS11_S12_EUlS11_E_NS1_11comp_targetILNS1_3genE9ELNS1_11target_archE1100ELNS1_3gpuE3ELNS1_3repE0EEENS1_30default_config_static_selectorELNS0_4arch9wavefront6targetE1EEEvT1_,comdat
	.protected	_ZN7rocprim17ROCPRIM_400000_NS6detail17trampoline_kernelINS0_14default_configENS1_25partition_config_selectorILNS1_17partition_subalgoE5ElNS0_10empty_typeEbEEZZNS1_14partition_implILS5_5ELb0ES3_mN6hipcub16HIPCUB_304000_NS21CountingInputIteratorIllEEPS6_NSA_22TransformInputIteratorIb7NonZeroIdEPdlEENS0_5tupleIJPlS6_EEENSJ_IJSD_SD_EEES6_SK_JS6_EEE10hipError_tPvRmT3_T4_T5_T6_T7_T9_mT8_P12ihipStream_tbDpT10_ENKUlT_T0_E_clISt17integral_constantIbLb1EES15_IbLb0EEEEDaS11_S12_EUlS11_E_NS1_11comp_targetILNS1_3genE9ELNS1_11target_archE1100ELNS1_3gpuE3ELNS1_3repE0EEENS1_30default_config_static_selectorELNS0_4arch9wavefront6targetE1EEEvT1_ ; -- Begin function _ZN7rocprim17ROCPRIM_400000_NS6detail17trampoline_kernelINS0_14default_configENS1_25partition_config_selectorILNS1_17partition_subalgoE5ElNS0_10empty_typeEbEEZZNS1_14partition_implILS5_5ELb0ES3_mN6hipcub16HIPCUB_304000_NS21CountingInputIteratorIllEEPS6_NSA_22TransformInputIteratorIb7NonZeroIdEPdlEENS0_5tupleIJPlS6_EEENSJ_IJSD_SD_EEES6_SK_JS6_EEE10hipError_tPvRmT3_T4_T5_T6_T7_T9_mT8_P12ihipStream_tbDpT10_ENKUlT_T0_E_clISt17integral_constantIbLb1EES15_IbLb0EEEEDaS11_S12_EUlS11_E_NS1_11comp_targetILNS1_3genE9ELNS1_11target_archE1100ELNS1_3gpuE3ELNS1_3repE0EEENS1_30default_config_static_selectorELNS0_4arch9wavefront6targetE1EEEvT1_
	.globl	_ZN7rocprim17ROCPRIM_400000_NS6detail17trampoline_kernelINS0_14default_configENS1_25partition_config_selectorILNS1_17partition_subalgoE5ElNS0_10empty_typeEbEEZZNS1_14partition_implILS5_5ELb0ES3_mN6hipcub16HIPCUB_304000_NS21CountingInputIteratorIllEEPS6_NSA_22TransformInputIteratorIb7NonZeroIdEPdlEENS0_5tupleIJPlS6_EEENSJ_IJSD_SD_EEES6_SK_JS6_EEE10hipError_tPvRmT3_T4_T5_T6_T7_T9_mT8_P12ihipStream_tbDpT10_ENKUlT_T0_E_clISt17integral_constantIbLb1EES15_IbLb0EEEEDaS11_S12_EUlS11_E_NS1_11comp_targetILNS1_3genE9ELNS1_11target_archE1100ELNS1_3gpuE3ELNS1_3repE0EEENS1_30default_config_static_selectorELNS0_4arch9wavefront6targetE1EEEvT1_
	.p2align	8
	.type	_ZN7rocprim17ROCPRIM_400000_NS6detail17trampoline_kernelINS0_14default_configENS1_25partition_config_selectorILNS1_17partition_subalgoE5ElNS0_10empty_typeEbEEZZNS1_14partition_implILS5_5ELb0ES3_mN6hipcub16HIPCUB_304000_NS21CountingInputIteratorIllEEPS6_NSA_22TransformInputIteratorIb7NonZeroIdEPdlEENS0_5tupleIJPlS6_EEENSJ_IJSD_SD_EEES6_SK_JS6_EEE10hipError_tPvRmT3_T4_T5_T6_T7_T9_mT8_P12ihipStream_tbDpT10_ENKUlT_T0_E_clISt17integral_constantIbLb1EES15_IbLb0EEEEDaS11_S12_EUlS11_E_NS1_11comp_targetILNS1_3genE9ELNS1_11target_archE1100ELNS1_3gpuE3ELNS1_3repE0EEENS1_30default_config_static_selectorELNS0_4arch9wavefront6targetE1EEEvT1_,@function
_ZN7rocprim17ROCPRIM_400000_NS6detail17trampoline_kernelINS0_14default_configENS1_25partition_config_selectorILNS1_17partition_subalgoE5ElNS0_10empty_typeEbEEZZNS1_14partition_implILS5_5ELb0ES3_mN6hipcub16HIPCUB_304000_NS21CountingInputIteratorIllEEPS6_NSA_22TransformInputIteratorIb7NonZeroIdEPdlEENS0_5tupleIJPlS6_EEENSJ_IJSD_SD_EEES6_SK_JS6_EEE10hipError_tPvRmT3_T4_T5_T6_T7_T9_mT8_P12ihipStream_tbDpT10_ENKUlT_T0_E_clISt17integral_constantIbLb1EES15_IbLb0EEEEDaS11_S12_EUlS11_E_NS1_11comp_targetILNS1_3genE9ELNS1_11target_archE1100ELNS1_3gpuE3ELNS1_3repE0EEENS1_30default_config_static_selectorELNS0_4arch9wavefront6targetE1EEEvT1_: ; @_ZN7rocprim17ROCPRIM_400000_NS6detail17trampoline_kernelINS0_14default_configENS1_25partition_config_selectorILNS1_17partition_subalgoE5ElNS0_10empty_typeEbEEZZNS1_14partition_implILS5_5ELb0ES3_mN6hipcub16HIPCUB_304000_NS21CountingInputIteratorIllEEPS6_NSA_22TransformInputIteratorIb7NonZeroIdEPdlEENS0_5tupleIJPlS6_EEENSJ_IJSD_SD_EEES6_SK_JS6_EEE10hipError_tPvRmT3_T4_T5_T6_T7_T9_mT8_P12ihipStream_tbDpT10_ENKUlT_T0_E_clISt17integral_constantIbLb1EES15_IbLb0EEEEDaS11_S12_EUlS11_E_NS1_11comp_targetILNS1_3genE9ELNS1_11target_archE1100ELNS1_3gpuE3ELNS1_3repE0EEENS1_30default_config_static_selectorELNS0_4arch9wavefront6targetE1EEEvT1_
; %bb.0:
	.section	.rodata,"a",@progbits
	.p2align	6, 0x0
	.amdhsa_kernel _ZN7rocprim17ROCPRIM_400000_NS6detail17trampoline_kernelINS0_14default_configENS1_25partition_config_selectorILNS1_17partition_subalgoE5ElNS0_10empty_typeEbEEZZNS1_14partition_implILS5_5ELb0ES3_mN6hipcub16HIPCUB_304000_NS21CountingInputIteratorIllEEPS6_NSA_22TransformInputIteratorIb7NonZeroIdEPdlEENS0_5tupleIJPlS6_EEENSJ_IJSD_SD_EEES6_SK_JS6_EEE10hipError_tPvRmT3_T4_T5_T6_T7_T9_mT8_P12ihipStream_tbDpT10_ENKUlT_T0_E_clISt17integral_constantIbLb1EES15_IbLb0EEEEDaS11_S12_EUlS11_E_NS1_11comp_targetILNS1_3genE9ELNS1_11target_archE1100ELNS1_3gpuE3ELNS1_3repE0EEENS1_30default_config_static_selectorELNS0_4arch9wavefront6targetE1EEEvT1_
		.amdhsa_group_segment_fixed_size 0
		.amdhsa_private_segment_fixed_size 0
		.amdhsa_kernarg_size 120
		.amdhsa_user_sgpr_count 6
		.amdhsa_user_sgpr_private_segment_buffer 1
		.amdhsa_user_sgpr_dispatch_ptr 0
		.amdhsa_user_sgpr_queue_ptr 0
		.amdhsa_user_sgpr_kernarg_segment_ptr 1
		.amdhsa_user_sgpr_dispatch_id 0
		.amdhsa_user_sgpr_flat_scratch_init 0
		.amdhsa_user_sgpr_private_segment_size 0
		.amdhsa_uses_dynamic_stack 0
		.amdhsa_system_sgpr_private_segment_wavefront_offset 0
		.amdhsa_system_sgpr_workgroup_id_x 1
		.amdhsa_system_sgpr_workgroup_id_y 0
		.amdhsa_system_sgpr_workgroup_id_z 0
		.amdhsa_system_sgpr_workgroup_info 0
		.amdhsa_system_vgpr_workitem_id 0
		.amdhsa_next_free_vgpr 1
		.amdhsa_next_free_sgpr 0
		.amdhsa_reserve_vcc 0
		.amdhsa_reserve_flat_scratch 0
		.amdhsa_float_round_mode_32 0
		.amdhsa_float_round_mode_16_64 0
		.amdhsa_float_denorm_mode_32 3
		.amdhsa_float_denorm_mode_16_64 3
		.amdhsa_dx10_clamp 1
		.amdhsa_ieee_mode 1
		.amdhsa_fp16_overflow 0
		.amdhsa_exception_fp_ieee_invalid_op 0
		.amdhsa_exception_fp_denorm_src 0
		.amdhsa_exception_fp_ieee_div_zero 0
		.amdhsa_exception_fp_ieee_overflow 0
		.amdhsa_exception_fp_ieee_underflow 0
		.amdhsa_exception_fp_ieee_inexact 0
		.amdhsa_exception_int_div_zero 0
	.end_amdhsa_kernel
	.section	.text._ZN7rocprim17ROCPRIM_400000_NS6detail17trampoline_kernelINS0_14default_configENS1_25partition_config_selectorILNS1_17partition_subalgoE5ElNS0_10empty_typeEbEEZZNS1_14partition_implILS5_5ELb0ES3_mN6hipcub16HIPCUB_304000_NS21CountingInputIteratorIllEEPS6_NSA_22TransformInputIteratorIb7NonZeroIdEPdlEENS0_5tupleIJPlS6_EEENSJ_IJSD_SD_EEES6_SK_JS6_EEE10hipError_tPvRmT3_T4_T5_T6_T7_T9_mT8_P12ihipStream_tbDpT10_ENKUlT_T0_E_clISt17integral_constantIbLb1EES15_IbLb0EEEEDaS11_S12_EUlS11_E_NS1_11comp_targetILNS1_3genE9ELNS1_11target_archE1100ELNS1_3gpuE3ELNS1_3repE0EEENS1_30default_config_static_selectorELNS0_4arch9wavefront6targetE1EEEvT1_,"axG",@progbits,_ZN7rocprim17ROCPRIM_400000_NS6detail17trampoline_kernelINS0_14default_configENS1_25partition_config_selectorILNS1_17partition_subalgoE5ElNS0_10empty_typeEbEEZZNS1_14partition_implILS5_5ELb0ES3_mN6hipcub16HIPCUB_304000_NS21CountingInputIteratorIllEEPS6_NSA_22TransformInputIteratorIb7NonZeroIdEPdlEENS0_5tupleIJPlS6_EEENSJ_IJSD_SD_EEES6_SK_JS6_EEE10hipError_tPvRmT3_T4_T5_T6_T7_T9_mT8_P12ihipStream_tbDpT10_ENKUlT_T0_E_clISt17integral_constantIbLb1EES15_IbLb0EEEEDaS11_S12_EUlS11_E_NS1_11comp_targetILNS1_3genE9ELNS1_11target_archE1100ELNS1_3gpuE3ELNS1_3repE0EEENS1_30default_config_static_selectorELNS0_4arch9wavefront6targetE1EEEvT1_,comdat
.Lfunc_end343:
	.size	_ZN7rocprim17ROCPRIM_400000_NS6detail17trampoline_kernelINS0_14default_configENS1_25partition_config_selectorILNS1_17partition_subalgoE5ElNS0_10empty_typeEbEEZZNS1_14partition_implILS5_5ELb0ES3_mN6hipcub16HIPCUB_304000_NS21CountingInputIteratorIllEEPS6_NSA_22TransformInputIteratorIb7NonZeroIdEPdlEENS0_5tupleIJPlS6_EEENSJ_IJSD_SD_EEES6_SK_JS6_EEE10hipError_tPvRmT3_T4_T5_T6_T7_T9_mT8_P12ihipStream_tbDpT10_ENKUlT_T0_E_clISt17integral_constantIbLb1EES15_IbLb0EEEEDaS11_S12_EUlS11_E_NS1_11comp_targetILNS1_3genE9ELNS1_11target_archE1100ELNS1_3gpuE3ELNS1_3repE0EEENS1_30default_config_static_selectorELNS0_4arch9wavefront6targetE1EEEvT1_, .Lfunc_end343-_ZN7rocprim17ROCPRIM_400000_NS6detail17trampoline_kernelINS0_14default_configENS1_25partition_config_selectorILNS1_17partition_subalgoE5ElNS0_10empty_typeEbEEZZNS1_14partition_implILS5_5ELb0ES3_mN6hipcub16HIPCUB_304000_NS21CountingInputIteratorIllEEPS6_NSA_22TransformInputIteratorIb7NonZeroIdEPdlEENS0_5tupleIJPlS6_EEENSJ_IJSD_SD_EEES6_SK_JS6_EEE10hipError_tPvRmT3_T4_T5_T6_T7_T9_mT8_P12ihipStream_tbDpT10_ENKUlT_T0_E_clISt17integral_constantIbLb1EES15_IbLb0EEEEDaS11_S12_EUlS11_E_NS1_11comp_targetILNS1_3genE9ELNS1_11target_archE1100ELNS1_3gpuE3ELNS1_3repE0EEENS1_30default_config_static_selectorELNS0_4arch9wavefront6targetE1EEEvT1_
                                        ; -- End function
	.set _ZN7rocprim17ROCPRIM_400000_NS6detail17trampoline_kernelINS0_14default_configENS1_25partition_config_selectorILNS1_17partition_subalgoE5ElNS0_10empty_typeEbEEZZNS1_14partition_implILS5_5ELb0ES3_mN6hipcub16HIPCUB_304000_NS21CountingInputIteratorIllEEPS6_NSA_22TransformInputIteratorIb7NonZeroIdEPdlEENS0_5tupleIJPlS6_EEENSJ_IJSD_SD_EEES6_SK_JS6_EEE10hipError_tPvRmT3_T4_T5_T6_T7_T9_mT8_P12ihipStream_tbDpT10_ENKUlT_T0_E_clISt17integral_constantIbLb1EES15_IbLb0EEEEDaS11_S12_EUlS11_E_NS1_11comp_targetILNS1_3genE9ELNS1_11target_archE1100ELNS1_3gpuE3ELNS1_3repE0EEENS1_30default_config_static_selectorELNS0_4arch9wavefront6targetE1EEEvT1_.num_vgpr, 0
	.set _ZN7rocprim17ROCPRIM_400000_NS6detail17trampoline_kernelINS0_14default_configENS1_25partition_config_selectorILNS1_17partition_subalgoE5ElNS0_10empty_typeEbEEZZNS1_14partition_implILS5_5ELb0ES3_mN6hipcub16HIPCUB_304000_NS21CountingInputIteratorIllEEPS6_NSA_22TransformInputIteratorIb7NonZeroIdEPdlEENS0_5tupleIJPlS6_EEENSJ_IJSD_SD_EEES6_SK_JS6_EEE10hipError_tPvRmT3_T4_T5_T6_T7_T9_mT8_P12ihipStream_tbDpT10_ENKUlT_T0_E_clISt17integral_constantIbLb1EES15_IbLb0EEEEDaS11_S12_EUlS11_E_NS1_11comp_targetILNS1_3genE9ELNS1_11target_archE1100ELNS1_3gpuE3ELNS1_3repE0EEENS1_30default_config_static_selectorELNS0_4arch9wavefront6targetE1EEEvT1_.num_agpr, 0
	.set _ZN7rocprim17ROCPRIM_400000_NS6detail17trampoline_kernelINS0_14default_configENS1_25partition_config_selectorILNS1_17partition_subalgoE5ElNS0_10empty_typeEbEEZZNS1_14partition_implILS5_5ELb0ES3_mN6hipcub16HIPCUB_304000_NS21CountingInputIteratorIllEEPS6_NSA_22TransformInputIteratorIb7NonZeroIdEPdlEENS0_5tupleIJPlS6_EEENSJ_IJSD_SD_EEES6_SK_JS6_EEE10hipError_tPvRmT3_T4_T5_T6_T7_T9_mT8_P12ihipStream_tbDpT10_ENKUlT_T0_E_clISt17integral_constantIbLb1EES15_IbLb0EEEEDaS11_S12_EUlS11_E_NS1_11comp_targetILNS1_3genE9ELNS1_11target_archE1100ELNS1_3gpuE3ELNS1_3repE0EEENS1_30default_config_static_selectorELNS0_4arch9wavefront6targetE1EEEvT1_.numbered_sgpr, 0
	.set _ZN7rocprim17ROCPRIM_400000_NS6detail17trampoline_kernelINS0_14default_configENS1_25partition_config_selectorILNS1_17partition_subalgoE5ElNS0_10empty_typeEbEEZZNS1_14partition_implILS5_5ELb0ES3_mN6hipcub16HIPCUB_304000_NS21CountingInputIteratorIllEEPS6_NSA_22TransformInputIteratorIb7NonZeroIdEPdlEENS0_5tupleIJPlS6_EEENSJ_IJSD_SD_EEES6_SK_JS6_EEE10hipError_tPvRmT3_T4_T5_T6_T7_T9_mT8_P12ihipStream_tbDpT10_ENKUlT_T0_E_clISt17integral_constantIbLb1EES15_IbLb0EEEEDaS11_S12_EUlS11_E_NS1_11comp_targetILNS1_3genE9ELNS1_11target_archE1100ELNS1_3gpuE3ELNS1_3repE0EEENS1_30default_config_static_selectorELNS0_4arch9wavefront6targetE1EEEvT1_.num_named_barrier, 0
	.set _ZN7rocprim17ROCPRIM_400000_NS6detail17trampoline_kernelINS0_14default_configENS1_25partition_config_selectorILNS1_17partition_subalgoE5ElNS0_10empty_typeEbEEZZNS1_14partition_implILS5_5ELb0ES3_mN6hipcub16HIPCUB_304000_NS21CountingInputIteratorIllEEPS6_NSA_22TransformInputIteratorIb7NonZeroIdEPdlEENS0_5tupleIJPlS6_EEENSJ_IJSD_SD_EEES6_SK_JS6_EEE10hipError_tPvRmT3_T4_T5_T6_T7_T9_mT8_P12ihipStream_tbDpT10_ENKUlT_T0_E_clISt17integral_constantIbLb1EES15_IbLb0EEEEDaS11_S12_EUlS11_E_NS1_11comp_targetILNS1_3genE9ELNS1_11target_archE1100ELNS1_3gpuE3ELNS1_3repE0EEENS1_30default_config_static_selectorELNS0_4arch9wavefront6targetE1EEEvT1_.private_seg_size, 0
	.set _ZN7rocprim17ROCPRIM_400000_NS6detail17trampoline_kernelINS0_14default_configENS1_25partition_config_selectorILNS1_17partition_subalgoE5ElNS0_10empty_typeEbEEZZNS1_14partition_implILS5_5ELb0ES3_mN6hipcub16HIPCUB_304000_NS21CountingInputIteratorIllEEPS6_NSA_22TransformInputIteratorIb7NonZeroIdEPdlEENS0_5tupleIJPlS6_EEENSJ_IJSD_SD_EEES6_SK_JS6_EEE10hipError_tPvRmT3_T4_T5_T6_T7_T9_mT8_P12ihipStream_tbDpT10_ENKUlT_T0_E_clISt17integral_constantIbLb1EES15_IbLb0EEEEDaS11_S12_EUlS11_E_NS1_11comp_targetILNS1_3genE9ELNS1_11target_archE1100ELNS1_3gpuE3ELNS1_3repE0EEENS1_30default_config_static_selectorELNS0_4arch9wavefront6targetE1EEEvT1_.uses_vcc, 0
	.set _ZN7rocprim17ROCPRIM_400000_NS6detail17trampoline_kernelINS0_14default_configENS1_25partition_config_selectorILNS1_17partition_subalgoE5ElNS0_10empty_typeEbEEZZNS1_14partition_implILS5_5ELb0ES3_mN6hipcub16HIPCUB_304000_NS21CountingInputIteratorIllEEPS6_NSA_22TransformInputIteratorIb7NonZeroIdEPdlEENS0_5tupleIJPlS6_EEENSJ_IJSD_SD_EEES6_SK_JS6_EEE10hipError_tPvRmT3_T4_T5_T6_T7_T9_mT8_P12ihipStream_tbDpT10_ENKUlT_T0_E_clISt17integral_constantIbLb1EES15_IbLb0EEEEDaS11_S12_EUlS11_E_NS1_11comp_targetILNS1_3genE9ELNS1_11target_archE1100ELNS1_3gpuE3ELNS1_3repE0EEENS1_30default_config_static_selectorELNS0_4arch9wavefront6targetE1EEEvT1_.uses_flat_scratch, 0
	.set _ZN7rocprim17ROCPRIM_400000_NS6detail17trampoline_kernelINS0_14default_configENS1_25partition_config_selectorILNS1_17partition_subalgoE5ElNS0_10empty_typeEbEEZZNS1_14partition_implILS5_5ELb0ES3_mN6hipcub16HIPCUB_304000_NS21CountingInputIteratorIllEEPS6_NSA_22TransformInputIteratorIb7NonZeroIdEPdlEENS0_5tupleIJPlS6_EEENSJ_IJSD_SD_EEES6_SK_JS6_EEE10hipError_tPvRmT3_T4_T5_T6_T7_T9_mT8_P12ihipStream_tbDpT10_ENKUlT_T0_E_clISt17integral_constantIbLb1EES15_IbLb0EEEEDaS11_S12_EUlS11_E_NS1_11comp_targetILNS1_3genE9ELNS1_11target_archE1100ELNS1_3gpuE3ELNS1_3repE0EEENS1_30default_config_static_selectorELNS0_4arch9wavefront6targetE1EEEvT1_.has_dyn_sized_stack, 0
	.set _ZN7rocprim17ROCPRIM_400000_NS6detail17trampoline_kernelINS0_14default_configENS1_25partition_config_selectorILNS1_17partition_subalgoE5ElNS0_10empty_typeEbEEZZNS1_14partition_implILS5_5ELb0ES3_mN6hipcub16HIPCUB_304000_NS21CountingInputIteratorIllEEPS6_NSA_22TransformInputIteratorIb7NonZeroIdEPdlEENS0_5tupleIJPlS6_EEENSJ_IJSD_SD_EEES6_SK_JS6_EEE10hipError_tPvRmT3_T4_T5_T6_T7_T9_mT8_P12ihipStream_tbDpT10_ENKUlT_T0_E_clISt17integral_constantIbLb1EES15_IbLb0EEEEDaS11_S12_EUlS11_E_NS1_11comp_targetILNS1_3genE9ELNS1_11target_archE1100ELNS1_3gpuE3ELNS1_3repE0EEENS1_30default_config_static_selectorELNS0_4arch9wavefront6targetE1EEEvT1_.has_recursion, 0
	.set _ZN7rocprim17ROCPRIM_400000_NS6detail17trampoline_kernelINS0_14default_configENS1_25partition_config_selectorILNS1_17partition_subalgoE5ElNS0_10empty_typeEbEEZZNS1_14partition_implILS5_5ELb0ES3_mN6hipcub16HIPCUB_304000_NS21CountingInputIteratorIllEEPS6_NSA_22TransformInputIteratorIb7NonZeroIdEPdlEENS0_5tupleIJPlS6_EEENSJ_IJSD_SD_EEES6_SK_JS6_EEE10hipError_tPvRmT3_T4_T5_T6_T7_T9_mT8_P12ihipStream_tbDpT10_ENKUlT_T0_E_clISt17integral_constantIbLb1EES15_IbLb0EEEEDaS11_S12_EUlS11_E_NS1_11comp_targetILNS1_3genE9ELNS1_11target_archE1100ELNS1_3gpuE3ELNS1_3repE0EEENS1_30default_config_static_selectorELNS0_4arch9wavefront6targetE1EEEvT1_.has_indirect_call, 0
	.section	.AMDGPU.csdata,"",@progbits
; Kernel info:
; codeLenInByte = 0
; TotalNumSgprs: 4
; NumVgprs: 0
; ScratchSize: 0
; MemoryBound: 0
; FloatMode: 240
; IeeeMode: 1
; LDSByteSize: 0 bytes/workgroup (compile time only)
; SGPRBlocks: 0
; VGPRBlocks: 0
; NumSGPRsForWavesPerEU: 4
; NumVGPRsForWavesPerEU: 1
; Occupancy: 10
; WaveLimiterHint : 0
; COMPUTE_PGM_RSRC2:SCRATCH_EN: 0
; COMPUTE_PGM_RSRC2:USER_SGPR: 6
; COMPUTE_PGM_RSRC2:TRAP_HANDLER: 0
; COMPUTE_PGM_RSRC2:TGID_X_EN: 1
; COMPUTE_PGM_RSRC2:TGID_Y_EN: 0
; COMPUTE_PGM_RSRC2:TGID_Z_EN: 0
; COMPUTE_PGM_RSRC2:TIDIG_COMP_CNT: 0
	.section	.text._ZN7rocprim17ROCPRIM_400000_NS6detail17trampoline_kernelINS0_14default_configENS1_25partition_config_selectorILNS1_17partition_subalgoE5ElNS0_10empty_typeEbEEZZNS1_14partition_implILS5_5ELb0ES3_mN6hipcub16HIPCUB_304000_NS21CountingInputIteratorIllEEPS6_NSA_22TransformInputIteratorIb7NonZeroIdEPdlEENS0_5tupleIJPlS6_EEENSJ_IJSD_SD_EEES6_SK_JS6_EEE10hipError_tPvRmT3_T4_T5_T6_T7_T9_mT8_P12ihipStream_tbDpT10_ENKUlT_T0_E_clISt17integral_constantIbLb1EES15_IbLb0EEEEDaS11_S12_EUlS11_E_NS1_11comp_targetILNS1_3genE8ELNS1_11target_archE1030ELNS1_3gpuE2ELNS1_3repE0EEENS1_30default_config_static_selectorELNS0_4arch9wavefront6targetE1EEEvT1_,"axG",@progbits,_ZN7rocprim17ROCPRIM_400000_NS6detail17trampoline_kernelINS0_14default_configENS1_25partition_config_selectorILNS1_17partition_subalgoE5ElNS0_10empty_typeEbEEZZNS1_14partition_implILS5_5ELb0ES3_mN6hipcub16HIPCUB_304000_NS21CountingInputIteratorIllEEPS6_NSA_22TransformInputIteratorIb7NonZeroIdEPdlEENS0_5tupleIJPlS6_EEENSJ_IJSD_SD_EEES6_SK_JS6_EEE10hipError_tPvRmT3_T4_T5_T6_T7_T9_mT8_P12ihipStream_tbDpT10_ENKUlT_T0_E_clISt17integral_constantIbLb1EES15_IbLb0EEEEDaS11_S12_EUlS11_E_NS1_11comp_targetILNS1_3genE8ELNS1_11target_archE1030ELNS1_3gpuE2ELNS1_3repE0EEENS1_30default_config_static_selectorELNS0_4arch9wavefront6targetE1EEEvT1_,comdat
	.protected	_ZN7rocprim17ROCPRIM_400000_NS6detail17trampoline_kernelINS0_14default_configENS1_25partition_config_selectorILNS1_17partition_subalgoE5ElNS0_10empty_typeEbEEZZNS1_14partition_implILS5_5ELb0ES3_mN6hipcub16HIPCUB_304000_NS21CountingInputIteratorIllEEPS6_NSA_22TransformInputIteratorIb7NonZeroIdEPdlEENS0_5tupleIJPlS6_EEENSJ_IJSD_SD_EEES6_SK_JS6_EEE10hipError_tPvRmT3_T4_T5_T6_T7_T9_mT8_P12ihipStream_tbDpT10_ENKUlT_T0_E_clISt17integral_constantIbLb1EES15_IbLb0EEEEDaS11_S12_EUlS11_E_NS1_11comp_targetILNS1_3genE8ELNS1_11target_archE1030ELNS1_3gpuE2ELNS1_3repE0EEENS1_30default_config_static_selectorELNS0_4arch9wavefront6targetE1EEEvT1_ ; -- Begin function _ZN7rocprim17ROCPRIM_400000_NS6detail17trampoline_kernelINS0_14default_configENS1_25partition_config_selectorILNS1_17partition_subalgoE5ElNS0_10empty_typeEbEEZZNS1_14partition_implILS5_5ELb0ES3_mN6hipcub16HIPCUB_304000_NS21CountingInputIteratorIllEEPS6_NSA_22TransformInputIteratorIb7NonZeroIdEPdlEENS0_5tupleIJPlS6_EEENSJ_IJSD_SD_EEES6_SK_JS6_EEE10hipError_tPvRmT3_T4_T5_T6_T7_T9_mT8_P12ihipStream_tbDpT10_ENKUlT_T0_E_clISt17integral_constantIbLb1EES15_IbLb0EEEEDaS11_S12_EUlS11_E_NS1_11comp_targetILNS1_3genE8ELNS1_11target_archE1030ELNS1_3gpuE2ELNS1_3repE0EEENS1_30default_config_static_selectorELNS0_4arch9wavefront6targetE1EEEvT1_
	.globl	_ZN7rocprim17ROCPRIM_400000_NS6detail17trampoline_kernelINS0_14default_configENS1_25partition_config_selectorILNS1_17partition_subalgoE5ElNS0_10empty_typeEbEEZZNS1_14partition_implILS5_5ELb0ES3_mN6hipcub16HIPCUB_304000_NS21CountingInputIteratorIllEEPS6_NSA_22TransformInputIteratorIb7NonZeroIdEPdlEENS0_5tupleIJPlS6_EEENSJ_IJSD_SD_EEES6_SK_JS6_EEE10hipError_tPvRmT3_T4_T5_T6_T7_T9_mT8_P12ihipStream_tbDpT10_ENKUlT_T0_E_clISt17integral_constantIbLb1EES15_IbLb0EEEEDaS11_S12_EUlS11_E_NS1_11comp_targetILNS1_3genE8ELNS1_11target_archE1030ELNS1_3gpuE2ELNS1_3repE0EEENS1_30default_config_static_selectorELNS0_4arch9wavefront6targetE1EEEvT1_
	.p2align	8
	.type	_ZN7rocprim17ROCPRIM_400000_NS6detail17trampoline_kernelINS0_14default_configENS1_25partition_config_selectorILNS1_17partition_subalgoE5ElNS0_10empty_typeEbEEZZNS1_14partition_implILS5_5ELb0ES3_mN6hipcub16HIPCUB_304000_NS21CountingInputIteratorIllEEPS6_NSA_22TransformInputIteratorIb7NonZeroIdEPdlEENS0_5tupleIJPlS6_EEENSJ_IJSD_SD_EEES6_SK_JS6_EEE10hipError_tPvRmT3_T4_T5_T6_T7_T9_mT8_P12ihipStream_tbDpT10_ENKUlT_T0_E_clISt17integral_constantIbLb1EES15_IbLb0EEEEDaS11_S12_EUlS11_E_NS1_11comp_targetILNS1_3genE8ELNS1_11target_archE1030ELNS1_3gpuE2ELNS1_3repE0EEENS1_30default_config_static_selectorELNS0_4arch9wavefront6targetE1EEEvT1_,@function
_ZN7rocprim17ROCPRIM_400000_NS6detail17trampoline_kernelINS0_14default_configENS1_25partition_config_selectorILNS1_17partition_subalgoE5ElNS0_10empty_typeEbEEZZNS1_14partition_implILS5_5ELb0ES3_mN6hipcub16HIPCUB_304000_NS21CountingInputIteratorIllEEPS6_NSA_22TransformInputIteratorIb7NonZeroIdEPdlEENS0_5tupleIJPlS6_EEENSJ_IJSD_SD_EEES6_SK_JS6_EEE10hipError_tPvRmT3_T4_T5_T6_T7_T9_mT8_P12ihipStream_tbDpT10_ENKUlT_T0_E_clISt17integral_constantIbLb1EES15_IbLb0EEEEDaS11_S12_EUlS11_E_NS1_11comp_targetILNS1_3genE8ELNS1_11target_archE1030ELNS1_3gpuE2ELNS1_3repE0EEENS1_30default_config_static_selectorELNS0_4arch9wavefront6targetE1EEEvT1_: ; @_ZN7rocprim17ROCPRIM_400000_NS6detail17trampoline_kernelINS0_14default_configENS1_25partition_config_selectorILNS1_17partition_subalgoE5ElNS0_10empty_typeEbEEZZNS1_14partition_implILS5_5ELb0ES3_mN6hipcub16HIPCUB_304000_NS21CountingInputIteratorIllEEPS6_NSA_22TransformInputIteratorIb7NonZeroIdEPdlEENS0_5tupleIJPlS6_EEENSJ_IJSD_SD_EEES6_SK_JS6_EEE10hipError_tPvRmT3_T4_T5_T6_T7_T9_mT8_P12ihipStream_tbDpT10_ENKUlT_T0_E_clISt17integral_constantIbLb1EES15_IbLb0EEEEDaS11_S12_EUlS11_E_NS1_11comp_targetILNS1_3genE8ELNS1_11target_archE1030ELNS1_3gpuE2ELNS1_3repE0EEENS1_30default_config_static_selectorELNS0_4arch9wavefront6targetE1EEEvT1_
; %bb.0:
	.section	.rodata,"a",@progbits
	.p2align	6, 0x0
	.amdhsa_kernel _ZN7rocprim17ROCPRIM_400000_NS6detail17trampoline_kernelINS0_14default_configENS1_25partition_config_selectorILNS1_17partition_subalgoE5ElNS0_10empty_typeEbEEZZNS1_14partition_implILS5_5ELb0ES3_mN6hipcub16HIPCUB_304000_NS21CountingInputIteratorIllEEPS6_NSA_22TransformInputIteratorIb7NonZeroIdEPdlEENS0_5tupleIJPlS6_EEENSJ_IJSD_SD_EEES6_SK_JS6_EEE10hipError_tPvRmT3_T4_T5_T6_T7_T9_mT8_P12ihipStream_tbDpT10_ENKUlT_T0_E_clISt17integral_constantIbLb1EES15_IbLb0EEEEDaS11_S12_EUlS11_E_NS1_11comp_targetILNS1_3genE8ELNS1_11target_archE1030ELNS1_3gpuE2ELNS1_3repE0EEENS1_30default_config_static_selectorELNS0_4arch9wavefront6targetE1EEEvT1_
		.amdhsa_group_segment_fixed_size 0
		.amdhsa_private_segment_fixed_size 0
		.amdhsa_kernarg_size 120
		.amdhsa_user_sgpr_count 6
		.amdhsa_user_sgpr_private_segment_buffer 1
		.amdhsa_user_sgpr_dispatch_ptr 0
		.amdhsa_user_sgpr_queue_ptr 0
		.amdhsa_user_sgpr_kernarg_segment_ptr 1
		.amdhsa_user_sgpr_dispatch_id 0
		.amdhsa_user_sgpr_flat_scratch_init 0
		.amdhsa_user_sgpr_private_segment_size 0
		.amdhsa_uses_dynamic_stack 0
		.amdhsa_system_sgpr_private_segment_wavefront_offset 0
		.amdhsa_system_sgpr_workgroup_id_x 1
		.amdhsa_system_sgpr_workgroup_id_y 0
		.amdhsa_system_sgpr_workgroup_id_z 0
		.amdhsa_system_sgpr_workgroup_info 0
		.amdhsa_system_vgpr_workitem_id 0
		.amdhsa_next_free_vgpr 1
		.amdhsa_next_free_sgpr 0
		.amdhsa_reserve_vcc 0
		.amdhsa_reserve_flat_scratch 0
		.amdhsa_float_round_mode_32 0
		.amdhsa_float_round_mode_16_64 0
		.amdhsa_float_denorm_mode_32 3
		.amdhsa_float_denorm_mode_16_64 3
		.amdhsa_dx10_clamp 1
		.amdhsa_ieee_mode 1
		.amdhsa_fp16_overflow 0
		.amdhsa_exception_fp_ieee_invalid_op 0
		.amdhsa_exception_fp_denorm_src 0
		.amdhsa_exception_fp_ieee_div_zero 0
		.amdhsa_exception_fp_ieee_overflow 0
		.amdhsa_exception_fp_ieee_underflow 0
		.amdhsa_exception_fp_ieee_inexact 0
		.amdhsa_exception_int_div_zero 0
	.end_amdhsa_kernel
	.section	.text._ZN7rocprim17ROCPRIM_400000_NS6detail17trampoline_kernelINS0_14default_configENS1_25partition_config_selectorILNS1_17partition_subalgoE5ElNS0_10empty_typeEbEEZZNS1_14partition_implILS5_5ELb0ES3_mN6hipcub16HIPCUB_304000_NS21CountingInputIteratorIllEEPS6_NSA_22TransformInputIteratorIb7NonZeroIdEPdlEENS0_5tupleIJPlS6_EEENSJ_IJSD_SD_EEES6_SK_JS6_EEE10hipError_tPvRmT3_T4_T5_T6_T7_T9_mT8_P12ihipStream_tbDpT10_ENKUlT_T0_E_clISt17integral_constantIbLb1EES15_IbLb0EEEEDaS11_S12_EUlS11_E_NS1_11comp_targetILNS1_3genE8ELNS1_11target_archE1030ELNS1_3gpuE2ELNS1_3repE0EEENS1_30default_config_static_selectorELNS0_4arch9wavefront6targetE1EEEvT1_,"axG",@progbits,_ZN7rocprim17ROCPRIM_400000_NS6detail17trampoline_kernelINS0_14default_configENS1_25partition_config_selectorILNS1_17partition_subalgoE5ElNS0_10empty_typeEbEEZZNS1_14partition_implILS5_5ELb0ES3_mN6hipcub16HIPCUB_304000_NS21CountingInputIteratorIllEEPS6_NSA_22TransformInputIteratorIb7NonZeroIdEPdlEENS0_5tupleIJPlS6_EEENSJ_IJSD_SD_EEES6_SK_JS6_EEE10hipError_tPvRmT3_T4_T5_T6_T7_T9_mT8_P12ihipStream_tbDpT10_ENKUlT_T0_E_clISt17integral_constantIbLb1EES15_IbLb0EEEEDaS11_S12_EUlS11_E_NS1_11comp_targetILNS1_3genE8ELNS1_11target_archE1030ELNS1_3gpuE2ELNS1_3repE0EEENS1_30default_config_static_selectorELNS0_4arch9wavefront6targetE1EEEvT1_,comdat
.Lfunc_end344:
	.size	_ZN7rocprim17ROCPRIM_400000_NS6detail17trampoline_kernelINS0_14default_configENS1_25partition_config_selectorILNS1_17partition_subalgoE5ElNS0_10empty_typeEbEEZZNS1_14partition_implILS5_5ELb0ES3_mN6hipcub16HIPCUB_304000_NS21CountingInputIteratorIllEEPS6_NSA_22TransformInputIteratorIb7NonZeroIdEPdlEENS0_5tupleIJPlS6_EEENSJ_IJSD_SD_EEES6_SK_JS6_EEE10hipError_tPvRmT3_T4_T5_T6_T7_T9_mT8_P12ihipStream_tbDpT10_ENKUlT_T0_E_clISt17integral_constantIbLb1EES15_IbLb0EEEEDaS11_S12_EUlS11_E_NS1_11comp_targetILNS1_3genE8ELNS1_11target_archE1030ELNS1_3gpuE2ELNS1_3repE0EEENS1_30default_config_static_selectorELNS0_4arch9wavefront6targetE1EEEvT1_, .Lfunc_end344-_ZN7rocprim17ROCPRIM_400000_NS6detail17trampoline_kernelINS0_14default_configENS1_25partition_config_selectorILNS1_17partition_subalgoE5ElNS0_10empty_typeEbEEZZNS1_14partition_implILS5_5ELb0ES3_mN6hipcub16HIPCUB_304000_NS21CountingInputIteratorIllEEPS6_NSA_22TransformInputIteratorIb7NonZeroIdEPdlEENS0_5tupleIJPlS6_EEENSJ_IJSD_SD_EEES6_SK_JS6_EEE10hipError_tPvRmT3_T4_T5_T6_T7_T9_mT8_P12ihipStream_tbDpT10_ENKUlT_T0_E_clISt17integral_constantIbLb1EES15_IbLb0EEEEDaS11_S12_EUlS11_E_NS1_11comp_targetILNS1_3genE8ELNS1_11target_archE1030ELNS1_3gpuE2ELNS1_3repE0EEENS1_30default_config_static_selectorELNS0_4arch9wavefront6targetE1EEEvT1_
                                        ; -- End function
	.set _ZN7rocprim17ROCPRIM_400000_NS6detail17trampoline_kernelINS0_14default_configENS1_25partition_config_selectorILNS1_17partition_subalgoE5ElNS0_10empty_typeEbEEZZNS1_14partition_implILS5_5ELb0ES3_mN6hipcub16HIPCUB_304000_NS21CountingInputIteratorIllEEPS6_NSA_22TransformInputIteratorIb7NonZeroIdEPdlEENS0_5tupleIJPlS6_EEENSJ_IJSD_SD_EEES6_SK_JS6_EEE10hipError_tPvRmT3_T4_T5_T6_T7_T9_mT8_P12ihipStream_tbDpT10_ENKUlT_T0_E_clISt17integral_constantIbLb1EES15_IbLb0EEEEDaS11_S12_EUlS11_E_NS1_11comp_targetILNS1_3genE8ELNS1_11target_archE1030ELNS1_3gpuE2ELNS1_3repE0EEENS1_30default_config_static_selectorELNS0_4arch9wavefront6targetE1EEEvT1_.num_vgpr, 0
	.set _ZN7rocprim17ROCPRIM_400000_NS6detail17trampoline_kernelINS0_14default_configENS1_25partition_config_selectorILNS1_17partition_subalgoE5ElNS0_10empty_typeEbEEZZNS1_14partition_implILS5_5ELb0ES3_mN6hipcub16HIPCUB_304000_NS21CountingInputIteratorIllEEPS6_NSA_22TransformInputIteratorIb7NonZeroIdEPdlEENS0_5tupleIJPlS6_EEENSJ_IJSD_SD_EEES6_SK_JS6_EEE10hipError_tPvRmT3_T4_T5_T6_T7_T9_mT8_P12ihipStream_tbDpT10_ENKUlT_T0_E_clISt17integral_constantIbLb1EES15_IbLb0EEEEDaS11_S12_EUlS11_E_NS1_11comp_targetILNS1_3genE8ELNS1_11target_archE1030ELNS1_3gpuE2ELNS1_3repE0EEENS1_30default_config_static_selectorELNS0_4arch9wavefront6targetE1EEEvT1_.num_agpr, 0
	.set _ZN7rocprim17ROCPRIM_400000_NS6detail17trampoline_kernelINS0_14default_configENS1_25partition_config_selectorILNS1_17partition_subalgoE5ElNS0_10empty_typeEbEEZZNS1_14partition_implILS5_5ELb0ES3_mN6hipcub16HIPCUB_304000_NS21CountingInputIteratorIllEEPS6_NSA_22TransformInputIteratorIb7NonZeroIdEPdlEENS0_5tupleIJPlS6_EEENSJ_IJSD_SD_EEES6_SK_JS6_EEE10hipError_tPvRmT3_T4_T5_T6_T7_T9_mT8_P12ihipStream_tbDpT10_ENKUlT_T0_E_clISt17integral_constantIbLb1EES15_IbLb0EEEEDaS11_S12_EUlS11_E_NS1_11comp_targetILNS1_3genE8ELNS1_11target_archE1030ELNS1_3gpuE2ELNS1_3repE0EEENS1_30default_config_static_selectorELNS0_4arch9wavefront6targetE1EEEvT1_.numbered_sgpr, 0
	.set _ZN7rocprim17ROCPRIM_400000_NS6detail17trampoline_kernelINS0_14default_configENS1_25partition_config_selectorILNS1_17partition_subalgoE5ElNS0_10empty_typeEbEEZZNS1_14partition_implILS5_5ELb0ES3_mN6hipcub16HIPCUB_304000_NS21CountingInputIteratorIllEEPS6_NSA_22TransformInputIteratorIb7NonZeroIdEPdlEENS0_5tupleIJPlS6_EEENSJ_IJSD_SD_EEES6_SK_JS6_EEE10hipError_tPvRmT3_T4_T5_T6_T7_T9_mT8_P12ihipStream_tbDpT10_ENKUlT_T0_E_clISt17integral_constantIbLb1EES15_IbLb0EEEEDaS11_S12_EUlS11_E_NS1_11comp_targetILNS1_3genE8ELNS1_11target_archE1030ELNS1_3gpuE2ELNS1_3repE0EEENS1_30default_config_static_selectorELNS0_4arch9wavefront6targetE1EEEvT1_.num_named_barrier, 0
	.set _ZN7rocprim17ROCPRIM_400000_NS6detail17trampoline_kernelINS0_14default_configENS1_25partition_config_selectorILNS1_17partition_subalgoE5ElNS0_10empty_typeEbEEZZNS1_14partition_implILS5_5ELb0ES3_mN6hipcub16HIPCUB_304000_NS21CountingInputIteratorIllEEPS6_NSA_22TransformInputIteratorIb7NonZeroIdEPdlEENS0_5tupleIJPlS6_EEENSJ_IJSD_SD_EEES6_SK_JS6_EEE10hipError_tPvRmT3_T4_T5_T6_T7_T9_mT8_P12ihipStream_tbDpT10_ENKUlT_T0_E_clISt17integral_constantIbLb1EES15_IbLb0EEEEDaS11_S12_EUlS11_E_NS1_11comp_targetILNS1_3genE8ELNS1_11target_archE1030ELNS1_3gpuE2ELNS1_3repE0EEENS1_30default_config_static_selectorELNS0_4arch9wavefront6targetE1EEEvT1_.private_seg_size, 0
	.set _ZN7rocprim17ROCPRIM_400000_NS6detail17trampoline_kernelINS0_14default_configENS1_25partition_config_selectorILNS1_17partition_subalgoE5ElNS0_10empty_typeEbEEZZNS1_14partition_implILS5_5ELb0ES3_mN6hipcub16HIPCUB_304000_NS21CountingInputIteratorIllEEPS6_NSA_22TransformInputIteratorIb7NonZeroIdEPdlEENS0_5tupleIJPlS6_EEENSJ_IJSD_SD_EEES6_SK_JS6_EEE10hipError_tPvRmT3_T4_T5_T6_T7_T9_mT8_P12ihipStream_tbDpT10_ENKUlT_T0_E_clISt17integral_constantIbLb1EES15_IbLb0EEEEDaS11_S12_EUlS11_E_NS1_11comp_targetILNS1_3genE8ELNS1_11target_archE1030ELNS1_3gpuE2ELNS1_3repE0EEENS1_30default_config_static_selectorELNS0_4arch9wavefront6targetE1EEEvT1_.uses_vcc, 0
	.set _ZN7rocprim17ROCPRIM_400000_NS6detail17trampoline_kernelINS0_14default_configENS1_25partition_config_selectorILNS1_17partition_subalgoE5ElNS0_10empty_typeEbEEZZNS1_14partition_implILS5_5ELb0ES3_mN6hipcub16HIPCUB_304000_NS21CountingInputIteratorIllEEPS6_NSA_22TransformInputIteratorIb7NonZeroIdEPdlEENS0_5tupleIJPlS6_EEENSJ_IJSD_SD_EEES6_SK_JS6_EEE10hipError_tPvRmT3_T4_T5_T6_T7_T9_mT8_P12ihipStream_tbDpT10_ENKUlT_T0_E_clISt17integral_constantIbLb1EES15_IbLb0EEEEDaS11_S12_EUlS11_E_NS1_11comp_targetILNS1_3genE8ELNS1_11target_archE1030ELNS1_3gpuE2ELNS1_3repE0EEENS1_30default_config_static_selectorELNS0_4arch9wavefront6targetE1EEEvT1_.uses_flat_scratch, 0
	.set _ZN7rocprim17ROCPRIM_400000_NS6detail17trampoline_kernelINS0_14default_configENS1_25partition_config_selectorILNS1_17partition_subalgoE5ElNS0_10empty_typeEbEEZZNS1_14partition_implILS5_5ELb0ES3_mN6hipcub16HIPCUB_304000_NS21CountingInputIteratorIllEEPS6_NSA_22TransformInputIteratorIb7NonZeroIdEPdlEENS0_5tupleIJPlS6_EEENSJ_IJSD_SD_EEES6_SK_JS6_EEE10hipError_tPvRmT3_T4_T5_T6_T7_T9_mT8_P12ihipStream_tbDpT10_ENKUlT_T0_E_clISt17integral_constantIbLb1EES15_IbLb0EEEEDaS11_S12_EUlS11_E_NS1_11comp_targetILNS1_3genE8ELNS1_11target_archE1030ELNS1_3gpuE2ELNS1_3repE0EEENS1_30default_config_static_selectorELNS0_4arch9wavefront6targetE1EEEvT1_.has_dyn_sized_stack, 0
	.set _ZN7rocprim17ROCPRIM_400000_NS6detail17trampoline_kernelINS0_14default_configENS1_25partition_config_selectorILNS1_17partition_subalgoE5ElNS0_10empty_typeEbEEZZNS1_14partition_implILS5_5ELb0ES3_mN6hipcub16HIPCUB_304000_NS21CountingInputIteratorIllEEPS6_NSA_22TransformInputIteratorIb7NonZeroIdEPdlEENS0_5tupleIJPlS6_EEENSJ_IJSD_SD_EEES6_SK_JS6_EEE10hipError_tPvRmT3_T4_T5_T6_T7_T9_mT8_P12ihipStream_tbDpT10_ENKUlT_T0_E_clISt17integral_constantIbLb1EES15_IbLb0EEEEDaS11_S12_EUlS11_E_NS1_11comp_targetILNS1_3genE8ELNS1_11target_archE1030ELNS1_3gpuE2ELNS1_3repE0EEENS1_30default_config_static_selectorELNS0_4arch9wavefront6targetE1EEEvT1_.has_recursion, 0
	.set _ZN7rocprim17ROCPRIM_400000_NS6detail17trampoline_kernelINS0_14default_configENS1_25partition_config_selectorILNS1_17partition_subalgoE5ElNS0_10empty_typeEbEEZZNS1_14partition_implILS5_5ELb0ES3_mN6hipcub16HIPCUB_304000_NS21CountingInputIteratorIllEEPS6_NSA_22TransformInputIteratorIb7NonZeroIdEPdlEENS0_5tupleIJPlS6_EEENSJ_IJSD_SD_EEES6_SK_JS6_EEE10hipError_tPvRmT3_T4_T5_T6_T7_T9_mT8_P12ihipStream_tbDpT10_ENKUlT_T0_E_clISt17integral_constantIbLb1EES15_IbLb0EEEEDaS11_S12_EUlS11_E_NS1_11comp_targetILNS1_3genE8ELNS1_11target_archE1030ELNS1_3gpuE2ELNS1_3repE0EEENS1_30default_config_static_selectorELNS0_4arch9wavefront6targetE1EEEvT1_.has_indirect_call, 0
	.section	.AMDGPU.csdata,"",@progbits
; Kernel info:
; codeLenInByte = 0
; TotalNumSgprs: 4
; NumVgprs: 0
; ScratchSize: 0
; MemoryBound: 0
; FloatMode: 240
; IeeeMode: 1
; LDSByteSize: 0 bytes/workgroup (compile time only)
; SGPRBlocks: 0
; VGPRBlocks: 0
; NumSGPRsForWavesPerEU: 4
; NumVGPRsForWavesPerEU: 1
; Occupancy: 10
; WaveLimiterHint : 0
; COMPUTE_PGM_RSRC2:SCRATCH_EN: 0
; COMPUTE_PGM_RSRC2:USER_SGPR: 6
; COMPUTE_PGM_RSRC2:TRAP_HANDLER: 0
; COMPUTE_PGM_RSRC2:TGID_X_EN: 1
; COMPUTE_PGM_RSRC2:TGID_Y_EN: 0
; COMPUTE_PGM_RSRC2:TGID_Z_EN: 0
; COMPUTE_PGM_RSRC2:TIDIG_COMP_CNT: 0
	.section	.text._ZN7rocprim17ROCPRIM_400000_NS6detail17trampoline_kernelINS0_14default_configENS1_25partition_config_selectorILNS1_17partition_subalgoE5ElNS0_10empty_typeEbEEZZNS1_14partition_implILS5_5ELb0ES3_mN6hipcub16HIPCUB_304000_NS21CountingInputIteratorIllEEPS6_NSA_22TransformInputIteratorIb7NonZeroIdEPdlEENS0_5tupleIJPlS6_EEENSJ_IJSD_SD_EEES6_SK_JS6_EEE10hipError_tPvRmT3_T4_T5_T6_T7_T9_mT8_P12ihipStream_tbDpT10_ENKUlT_T0_E_clISt17integral_constantIbLb0EES15_IbLb1EEEEDaS11_S12_EUlS11_E_NS1_11comp_targetILNS1_3genE0ELNS1_11target_archE4294967295ELNS1_3gpuE0ELNS1_3repE0EEENS1_30default_config_static_selectorELNS0_4arch9wavefront6targetE1EEEvT1_,"axG",@progbits,_ZN7rocprim17ROCPRIM_400000_NS6detail17trampoline_kernelINS0_14default_configENS1_25partition_config_selectorILNS1_17partition_subalgoE5ElNS0_10empty_typeEbEEZZNS1_14partition_implILS5_5ELb0ES3_mN6hipcub16HIPCUB_304000_NS21CountingInputIteratorIllEEPS6_NSA_22TransformInputIteratorIb7NonZeroIdEPdlEENS0_5tupleIJPlS6_EEENSJ_IJSD_SD_EEES6_SK_JS6_EEE10hipError_tPvRmT3_T4_T5_T6_T7_T9_mT8_P12ihipStream_tbDpT10_ENKUlT_T0_E_clISt17integral_constantIbLb0EES15_IbLb1EEEEDaS11_S12_EUlS11_E_NS1_11comp_targetILNS1_3genE0ELNS1_11target_archE4294967295ELNS1_3gpuE0ELNS1_3repE0EEENS1_30default_config_static_selectorELNS0_4arch9wavefront6targetE1EEEvT1_,comdat
	.protected	_ZN7rocprim17ROCPRIM_400000_NS6detail17trampoline_kernelINS0_14default_configENS1_25partition_config_selectorILNS1_17partition_subalgoE5ElNS0_10empty_typeEbEEZZNS1_14partition_implILS5_5ELb0ES3_mN6hipcub16HIPCUB_304000_NS21CountingInputIteratorIllEEPS6_NSA_22TransformInputIteratorIb7NonZeroIdEPdlEENS0_5tupleIJPlS6_EEENSJ_IJSD_SD_EEES6_SK_JS6_EEE10hipError_tPvRmT3_T4_T5_T6_T7_T9_mT8_P12ihipStream_tbDpT10_ENKUlT_T0_E_clISt17integral_constantIbLb0EES15_IbLb1EEEEDaS11_S12_EUlS11_E_NS1_11comp_targetILNS1_3genE0ELNS1_11target_archE4294967295ELNS1_3gpuE0ELNS1_3repE0EEENS1_30default_config_static_selectorELNS0_4arch9wavefront6targetE1EEEvT1_ ; -- Begin function _ZN7rocprim17ROCPRIM_400000_NS6detail17trampoline_kernelINS0_14default_configENS1_25partition_config_selectorILNS1_17partition_subalgoE5ElNS0_10empty_typeEbEEZZNS1_14partition_implILS5_5ELb0ES3_mN6hipcub16HIPCUB_304000_NS21CountingInputIteratorIllEEPS6_NSA_22TransformInputIteratorIb7NonZeroIdEPdlEENS0_5tupleIJPlS6_EEENSJ_IJSD_SD_EEES6_SK_JS6_EEE10hipError_tPvRmT3_T4_T5_T6_T7_T9_mT8_P12ihipStream_tbDpT10_ENKUlT_T0_E_clISt17integral_constantIbLb0EES15_IbLb1EEEEDaS11_S12_EUlS11_E_NS1_11comp_targetILNS1_3genE0ELNS1_11target_archE4294967295ELNS1_3gpuE0ELNS1_3repE0EEENS1_30default_config_static_selectorELNS0_4arch9wavefront6targetE1EEEvT1_
	.globl	_ZN7rocprim17ROCPRIM_400000_NS6detail17trampoline_kernelINS0_14default_configENS1_25partition_config_selectorILNS1_17partition_subalgoE5ElNS0_10empty_typeEbEEZZNS1_14partition_implILS5_5ELb0ES3_mN6hipcub16HIPCUB_304000_NS21CountingInputIteratorIllEEPS6_NSA_22TransformInputIteratorIb7NonZeroIdEPdlEENS0_5tupleIJPlS6_EEENSJ_IJSD_SD_EEES6_SK_JS6_EEE10hipError_tPvRmT3_T4_T5_T6_T7_T9_mT8_P12ihipStream_tbDpT10_ENKUlT_T0_E_clISt17integral_constantIbLb0EES15_IbLb1EEEEDaS11_S12_EUlS11_E_NS1_11comp_targetILNS1_3genE0ELNS1_11target_archE4294967295ELNS1_3gpuE0ELNS1_3repE0EEENS1_30default_config_static_selectorELNS0_4arch9wavefront6targetE1EEEvT1_
	.p2align	8
	.type	_ZN7rocprim17ROCPRIM_400000_NS6detail17trampoline_kernelINS0_14default_configENS1_25partition_config_selectorILNS1_17partition_subalgoE5ElNS0_10empty_typeEbEEZZNS1_14partition_implILS5_5ELb0ES3_mN6hipcub16HIPCUB_304000_NS21CountingInputIteratorIllEEPS6_NSA_22TransformInputIteratorIb7NonZeroIdEPdlEENS0_5tupleIJPlS6_EEENSJ_IJSD_SD_EEES6_SK_JS6_EEE10hipError_tPvRmT3_T4_T5_T6_T7_T9_mT8_P12ihipStream_tbDpT10_ENKUlT_T0_E_clISt17integral_constantIbLb0EES15_IbLb1EEEEDaS11_S12_EUlS11_E_NS1_11comp_targetILNS1_3genE0ELNS1_11target_archE4294967295ELNS1_3gpuE0ELNS1_3repE0EEENS1_30default_config_static_selectorELNS0_4arch9wavefront6targetE1EEEvT1_,@function
_ZN7rocprim17ROCPRIM_400000_NS6detail17trampoline_kernelINS0_14default_configENS1_25partition_config_selectorILNS1_17partition_subalgoE5ElNS0_10empty_typeEbEEZZNS1_14partition_implILS5_5ELb0ES3_mN6hipcub16HIPCUB_304000_NS21CountingInputIteratorIllEEPS6_NSA_22TransformInputIteratorIb7NonZeroIdEPdlEENS0_5tupleIJPlS6_EEENSJ_IJSD_SD_EEES6_SK_JS6_EEE10hipError_tPvRmT3_T4_T5_T6_T7_T9_mT8_P12ihipStream_tbDpT10_ENKUlT_T0_E_clISt17integral_constantIbLb0EES15_IbLb1EEEEDaS11_S12_EUlS11_E_NS1_11comp_targetILNS1_3genE0ELNS1_11target_archE4294967295ELNS1_3gpuE0ELNS1_3repE0EEENS1_30default_config_static_selectorELNS0_4arch9wavefront6targetE1EEEvT1_: ; @_ZN7rocprim17ROCPRIM_400000_NS6detail17trampoline_kernelINS0_14default_configENS1_25partition_config_selectorILNS1_17partition_subalgoE5ElNS0_10empty_typeEbEEZZNS1_14partition_implILS5_5ELb0ES3_mN6hipcub16HIPCUB_304000_NS21CountingInputIteratorIllEEPS6_NSA_22TransformInputIteratorIb7NonZeroIdEPdlEENS0_5tupleIJPlS6_EEENSJ_IJSD_SD_EEES6_SK_JS6_EEE10hipError_tPvRmT3_T4_T5_T6_T7_T9_mT8_P12ihipStream_tbDpT10_ENKUlT_T0_E_clISt17integral_constantIbLb0EES15_IbLb1EEEEDaS11_S12_EUlS11_E_NS1_11comp_targetILNS1_3genE0ELNS1_11target_archE4294967295ELNS1_3gpuE0ELNS1_3repE0EEENS1_30default_config_static_selectorELNS0_4arch9wavefront6targetE1EEEvT1_
; %bb.0:
	.section	.rodata,"a",@progbits
	.p2align	6, 0x0
	.amdhsa_kernel _ZN7rocprim17ROCPRIM_400000_NS6detail17trampoline_kernelINS0_14default_configENS1_25partition_config_selectorILNS1_17partition_subalgoE5ElNS0_10empty_typeEbEEZZNS1_14partition_implILS5_5ELb0ES3_mN6hipcub16HIPCUB_304000_NS21CountingInputIteratorIllEEPS6_NSA_22TransformInputIteratorIb7NonZeroIdEPdlEENS0_5tupleIJPlS6_EEENSJ_IJSD_SD_EEES6_SK_JS6_EEE10hipError_tPvRmT3_T4_T5_T6_T7_T9_mT8_P12ihipStream_tbDpT10_ENKUlT_T0_E_clISt17integral_constantIbLb0EES15_IbLb1EEEEDaS11_S12_EUlS11_E_NS1_11comp_targetILNS1_3genE0ELNS1_11target_archE4294967295ELNS1_3gpuE0ELNS1_3repE0EEENS1_30default_config_static_selectorELNS0_4arch9wavefront6targetE1EEEvT1_
		.amdhsa_group_segment_fixed_size 0
		.amdhsa_private_segment_fixed_size 0
		.amdhsa_kernarg_size 136
		.amdhsa_user_sgpr_count 6
		.amdhsa_user_sgpr_private_segment_buffer 1
		.amdhsa_user_sgpr_dispatch_ptr 0
		.amdhsa_user_sgpr_queue_ptr 0
		.amdhsa_user_sgpr_kernarg_segment_ptr 1
		.amdhsa_user_sgpr_dispatch_id 0
		.amdhsa_user_sgpr_flat_scratch_init 0
		.amdhsa_user_sgpr_private_segment_size 0
		.amdhsa_uses_dynamic_stack 0
		.amdhsa_system_sgpr_private_segment_wavefront_offset 0
		.amdhsa_system_sgpr_workgroup_id_x 1
		.amdhsa_system_sgpr_workgroup_id_y 0
		.amdhsa_system_sgpr_workgroup_id_z 0
		.amdhsa_system_sgpr_workgroup_info 0
		.amdhsa_system_vgpr_workitem_id 0
		.amdhsa_next_free_vgpr 1
		.amdhsa_next_free_sgpr 0
		.amdhsa_reserve_vcc 0
		.amdhsa_reserve_flat_scratch 0
		.amdhsa_float_round_mode_32 0
		.amdhsa_float_round_mode_16_64 0
		.amdhsa_float_denorm_mode_32 3
		.amdhsa_float_denorm_mode_16_64 3
		.amdhsa_dx10_clamp 1
		.amdhsa_ieee_mode 1
		.amdhsa_fp16_overflow 0
		.amdhsa_exception_fp_ieee_invalid_op 0
		.amdhsa_exception_fp_denorm_src 0
		.amdhsa_exception_fp_ieee_div_zero 0
		.amdhsa_exception_fp_ieee_overflow 0
		.amdhsa_exception_fp_ieee_underflow 0
		.amdhsa_exception_fp_ieee_inexact 0
		.amdhsa_exception_int_div_zero 0
	.end_amdhsa_kernel
	.section	.text._ZN7rocprim17ROCPRIM_400000_NS6detail17trampoline_kernelINS0_14default_configENS1_25partition_config_selectorILNS1_17partition_subalgoE5ElNS0_10empty_typeEbEEZZNS1_14partition_implILS5_5ELb0ES3_mN6hipcub16HIPCUB_304000_NS21CountingInputIteratorIllEEPS6_NSA_22TransformInputIteratorIb7NonZeroIdEPdlEENS0_5tupleIJPlS6_EEENSJ_IJSD_SD_EEES6_SK_JS6_EEE10hipError_tPvRmT3_T4_T5_T6_T7_T9_mT8_P12ihipStream_tbDpT10_ENKUlT_T0_E_clISt17integral_constantIbLb0EES15_IbLb1EEEEDaS11_S12_EUlS11_E_NS1_11comp_targetILNS1_3genE0ELNS1_11target_archE4294967295ELNS1_3gpuE0ELNS1_3repE0EEENS1_30default_config_static_selectorELNS0_4arch9wavefront6targetE1EEEvT1_,"axG",@progbits,_ZN7rocprim17ROCPRIM_400000_NS6detail17trampoline_kernelINS0_14default_configENS1_25partition_config_selectorILNS1_17partition_subalgoE5ElNS0_10empty_typeEbEEZZNS1_14partition_implILS5_5ELb0ES3_mN6hipcub16HIPCUB_304000_NS21CountingInputIteratorIllEEPS6_NSA_22TransformInputIteratorIb7NonZeroIdEPdlEENS0_5tupleIJPlS6_EEENSJ_IJSD_SD_EEES6_SK_JS6_EEE10hipError_tPvRmT3_T4_T5_T6_T7_T9_mT8_P12ihipStream_tbDpT10_ENKUlT_T0_E_clISt17integral_constantIbLb0EES15_IbLb1EEEEDaS11_S12_EUlS11_E_NS1_11comp_targetILNS1_3genE0ELNS1_11target_archE4294967295ELNS1_3gpuE0ELNS1_3repE0EEENS1_30default_config_static_selectorELNS0_4arch9wavefront6targetE1EEEvT1_,comdat
.Lfunc_end345:
	.size	_ZN7rocprim17ROCPRIM_400000_NS6detail17trampoline_kernelINS0_14default_configENS1_25partition_config_selectorILNS1_17partition_subalgoE5ElNS0_10empty_typeEbEEZZNS1_14partition_implILS5_5ELb0ES3_mN6hipcub16HIPCUB_304000_NS21CountingInputIteratorIllEEPS6_NSA_22TransformInputIteratorIb7NonZeroIdEPdlEENS0_5tupleIJPlS6_EEENSJ_IJSD_SD_EEES6_SK_JS6_EEE10hipError_tPvRmT3_T4_T5_T6_T7_T9_mT8_P12ihipStream_tbDpT10_ENKUlT_T0_E_clISt17integral_constantIbLb0EES15_IbLb1EEEEDaS11_S12_EUlS11_E_NS1_11comp_targetILNS1_3genE0ELNS1_11target_archE4294967295ELNS1_3gpuE0ELNS1_3repE0EEENS1_30default_config_static_selectorELNS0_4arch9wavefront6targetE1EEEvT1_, .Lfunc_end345-_ZN7rocprim17ROCPRIM_400000_NS6detail17trampoline_kernelINS0_14default_configENS1_25partition_config_selectorILNS1_17partition_subalgoE5ElNS0_10empty_typeEbEEZZNS1_14partition_implILS5_5ELb0ES3_mN6hipcub16HIPCUB_304000_NS21CountingInputIteratorIllEEPS6_NSA_22TransformInputIteratorIb7NonZeroIdEPdlEENS0_5tupleIJPlS6_EEENSJ_IJSD_SD_EEES6_SK_JS6_EEE10hipError_tPvRmT3_T4_T5_T6_T7_T9_mT8_P12ihipStream_tbDpT10_ENKUlT_T0_E_clISt17integral_constantIbLb0EES15_IbLb1EEEEDaS11_S12_EUlS11_E_NS1_11comp_targetILNS1_3genE0ELNS1_11target_archE4294967295ELNS1_3gpuE0ELNS1_3repE0EEENS1_30default_config_static_selectorELNS0_4arch9wavefront6targetE1EEEvT1_
                                        ; -- End function
	.set _ZN7rocprim17ROCPRIM_400000_NS6detail17trampoline_kernelINS0_14default_configENS1_25partition_config_selectorILNS1_17partition_subalgoE5ElNS0_10empty_typeEbEEZZNS1_14partition_implILS5_5ELb0ES3_mN6hipcub16HIPCUB_304000_NS21CountingInputIteratorIllEEPS6_NSA_22TransformInputIteratorIb7NonZeroIdEPdlEENS0_5tupleIJPlS6_EEENSJ_IJSD_SD_EEES6_SK_JS6_EEE10hipError_tPvRmT3_T4_T5_T6_T7_T9_mT8_P12ihipStream_tbDpT10_ENKUlT_T0_E_clISt17integral_constantIbLb0EES15_IbLb1EEEEDaS11_S12_EUlS11_E_NS1_11comp_targetILNS1_3genE0ELNS1_11target_archE4294967295ELNS1_3gpuE0ELNS1_3repE0EEENS1_30default_config_static_selectorELNS0_4arch9wavefront6targetE1EEEvT1_.num_vgpr, 0
	.set _ZN7rocprim17ROCPRIM_400000_NS6detail17trampoline_kernelINS0_14default_configENS1_25partition_config_selectorILNS1_17partition_subalgoE5ElNS0_10empty_typeEbEEZZNS1_14partition_implILS5_5ELb0ES3_mN6hipcub16HIPCUB_304000_NS21CountingInputIteratorIllEEPS6_NSA_22TransformInputIteratorIb7NonZeroIdEPdlEENS0_5tupleIJPlS6_EEENSJ_IJSD_SD_EEES6_SK_JS6_EEE10hipError_tPvRmT3_T4_T5_T6_T7_T9_mT8_P12ihipStream_tbDpT10_ENKUlT_T0_E_clISt17integral_constantIbLb0EES15_IbLb1EEEEDaS11_S12_EUlS11_E_NS1_11comp_targetILNS1_3genE0ELNS1_11target_archE4294967295ELNS1_3gpuE0ELNS1_3repE0EEENS1_30default_config_static_selectorELNS0_4arch9wavefront6targetE1EEEvT1_.num_agpr, 0
	.set _ZN7rocprim17ROCPRIM_400000_NS6detail17trampoline_kernelINS0_14default_configENS1_25partition_config_selectorILNS1_17partition_subalgoE5ElNS0_10empty_typeEbEEZZNS1_14partition_implILS5_5ELb0ES3_mN6hipcub16HIPCUB_304000_NS21CountingInputIteratorIllEEPS6_NSA_22TransformInputIteratorIb7NonZeroIdEPdlEENS0_5tupleIJPlS6_EEENSJ_IJSD_SD_EEES6_SK_JS6_EEE10hipError_tPvRmT3_T4_T5_T6_T7_T9_mT8_P12ihipStream_tbDpT10_ENKUlT_T0_E_clISt17integral_constantIbLb0EES15_IbLb1EEEEDaS11_S12_EUlS11_E_NS1_11comp_targetILNS1_3genE0ELNS1_11target_archE4294967295ELNS1_3gpuE0ELNS1_3repE0EEENS1_30default_config_static_selectorELNS0_4arch9wavefront6targetE1EEEvT1_.numbered_sgpr, 0
	.set _ZN7rocprim17ROCPRIM_400000_NS6detail17trampoline_kernelINS0_14default_configENS1_25partition_config_selectorILNS1_17partition_subalgoE5ElNS0_10empty_typeEbEEZZNS1_14partition_implILS5_5ELb0ES3_mN6hipcub16HIPCUB_304000_NS21CountingInputIteratorIllEEPS6_NSA_22TransformInputIteratorIb7NonZeroIdEPdlEENS0_5tupleIJPlS6_EEENSJ_IJSD_SD_EEES6_SK_JS6_EEE10hipError_tPvRmT3_T4_T5_T6_T7_T9_mT8_P12ihipStream_tbDpT10_ENKUlT_T0_E_clISt17integral_constantIbLb0EES15_IbLb1EEEEDaS11_S12_EUlS11_E_NS1_11comp_targetILNS1_3genE0ELNS1_11target_archE4294967295ELNS1_3gpuE0ELNS1_3repE0EEENS1_30default_config_static_selectorELNS0_4arch9wavefront6targetE1EEEvT1_.num_named_barrier, 0
	.set _ZN7rocprim17ROCPRIM_400000_NS6detail17trampoline_kernelINS0_14default_configENS1_25partition_config_selectorILNS1_17partition_subalgoE5ElNS0_10empty_typeEbEEZZNS1_14partition_implILS5_5ELb0ES3_mN6hipcub16HIPCUB_304000_NS21CountingInputIteratorIllEEPS6_NSA_22TransformInputIteratorIb7NonZeroIdEPdlEENS0_5tupleIJPlS6_EEENSJ_IJSD_SD_EEES6_SK_JS6_EEE10hipError_tPvRmT3_T4_T5_T6_T7_T9_mT8_P12ihipStream_tbDpT10_ENKUlT_T0_E_clISt17integral_constantIbLb0EES15_IbLb1EEEEDaS11_S12_EUlS11_E_NS1_11comp_targetILNS1_3genE0ELNS1_11target_archE4294967295ELNS1_3gpuE0ELNS1_3repE0EEENS1_30default_config_static_selectorELNS0_4arch9wavefront6targetE1EEEvT1_.private_seg_size, 0
	.set _ZN7rocprim17ROCPRIM_400000_NS6detail17trampoline_kernelINS0_14default_configENS1_25partition_config_selectorILNS1_17partition_subalgoE5ElNS0_10empty_typeEbEEZZNS1_14partition_implILS5_5ELb0ES3_mN6hipcub16HIPCUB_304000_NS21CountingInputIteratorIllEEPS6_NSA_22TransformInputIteratorIb7NonZeroIdEPdlEENS0_5tupleIJPlS6_EEENSJ_IJSD_SD_EEES6_SK_JS6_EEE10hipError_tPvRmT3_T4_T5_T6_T7_T9_mT8_P12ihipStream_tbDpT10_ENKUlT_T0_E_clISt17integral_constantIbLb0EES15_IbLb1EEEEDaS11_S12_EUlS11_E_NS1_11comp_targetILNS1_3genE0ELNS1_11target_archE4294967295ELNS1_3gpuE0ELNS1_3repE0EEENS1_30default_config_static_selectorELNS0_4arch9wavefront6targetE1EEEvT1_.uses_vcc, 0
	.set _ZN7rocprim17ROCPRIM_400000_NS6detail17trampoline_kernelINS0_14default_configENS1_25partition_config_selectorILNS1_17partition_subalgoE5ElNS0_10empty_typeEbEEZZNS1_14partition_implILS5_5ELb0ES3_mN6hipcub16HIPCUB_304000_NS21CountingInputIteratorIllEEPS6_NSA_22TransformInputIteratorIb7NonZeroIdEPdlEENS0_5tupleIJPlS6_EEENSJ_IJSD_SD_EEES6_SK_JS6_EEE10hipError_tPvRmT3_T4_T5_T6_T7_T9_mT8_P12ihipStream_tbDpT10_ENKUlT_T0_E_clISt17integral_constantIbLb0EES15_IbLb1EEEEDaS11_S12_EUlS11_E_NS1_11comp_targetILNS1_3genE0ELNS1_11target_archE4294967295ELNS1_3gpuE0ELNS1_3repE0EEENS1_30default_config_static_selectorELNS0_4arch9wavefront6targetE1EEEvT1_.uses_flat_scratch, 0
	.set _ZN7rocprim17ROCPRIM_400000_NS6detail17trampoline_kernelINS0_14default_configENS1_25partition_config_selectorILNS1_17partition_subalgoE5ElNS0_10empty_typeEbEEZZNS1_14partition_implILS5_5ELb0ES3_mN6hipcub16HIPCUB_304000_NS21CountingInputIteratorIllEEPS6_NSA_22TransformInputIteratorIb7NonZeroIdEPdlEENS0_5tupleIJPlS6_EEENSJ_IJSD_SD_EEES6_SK_JS6_EEE10hipError_tPvRmT3_T4_T5_T6_T7_T9_mT8_P12ihipStream_tbDpT10_ENKUlT_T0_E_clISt17integral_constantIbLb0EES15_IbLb1EEEEDaS11_S12_EUlS11_E_NS1_11comp_targetILNS1_3genE0ELNS1_11target_archE4294967295ELNS1_3gpuE0ELNS1_3repE0EEENS1_30default_config_static_selectorELNS0_4arch9wavefront6targetE1EEEvT1_.has_dyn_sized_stack, 0
	.set _ZN7rocprim17ROCPRIM_400000_NS6detail17trampoline_kernelINS0_14default_configENS1_25partition_config_selectorILNS1_17partition_subalgoE5ElNS0_10empty_typeEbEEZZNS1_14partition_implILS5_5ELb0ES3_mN6hipcub16HIPCUB_304000_NS21CountingInputIteratorIllEEPS6_NSA_22TransformInputIteratorIb7NonZeroIdEPdlEENS0_5tupleIJPlS6_EEENSJ_IJSD_SD_EEES6_SK_JS6_EEE10hipError_tPvRmT3_T4_T5_T6_T7_T9_mT8_P12ihipStream_tbDpT10_ENKUlT_T0_E_clISt17integral_constantIbLb0EES15_IbLb1EEEEDaS11_S12_EUlS11_E_NS1_11comp_targetILNS1_3genE0ELNS1_11target_archE4294967295ELNS1_3gpuE0ELNS1_3repE0EEENS1_30default_config_static_selectorELNS0_4arch9wavefront6targetE1EEEvT1_.has_recursion, 0
	.set _ZN7rocprim17ROCPRIM_400000_NS6detail17trampoline_kernelINS0_14default_configENS1_25partition_config_selectorILNS1_17partition_subalgoE5ElNS0_10empty_typeEbEEZZNS1_14partition_implILS5_5ELb0ES3_mN6hipcub16HIPCUB_304000_NS21CountingInputIteratorIllEEPS6_NSA_22TransformInputIteratorIb7NonZeroIdEPdlEENS0_5tupleIJPlS6_EEENSJ_IJSD_SD_EEES6_SK_JS6_EEE10hipError_tPvRmT3_T4_T5_T6_T7_T9_mT8_P12ihipStream_tbDpT10_ENKUlT_T0_E_clISt17integral_constantIbLb0EES15_IbLb1EEEEDaS11_S12_EUlS11_E_NS1_11comp_targetILNS1_3genE0ELNS1_11target_archE4294967295ELNS1_3gpuE0ELNS1_3repE0EEENS1_30default_config_static_selectorELNS0_4arch9wavefront6targetE1EEEvT1_.has_indirect_call, 0
	.section	.AMDGPU.csdata,"",@progbits
; Kernel info:
; codeLenInByte = 0
; TotalNumSgprs: 4
; NumVgprs: 0
; ScratchSize: 0
; MemoryBound: 0
; FloatMode: 240
; IeeeMode: 1
; LDSByteSize: 0 bytes/workgroup (compile time only)
; SGPRBlocks: 0
; VGPRBlocks: 0
; NumSGPRsForWavesPerEU: 4
; NumVGPRsForWavesPerEU: 1
; Occupancy: 10
; WaveLimiterHint : 0
; COMPUTE_PGM_RSRC2:SCRATCH_EN: 0
; COMPUTE_PGM_RSRC2:USER_SGPR: 6
; COMPUTE_PGM_RSRC2:TRAP_HANDLER: 0
; COMPUTE_PGM_RSRC2:TGID_X_EN: 1
; COMPUTE_PGM_RSRC2:TGID_Y_EN: 0
; COMPUTE_PGM_RSRC2:TGID_Z_EN: 0
; COMPUTE_PGM_RSRC2:TIDIG_COMP_CNT: 0
	.section	.text._ZN7rocprim17ROCPRIM_400000_NS6detail17trampoline_kernelINS0_14default_configENS1_25partition_config_selectorILNS1_17partition_subalgoE5ElNS0_10empty_typeEbEEZZNS1_14partition_implILS5_5ELb0ES3_mN6hipcub16HIPCUB_304000_NS21CountingInputIteratorIllEEPS6_NSA_22TransformInputIteratorIb7NonZeroIdEPdlEENS0_5tupleIJPlS6_EEENSJ_IJSD_SD_EEES6_SK_JS6_EEE10hipError_tPvRmT3_T4_T5_T6_T7_T9_mT8_P12ihipStream_tbDpT10_ENKUlT_T0_E_clISt17integral_constantIbLb0EES15_IbLb1EEEEDaS11_S12_EUlS11_E_NS1_11comp_targetILNS1_3genE5ELNS1_11target_archE942ELNS1_3gpuE9ELNS1_3repE0EEENS1_30default_config_static_selectorELNS0_4arch9wavefront6targetE1EEEvT1_,"axG",@progbits,_ZN7rocprim17ROCPRIM_400000_NS6detail17trampoline_kernelINS0_14default_configENS1_25partition_config_selectorILNS1_17partition_subalgoE5ElNS0_10empty_typeEbEEZZNS1_14partition_implILS5_5ELb0ES3_mN6hipcub16HIPCUB_304000_NS21CountingInputIteratorIllEEPS6_NSA_22TransformInputIteratorIb7NonZeroIdEPdlEENS0_5tupleIJPlS6_EEENSJ_IJSD_SD_EEES6_SK_JS6_EEE10hipError_tPvRmT3_T4_T5_T6_T7_T9_mT8_P12ihipStream_tbDpT10_ENKUlT_T0_E_clISt17integral_constantIbLb0EES15_IbLb1EEEEDaS11_S12_EUlS11_E_NS1_11comp_targetILNS1_3genE5ELNS1_11target_archE942ELNS1_3gpuE9ELNS1_3repE0EEENS1_30default_config_static_selectorELNS0_4arch9wavefront6targetE1EEEvT1_,comdat
	.protected	_ZN7rocprim17ROCPRIM_400000_NS6detail17trampoline_kernelINS0_14default_configENS1_25partition_config_selectorILNS1_17partition_subalgoE5ElNS0_10empty_typeEbEEZZNS1_14partition_implILS5_5ELb0ES3_mN6hipcub16HIPCUB_304000_NS21CountingInputIteratorIllEEPS6_NSA_22TransformInputIteratorIb7NonZeroIdEPdlEENS0_5tupleIJPlS6_EEENSJ_IJSD_SD_EEES6_SK_JS6_EEE10hipError_tPvRmT3_T4_T5_T6_T7_T9_mT8_P12ihipStream_tbDpT10_ENKUlT_T0_E_clISt17integral_constantIbLb0EES15_IbLb1EEEEDaS11_S12_EUlS11_E_NS1_11comp_targetILNS1_3genE5ELNS1_11target_archE942ELNS1_3gpuE9ELNS1_3repE0EEENS1_30default_config_static_selectorELNS0_4arch9wavefront6targetE1EEEvT1_ ; -- Begin function _ZN7rocprim17ROCPRIM_400000_NS6detail17trampoline_kernelINS0_14default_configENS1_25partition_config_selectorILNS1_17partition_subalgoE5ElNS0_10empty_typeEbEEZZNS1_14partition_implILS5_5ELb0ES3_mN6hipcub16HIPCUB_304000_NS21CountingInputIteratorIllEEPS6_NSA_22TransformInputIteratorIb7NonZeroIdEPdlEENS0_5tupleIJPlS6_EEENSJ_IJSD_SD_EEES6_SK_JS6_EEE10hipError_tPvRmT3_T4_T5_T6_T7_T9_mT8_P12ihipStream_tbDpT10_ENKUlT_T0_E_clISt17integral_constantIbLb0EES15_IbLb1EEEEDaS11_S12_EUlS11_E_NS1_11comp_targetILNS1_3genE5ELNS1_11target_archE942ELNS1_3gpuE9ELNS1_3repE0EEENS1_30default_config_static_selectorELNS0_4arch9wavefront6targetE1EEEvT1_
	.globl	_ZN7rocprim17ROCPRIM_400000_NS6detail17trampoline_kernelINS0_14default_configENS1_25partition_config_selectorILNS1_17partition_subalgoE5ElNS0_10empty_typeEbEEZZNS1_14partition_implILS5_5ELb0ES3_mN6hipcub16HIPCUB_304000_NS21CountingInputIteratorIllEEPS6_NSA_22TransformInputIteratorIb7NonZeroIdEPdlEENS0_5tupleIJPlS6_EEENSJ_IJSD_SD_EEES6_SK_JS6_EEE10hipError_tPvRmT3_T4_T5_T6_T7_T9_mT8_P12ihipStream_tbDpT10_ENKUlT_T0_E_clISt17integral_constantIbLb0EES15_IbLb1EEEEDaS11_S12_EUlS11_E_NS1_11comp_targetILNS1_3genE5ELNS1_11target_archE942ELNS1_3gpuE9ELNS1_3repE0EEENS1_30default_config_static_selectorELNS0_4arch9wavefront6targetE1EEEvT1_
	.p2align	8
	.type	_ZN7rocprim17ROCPRIM_400000_NS6detail17trampoline_kernelINS0_14default_configENS1_25partition_config_selectorILNS1_17partition_subalgoE5ElNS0_10empty_typeEbEEZZNS1_14partition_implILS5_5ELb0ES3_mN6hipcub16HIPCUB_304000_NS21CountingInputIteratorIllEEPS6_NSA_22TransformInputIteratorIb7NonZeroIdEPdlEENS0_5tupleIJPlS6_EEENSJ_IJSD_SD_EEES6_SK_JS6_EEE10hipError_tPvRmT3_T4_T5_T6_T7_T9_mT8_P12ihipStream_tbDpT10_ENKUlT_T0_E_clISt17integral_constantIbLb0EES15_IbLb1EEEEDaS11_S12_EUlS11_E_NS1_11comp_targetILNS1_3genE5ELNS1_11target_archE942ELNS1_3gpuE9ELNS1_3repE0EEENS1_30default_config_static_selectorELNS0_4arch9wavefront6targetE1EEEvT1_,@function
_ZN7rocprim17ROCPRIM_400000_NS6detail17trampoline_kernelINS0_14default_configENS1_25partition_config_selectorILNS1_17partition_subalgoE5ElNS0_10empty_typeEbEEZZNS1_14partition_implILS5_5ELb0ES3_mN6hipcub16HIPCUB_304000_NS21CountingInputIteratorIllEEPS6_NSA_22TransformInputIteratorIb7NonZeroIdEPdlEENS0_5tupleIJPlS6_EEENSJ_IJSD_SD_EEES6_SK_JS6_EEE10hipError_tPvRmT3_T4_T5_T6_T7_T9_mT8_P12ihipStream_tbDpT10_ENKUlT_T0_E_clISt17integral_constantIbLb0EES15_IbLb1EEEEDaS11_S12_EUlS11_E_NS1_11comp_targetILNS1_3genE5ELNS1_11target_archE942ELNS1_3gpuE9ELNS1_3repE0EEENS1_30default_config_static_selectorELNS0_4arch9wavefront6targetE1EEEvT1_: ; @_ZN7rocprim17ROCPRIM_400000_NS6detail17trampoline_kernelINS0_14default_configENS1_25partition_config_selectorILNS1_17partition_subalgoE5ElNS0_10empty_typeEbEEZZNS1_14partition_implILS5_5ELb0ES3_mN6hipcub16HIPCUB_304000_NS21CountingInputIteratorIllEEPS6_NSA_22TransformInputIteratorIb7NonZeroIdEPdlEENS0_5tupleIJPlS6_EEENSJ_IJSD_SD_EEES6_SK_JS6_EEE10hipError_tPvRmT3_T4_T5_T6_T7_T9_mT8_P12ihipStream_tbDpT10_ENKUlT_T0_E_clISt17integral_constantIbLb0EES15_IbLb1EEEEDaS11_S12_EUlS11_E_NS1_11comp_targetILNS1_3genE5ELNS1_11target_archE942ELNS1_3gpuE9ELNS1_3repE0EEENS1_30default_config_static_selectorELNS0_4arch9wavefront6targetE1EEEvT1_
; %bb.0:
	.section	.rodata,"a",@progbits
	.p2align	6, 0x0
	.amdhsa_kernel _ZN7rocprim17ROCPRIM_400000_NS6detail17trampoline_kernelINS0_14default_configENS1_25partition_config_selectorILNS1_17partition_subalgoE5ElNS0_10empty_typeEbEEZZNS1_14partition_implILS5_5ELb0ES3_mN6hipcub16HIPCUB_304000_NS21CountingInputIteratorIllEEPS6_NSA_22TransformInputIteratorIb7NonZeroIdEPdlEENS0_5tupleIJPlS6_EEENSJ_IJSD_SD_EEES6_SK_JS6_EEE10hipError_tPvRmT3_T4_T5_T6_T7_T9_mT8_P12ihipStream_tbDpT10_ENKUlT_T0_E_clISt17integral_constantIbLb0EES15_IbLb1EEEEDaS11_S12_EUlS11_E_NS1_11comp_targetILNS1_3genE5ELNS1_11target_archE942ELNS1_3gpuE9ELNS1_3repE0EEENS1_30default_config_static_selectorELNS0_4arch9wavefront6targetE1EEEvT1_
		.amdhsa_group_segment_fixed_size 0
		.amdhsa_private_segment_fixed_size 0
		.amdhsa_kernarg_size 136
		.amdhsa_user_sgpr_count 6
		.amdhsa_user_sgpr_private_segment_buffer 1
		.amdhsa_user_sgpr_dispatch_ptr 0
		.amdhsa_user_sgpr_queue_ptr 0
		.amdhsa_user_sgpr_kernarg_segment_ptr 1
		.amdhsa_user_sgpr_dispatch_id 0
		.amdhsa_user_sgpr_flat_scratch_init 0
		.amdhsa_user_sgpr_private_segment_size 0
		.amdhsa_uses_dynamic_stack 0
		.amdhsa_system_sgpr_private_segment_wavefront_offset 0
		.amdhsa_system_sgpr_workgroup_id_x 1
		.amdhsa_system_sgpr_workgroup_id_y 0
		.amdhsa_system_sgpr_workgroup_id_z 0
		.amdhsa_system_sgpr_workgroup_info 0
		.amdhsa_system_vgpr_workitem_id 0
		.amdhsa_next_free_vgpr 1
		.amdhsa_next_free_sgpr 0
		.amdhsa_reserve_vcc 0
		.amdhsa_reserve_flat_scratch 0
		.amdhsa_float_round_mode_32 0
		.amdhsa_float_round_mode_16_64 0
		.amdhsa_float_denorm_mode_32 3
		.amdhsa_float_denorm_mode_16_64 3
		.amdhsa_dx10_clamp 1
		.amdhsa_ieee_mode 1
		.amdhsa_fp16_overflow 0
		.amdhsa_exception_fp_ieee_invalid_op 0
		.amdhsa_exception_fp_denorm_src 0
		.amdhsa_exception_fp_ieee_div_zero 0
		.amdhsa_exception_fp_ieee_overflow 0
		.amdhsa_exception_fp_ieee_underflow 0
		.amdhsa_exception_fp_ieee_inexact 0
		.amdhsa_exception_int_div_zero 0
	.end_amdhsa_kernel
	.section	.text._ZN7rocprim17ROCPRIM_400000_NS6detail17trampoline_kernelINS0_14default_configENS1_25partition_config_selectorILNS1_17partition_subalgoE5ElNS0_10empty_typeEbEEZZNS1_14partition_implILS5_5ELb0ES3_mN6hipcub16HIPCUB_304000_NS21CountingInputIteratorIllEEPS6_NSA_22TransformInputIteratorIb7NonZeroIdEPdlEENS0_5tupleIJPlS6_EEENSJ_IJSD_SD_EEES6_SK_JS6_EEE10hipError_tPvRmT3_T4_T5_T6_T7_T9_mT8_P12ihipStream_tbDpT10_ENKUlT_T0_E_clISt17integral_constantIbLb0EES15_IbLb1EEEEDaS11_S12_EUlS11_E_NS1_11comp_targetILNS1_3genE5ELNS1_11target_archE942ELNS1_3gpuE9ELNS1_3repE0EEENS1_30default_config_static_selectorELNS0_4arch9wavefront6targetE1EEEvT1_,"axG",@progbits,_ZN7rocprim17ROCPRIM_400000_NS6detail17trampoline_kernelINS0_14default_configENS1_25partition_config_selectorILNS1_17partition_subalgoE5ElNS0_10empty_typeEbEEZZNS1_14partition_implILS5_5ELb0ES3_mN6hipcub16HIPCUB_304000_NS21CountingInputIteratorIllEEPS6_NSA_22TransformInputIteratorIb7NonZeroIdEPdlEENS0_5tupleIJPlS6_EEENSJ_IJSD_SD_EEES6_SK_JS6_EEE10hipError_tPvRmT3_T4_T5_T6_T7_T9_mT8_P12ihipStream_tbDpT10_ENKUlT_T0_E_clISt17integral_constantIbLb0EES15_IbLb1EEEEDaS11_S12_EUlS11_E_NS1_11comp_targetILNS1_3genE5ELNS1_11target_archE942ELNS1_3gpuE9ELNS1_3repE0EEENS1_30default_config_static_selectorELNS0_4arch9wavefront6targetE1EEEvT1_,comdat
.Lfunc_end346:
	.size	_ZN7rocprim17ROCPRIM_400000_NS6detail17trampoline_kernelINS0_14default_configENS1_25partition_config_selectorILNS1_17partition_subalgoE5ElNS0_10empty_typeEbEEZZNS1_14partition_implILS5_5ELb0ES3_mN6hipcub16HIPCUB_304000_NS21CountingInputIteratorIllEEPS6_NSA_22TransformInputIteratorIb7NonZeroIdEPdlEENS0_5tupleIJPlS6_EEENSJ_IJSD_SD_EEES6_SK_JS6_EEE10hipError_tPvRmT3_T4_T5_T6_T7_T9_mT8_P12ihipStream_tbDpT10_ENKUlT_T0_E_clISt17integral_constantIbLb0EES15_IbLb1EEEEDaS11_S12_EUlS11_E_NS1_11comp_targetILNS1_3genE5ELNS1_11target_archE942ELNS1_3gpuE9ELNS1_3repE0EEENS1_30default_config_static_selectorELNS0_4arch9wavefront6targetE1EEEvT1_, .Lfunc_end346-_ZN7rocprim17ROCPRIM_400000_NS6detail17trampoline_kernelINS0_14default_configENS1_25partition_config_selectorILNS1_17partition_subalgoE5ElNS0_10empty_typeEbEEZZNS1_14partition_implILS5_5ELb0ES3_mN6hipcub16HIPCUB_304000_NS21CountingInputIteratorIllEEPS6_NSA_22TransformInputIteratorIb7NonZeroIdEPdlEENS0_5tupleIJPlS6_EEENSJ_IJSD_SD_EEES6_SK_JS6_EEE10hipError_tPvRmT3_T4_T5_T6_T7_T9_mT8_P12ihipStream_tbDpT10_ENKUlT_T0_E_clISt17integral_constantIbLb0EES15_IbLb1EEEEDaS11_S12_EUlS11_E_NS1_11comp_targetILNS1_3genE5ELNS1_11target_archE942ELNS1_3gpuE9ELNS1_3repE0EEENS1_30default_config_static_selectorELNS0_4arch9wavefront6targetE1EEEvT1_
                                        ; -- End function
	.set _ZN7rocprim17ROCPRIM_400000_NS6detail17trampoline_kernelINS0_14default_configENS1_25partition_config_selectorILNS1_17partition_subalgoE5ElNS0_10empty_typeEbEEZZNS1_14partition_implILS5_5ELb0ES3_mN6hipcub16HIPCUB_304000_NS21CountingInputIteratorIllEEPS6_NSA_22TransformInputIteratorIb7NonZeroIdEPdlEENS0_5tupleIJPlS6_EEENSJ_IJSD_SD_EEES6_SK_JS6_EEE10hipError_tPvRmT3_T4_T5_T6_T7_T9_mT8_P12ihipStream_tbDpT10_ENKUlT_T0_E_clISt17integral_constantIbLb0EES15_IbLb1EEEEDaS11_S12_EUlS11_E_NS1_11comp_targetILNS1_3genE5ELNS1_11target_archE942ELNS1_3gpuE9ELNS1_3repE0EEENS1_30default_config_static_selectorELNS0_4arch9wavefront6targetE1EEEvT1_.num_vgpr, 0
	.set _ZN7rocprim17ROCPRIM_400000_NS6detail17trampoline_kernelINS0_14default_configENS1_25partition_config_selectorILNS1_17partition_subalgoE5ElNS0_10empty_typeEbEEZZNS1_14partition_implILS5_5ELb0ES3_mN6hipcub16HIPCUB_304000_NS21CountingInputIteratorIllEEPS6_NSA_22TransformInputIteratorIb7NonZeroIdEPdlEENS0_5tupleIJPlS6_EEENSJ_IJSD_SD_EEES6_SK_JS6_EEE10hipError_tPvRmT3_T4_T5_T6_T7_T9_mT8_P12ihipStream_tbDpT10_ENKUlT_T0_E_clISt17integral_constantIbLb0EES15_IbLb1EEEEDaS11_S12_EUlS11_E_NS1_11comp_targetILNS1_3genE5ELNS1_11target_archE942ELNS1_3gpuE9ELNS1_3repE0EEENS1_30default_config_static_selectorELNS0_4arch9wavefront6targetE1EEEvT1_.num_agpr, 0
	.set _ZN7rocprim17ROCPRIM_400000_NS6detail17trampoline_kernelINS0_14default_configENS1_25partition_config_selectorILNS1_17partition_subalgoE5ElNS0_10empty_typeEbEEZZNS1_14partition_implILS5_5ELb0ES3_mN6hipcub16HIPCUB_304000_NS21CountingInputIteratorIllEEPS6_NSA_22TransformInputIteratorIb7NonZeroIdEPdlEENS0_5tupleIJPlS6_EEENSJ_IJSD_SD_EEES6_SK_JS6_EEE10hipError_tPvRmT3_T4_T5_T6_T7_T9_mT8_P12ihipStream_tbDpT10_ENKUlT_T0_E_clISt17integral_constantIbLb0EES15_IbLb1EEEEDaS11_S12_EUlS11_E_NS1_11comp_targetILNS1_3genE5ELNS1_11target_archE942ELNS1_3gpuE9ELNS1_3repE0EEENS1_30default_config_static_selectorELNS0_4arch9wavefront6targetE1EEEvT1_.numbered_sgpr, 0
	.set _ZN7rocprim17ROCPRIM_400000_NS6detail17trampoline_kernelINS0_14default_configENS1_25partition_config_selectorILNS1_17partition_subalgoE5ElNS0_10empty_typeEbEEZZNS1_14partition_implILS5_5ELb0ES3_mN6hipcub16HIPCUB_304000_NS21CountingInputIteratorIllEEPS6_NSA_22TransformInputIteratorIb7NonZeroIdEPdlEENS0_5tupleIJPlS6_EEENSJ_IJSD_SD_EEES6_SK_JS6_EEE10hipError_tPvRmT3_T4_T5_T6_T7_T9_mT8_P12ihipStream_tbDpT10_ENKUlT_T0_E_clISt17integral_constantIbLb0EES15_IbLb1EEEEDaS11_S12_EUlS11_E_NS1_11comp_targetILNS1_3genE5ELNS1_11target_archE942ELNS1_3gpuE9ELNS1_3repE0EEENS1_30default_config_static_selectorELNS0_4arch9wavefront6targetE1EEEvT1_.num_named_barrier, 0
	.set _ZN7rocprim17ROCPRIM_400000_NS6detail17trampoline_kernelINS0_14default_configENS1_25partition_config_selectorILNS1_17partition_subalgoE5ElNS0_10empty_typeEbEEZZNS1_14partition_implILS5_5ELb0ES3_mN6hipcub16HIPCUB_304000_NS21CountingInputIteratorIllEEPS6_NSA_22TransformInputIteratorIb7NonZeroIdEPdlEENS0_5tupleIJPlS6_EEENSJ_IJSD_SD_EEES6_SK_JS6_EEE10hipError_tPvRmT3_T4_T5_T6_T7_T9_mT8_P12ihipStream_tbDpT10_ENKUlT_T0_E_clISt17integral_constantIbLb0EES15_IbLb1EEEEDaS11_S12_EUlS11_E_NS1_11comp_targetILNS1_3genE5ELNS1_11target_archE942ELNS1_3gpuE9ELNS1_3repE0EEENS1_30default_config_static_selectorELNS0_4arch9wavefront6targetE1EEEvT1_.private_seg_size, 0
	.set _ZN7rocprim17ROCPRIM_400000_NS6detail17trampoline_kernelINS0_14default_configENS1_25partition_config_selectorILNS1_17partition_subalgoE5ElNS0_10empty_typeEbEEZZNS1_14partition_implILS5_5ELb0ES3_mN6hipcub16HIPCUB_304000_NS21CountingInputIteratorIllEEPS6_NSA_22TransformInputIteratorIb7NonZeroIdEPdlEENS0_5tupleIJPlS6_EEENSJ_IJSD_SD_EEES6_SK_JS6_EEE10hipError_tPvRmT3_T4_T5_T6_T7_T9_mT8_P12ihipStream_tbDpT10_ENKUlT_T0_E_clISt17integral_constantIbLb0EES15_IbLb1EEEEDaS11_S12_EUlS11_E_NS1_11comp_targetILNS1_3genE5ELNS1_11target_archE942ELNS1_3gpuE9ELNS1_3repE0EEENS1_30default_config_static_selectorELNS0_4arch9wavefront6targetE1EEEvT1_.uses_vcc, 0
	.set _ZN7rocprim17ROCPRIM_400000_NS6detail17trampoline_kernelINS0_14default_configENS1_25partition_config_selectorILNS1_17partition_subalgoE5ElNS0_10empty_typeEbEEZZNS1_14partition_implILS5_5ELb0ES3_mN6hipcub16HIPCUB_304000_NS21CountingInputIteratorIllEEPS6_NSA_22TransformInputIteratorIb7NonZeroIdEPdlEENS0_5tupleIJPlS6_EEENSJ_IJSD_SD_EEES6_SK_JS6_EEE10hipError_tPvRmT3_T4_T5_T6_T7_T9_mT8_P12ihipStream_tbDpT10_ENKUlT_T0_E_clISt17integral_constantIbLb0EES15_IbLb1EEEEDaS11_S12_EUlS11_E_NS1_11comp_targetILNS1_3genE5ELNS1_11target_archE942ELNS1_3gpuE9ELNS1_3repE0EEENS1_30default_config_static_selectorELNS0_4arch9wavefront6targetE1EEEvT1_.uses_flat_scratch, 0
	.set _ZN7rocprim17ROCPRIM_400000_NS6detail17trampoline_kernelINS0_14default_configENS1_25partition_config_selectorILNS1_17partition_subalgoE5ElNS0_10empty_typeEbEEZZNS1_14partition_implILS5_5ELb0ES3_mN6hipcub16HIPCUB_304000_NS21CountingInputIteratorIllEEPS6_NSA_22TransformInputIteratorIb7NonZeroIdEPdlEENS0_5tupleIJPlS6_EEENSJ_IJSD_SD_EEES6_SK_JS6_EEE10hipError_tPvRmT3_T4_T5_T6_T7_T9_mT8_P12ihipStream_tbDpT10_ENKUlT_T0_E_clISt17integral_constantIbLb0EES15_IbLb1EEEEDaS11_S12_EUlS11_E_NS1_11comp_targetILNS1_3genE5ELNS1_11target_archE942ELNS1_3gpuE9ELNS1_3repE0EEENS1_30default_config_static_selectorELNS0_4arch9wavefront6targetE1EEEvT1_.has_dyn_sized_stack, 0
	.set _ZN7rocprim17ROCPRIM_400000_NS6detail17trampoline_kernelINS0_14default_configENS1_25partition_config_selectorILNS1_17partition_subalgoE5ElNS0_10empty_typeEbEEZZNS1_14partition_implILS5_5ELb0ES3_mN6hipcub16HIPCUB_304000_NS21CountingInputIteratorIllEEPS6_NSA_22TransformInputIteratorIb7NonZeroIdEPdlEENS0_5tupleIJPlS6_EEENSJ_IJSD_SD_EEES6_SK_JS6_EEE10hipError_tPvRmT3_T4_T5_T6_T7_T9_mT8_P12ihipStream_tbDpT10_ENKUlT_T0_E_clISt17integral_constantIbLb0EES15_IbLb1EEEEDaS11_S12_EUlS11_E_NS1_11comp_targetILNS1_3genE5ELNS1_11target_archE942ELNS1_3gpuE9ELNS1_3repE0EEENS1_30default_config_static_selectorELNS0_4arch9wavefront6targetE1EEEvT1_.has_recursion, 0
	.set _ZN7rocprim17ROCPRIM_400000_NS6detail17trampoline_kernelINS0_14default_configENS1_25partition_config_selectorILNS1_17partition_subalgoE5ElNS0_10empty_typeEbEEZZNS1_14partition_implILS5_5ELb0ES3_mN6hipcub16HIPCUB_304000_NS21CountingInputIteratorIllEEPS6_NSA_22TransformInputIteratorIb7NonZeroIdEPdlEENS0_5tupleIJPlS6_EEENSJ_IJSD_SD_EEES6_SK_JS6_EEE10hipError_tPvRmT3_T4_T5_T6_T7_T9_mT8_P12ihipStream_tbDpT10_ENKUlT_T0_E_clISt17integral_constantIbLb0EES15_IbLb1EEEEDaS11_S12_EUlS11_E_NS1_11comp_targetILNS1_3genE5ELNS1_11target_archE942ELNS1_3gpuE9ELNS1_3repE0EEENS1_30default_config_static_selectorELNS0_4arch9wavefront6targetE1EEEvT1_.has_indirect_call, 0
	.section	.AMDGPU.csdata,"",@progbits
; Kernel info:
; codeLenInByte = 0
; TotalNumSgprs: 4
; NumVgprs: 0
; ScratchSize: 0
; MemoryBound: 0
; FloatMode: 240
; IeeeMode: 1
; LDSByteSize: 0 bytes/workgroup (compile time only)
; SGPRBlocks: 0
; VGPRBlocks: 0
; NumSGPRsForWavesPerEU: 4
; NumVGPRsForWavesPerEU: 1
; Occupancy: 10
; WaveLimiterHint : 0
; COMPUTE_PGM_RSRC2:SCRATCH_EN: 0
; COMPUTE_PGM_RSRC2:USER_SGPR: 6
; COMPUTE_PGM_RSRC2:TRAP_HANDLER: 0
; COMPUTE_PGM_RSRC2:TGID_X_EN: 1
; COMPUTE_PGM_RSRC2:TGID_Y_EN: 0
; COMPUTE_PGM_RSRC2:TGID_Z_EN: 0
; COMPUTE_PGM_RSRC2:TIDIG_COMP_CNT: 0
	.section	.text._ZN7rocprim17ROCPRIM_400000_NS6detail17trampoline_kernelINS0_14default_configENS1_25partition_config_selectorILNS1_17partition_subalgoE5ElNS0_10empty_typeEbEEZZNS1_14partition_implILS5_5ELb0ES3_mN6hipcub16HIPCUB_304000_NS21CountingInputIteratorIllEEPS6_NSA_22TransformInputIteratorIb7NonZeroIdEPdlEENS0_5tupleIJPlS6_EEENSJ_IJSD_SD_EEES6_SK_JS6_EEE10hipError_tPvRmT3_T4_T5_T6_T7_T9_mT8_P12ihipStream_tbDpT10_ENKUlT_T0_E_clISt17integral_constantIbLb0EES15_IbLb1EEEEDaS11_S12_EUlS11_E_NS1_11comp_targetILNS1_3genE4ELNS1_11target_archE910ELNS1_3gpuE8ELNS1_3repE0EEENS1_30default_config_static_selectorELNS0_4arch9wavefront6targetE1EEEvT1_,"axG",@progbits,_ZN7rocprim17ROCPRIM_400000_NS6detail17trampoline_kernelINS0_14default_configENS1_25partition_config_selectorILNS1_17partition_subalgoE5ElNS0_10empty_typeEbEEZZNS1_14partition_implILS5_5ELb0ES3_mN6hipcub16HIPCUB_304000_NS21CountingInputIteratorIllEEPS6_NSA_22TransformInputIteratorIb7NonZeroIdEPdlEENS0_5tupleIJPlS6_EEENSJ_IJSD_SD_EEES6_SK_JS6_EEE10hipError_tPvRmT3_T4_T5_T6_T7_T9_mT8_P12ihipStream_tbDpT10_ENKUlT_T0_E_clISt17integral_constantIbLb0EES15_IbLb1EEEEDaS11_S12_EUlS11_E_NS1_11comp_targetILNS1_3genE4ELNS1_11target_archE910ELNS1_3gpuE8ELNS1_3repE0EEENS1_30default_config_static_selectorELNS0_4arch9wavefront6targetE1EEEvT1_,comdat
	.protected	_ZN7rocprim17ROCPRIM_400000_NS6detail17trampoline_kernelINS0_14default_configENS1_25partition_config_selectorILNS1_17partition_subalgoE5ElNS0_10empty_typeEbEEZZNS1_14partition_implILS5_5ELb0ES3_mN6hipcub16HIPCUB_304000_NS21CountingInputIteratorIllEEPS6_NSA_22TransformInputIteratorIb7NonZeroIdEPdlEENS0_5tupleIJPlS6_EEENSJ_IJSD_SD_EEES6_SK_JS6_EEE10hipError_tPvRmT3_T4_T5_T6_T7_T9_mT8_P12ihipStream_tbDpT10_ENKUlT_T0_E_clISt17integral_constantIbLb0EES15_IbLb1EEEEDaS11_S12_EUlS11_E_NS1_11comp_targetILNS1_3genE4ELNS1_11target_archE910ELNS1_3gpuE8ELNS1_3repE0EEENS1_30default_config_static_selectorELNS0_4arch9wavefront6targetE1EEEvT1_ ; -- Begin function _ZN7rocprim17ROCPRIM_400000_NS6detail17trampoline_kernelINS0_14default_configENS1_25partition_config_selectorILNS1_17partition_subalgoE5ElNS0_10empty_typeEbEEZZNS1_14partition_implILS5_5ELb0ES3_mN6hipcub16HIPCUB_304000_NS21CountingInputIteratorIllEEPS6_NSA_22TransformInputIteratorIb7NonZeroIdEPdlEENS0_5tupleIJPlS6_EEENSJ_IJSD_SD_EEES6_SK_JS6_EEE10hipError_tPvRmT3_T4_T5_T6_T7_T9_mT8_P12ihipStream_tbDpT10_ENKUlT_T0_E_clISt17integral_constantIbLb0EES15_IbLb1EEEEDaS11_S12_EUlS11_E_NS1_11comp_targetILNS1_3genE4ELNS1_11target_archE910ELNS1_3gpuE8ELNS1_3repE0EEENS1_30default_config_static_selectorELNS0_4arch9wavefront6targetE1EEEvT1_
	.globl	_ZN7rocprim17ROCPRIM_400000_NS6detail17trampoline_kernelINS0_14default_configENS1_25partition_config_selectorILNS1_17partition_subalgoE5ElNS0_10empty_typeEbEEZZNS1_14partition_implILS5_5ELb0ES3_mN6hipcub16HIPCUB_304000_NS21CountingInputIteratorIllEEPS6_NSA_22TransformInputIteratorIb7NonZeroIdEPdlEENS0_5tupleIJPlS6_EEENSJ_IJSD_SD_EEES6_SK_JS6_EEE10hipError_tPvRmT3_T4_T5_T6_T7_T9_mT8_P12ihipStream_tbDpT10_ENKUlT_T0_E_clISt17integral_constantIbLb0EES15_IbLb1EEEEDaS11_S12_EUlS11_E_NS1_11comp_targetILNS1_3genE4ELNS1_11target_archE910ELNS1_3gpuE8ELNS1_3repE0EEENS1_30default_config_static_selectorELNS0_4arch9wavefront6targetE1EEEvT1_
	.p2align	8
	.type	_ZN7rocprim17ROCPRIM_400000_NS6detail17trampoline_kernelINS0_14default_configENS1_25partition_config_selectorILNS1_17partition_subalgoE5ElNS0_10empty_typeEbEEZZNS1_14partition_implILS5_5ELb0ES3_mN6hipcub16HIPCUB_304000_NS21CountingInputIteratorIllEEPS6_NSA_22TransformInputIteratorIb7NonZeroIdEPdlEENS0_5tupleIJPlS6_EEENSJ_IJSD_SD_EEES6_SK_JS6_EEE10hipError_tPvRmT3_T4_T5_T6_T7_T9_mT8_P12ihipStream_tbDpT10_ENKUlT_T0_E_clISt17integral_constantIbLb0EES15_IbLb1EEEEDaS11_S12_EUlS11_E_NS1_11comp_targetILNS1_3genE4ELNS1_11target_archE910ELNS1_3gpuE8ELNS1_3repE0EEENS1_30default_config_static_selectorELNS0_4arch9wavefront6targetE1EEEvT1_,@function
_ZN7rocprim17ROCPRIM_400000_NS6detail17trampoline_kernelINS0_14default_configENS1_25partition_config_selectorILNS1_17partition_subalgoE5ElNS0_10empty_typeEbEEZZNS1_14partition_implILS5_5ELb0ES3_mN6hipcub16HIPCUB_304000_NS21CountingInputIteratorIllEEPS6_NSA_22TransformInputIteratorIb7NonZeroIdEPdlEENS0_5tupleIJPlS6_EEENSJ_IJSD_SD_EEES6_SK_JS6_EEE10hipError_tPvRmT3_T4_T5_T6_T7_T9_mT8_P12ihipStream_tbDpT10_ENKUlT_T0_E_clISt17integral_constantIbLb0EES15_IbLb1EEEEDaS11_S12_EUlS11_E_NS1_11comp_targetILNS1_3genE4ELNS1_11target_archE910ELNS1_3gpuE8ELNS1_3repE0EEENS1_30default_config_static_selectorELNS0_4arch9wavefront6targetE1EEEvT1_: ; @_ZN7rocprim17ROCPRIM_400000_NS6detail17trampoline_kernelINS0_14default_configENS1_25partition_config_selectorILNS1_17partition_subalgoE5ElNS0_10empty_typeEbEEZZNS1_14partition_implILS5_5ELb0ES3_mN6hipcub16HIPCUB_304000_NS21CountingInputIteratorIllEEPS6_NSA_22TransformInputIteratorIb7NonZeroIdEPdlEENS0_5tupleIJPlS6_EEENSJ_IJSD_SD_EEES6_SK_JS6_EEE10hipError_tPvRmT3_T4_T5_T6_T7_T9_mT8_P12ihipStream_tbDpT10_ENKUlT_T0_E_clISt17integral_constantIbLb0EES15_IbLb1EEEEDaS11_S12_EUlS11_E_NS1_11comp_targetILNS1_3genE4ELNS1_11target_archE910ELNS1_3gpuE8ELNS1_3repE0EEENS1_30default_config_static_selectorELNS0_4arch9wavefront6targetE1EEEvT1_
; %bb.0:
	.section	.rodata,"a",@progbits
	.p2align	6, 0x0
	.amdhsa_kernel _ZN7rocprim17ROCPRIM_400000_NS6detail17trampoline_kernelINS0_14default_configENS1_25partition_config_selectorILNS1_17partition_subalgoE5ElNS0_10empty_typeEbEEZZNS1_14partition_implILS5_5ELb0ES3_mN6hipcub16HIPCUB_304000_NS21CountingInputIteratorIllEEPS6_NSA_22TransformInputIteratorIb7NonZeroIdEPdlEENS0_5tupleIJPlS6_EEENSJ_IJSD_SD_EEES6_SK_JS6_EEE10hipError_tPvRmT3_T4_T5_T6_T7_T9_mT8_P12ihipStream_tbDpT10_ENKUlT_T0_E_clISt17integral_constantIbLb0EES15_IbLb1EEEEDaS11_S12_EUlS11_E_NS1_11comp_targetILNS1_3genE4ELNS1_11target_archE910ELNS1_3gpuE8ELNS1_3repE0EEENS1_30default_config_static_selectorELNS0_4arch9wavefront6targetE1EEEvT1_
		.amdhsa_group_segment_fixed_size 0
		.amdhsa_private_segment_fixed_size 0
		.amdhsa_kernarg_size 136
		.amdhsa_user_sgpr_count 6
		.amdhsa_user_sgpr_private_segment_buffer 1
		.amdhsa_user_sgpr_dispatch_ptr 0
		.amdhsa_user_sgpr_queue_ptr 0
		.amdhsa_user_sgpr_kernarg_segment_ptr 1
		.amdhsa_user_sgpr_dispatch_id 0
		.amdhsa_user_sgpr_flat_scratch_init 0
		.amdhsa_user_sgpr_private_segment_size 0
		.amdhsa_uses_dynamic_stack 0
		.amdhsa_system_sgpr_private_segment_wavefront_offset 0
		.amdhsa_system_sgpr_workgroup_id_x 1
		.amdhsa_system_sgpr_workgroup_id_y 0
		.amdhsa_system_sgpr_workgroup_id_z 0
		.amdhsa_system_sgpr_workgroup_info 0
		.amdhsa_system_vgpr_workitem_id 0
		.amdhsa_next_free_vgpr 1
		.amdhsa_next_free_sgpr 0
		.amdhsa_reserve_vcc 0
		.amdhsa_reserve_flat_scratch 0
		.amdhsa_float_round_mode_32 0
		.amdhsa_float_round_mode_16_64 0
		.amdhsa_float_denorm_mode_32 3
		.amdhsa_float_denorm_mode_16_64 3
		.amdhsa_dx10_clamp 1
		.amdhsa_ieee_mode 1
		.amdhsa_fp16_overflow 0
		.amdhsa_exception_fp_ieee_invalid_op 0
		.amdhsa_exception_fp_denorm_src 0
		.amdhsa_exception_fp_ieee_div_zero 0
		.amdhsa_exception_fp_ieee_overflow 0
		.amdhsa_exception_fp_ieee_underflow 0
		.amdhsa_exception_fp_ieee_inexact 0
		.amdhsa_exception_int_div_zero 0
	.end_amdhsa_kernel
	.section	.text._ZN7rocprim17ROCPRIM_400000_NS6detail17trampoline_kernelINS0_14default_configENS1_25partition_config_selectorILNS1_17partition_subalgoE5ElNS0_10empty_typeEbEEZZNS1_14partition_implILS5_5ELb0ES3_mN6hipcub16HIPCUB_304000_NS21CountingInputIteratorIllEEPS6_NSA_22TransformInputIteratorIb7NonZeroIdEPdlEENS0_5tupleIJPlS6_EEENSJ_IJSD_SD_EEES6_SK_JS6_EEE10hipError_tPvRmT3_T4_T5_T6_T7_T9_mT8_P12ihipStream_tbDpT10_ENKUlT_T0_E_clISt17integral_constantIbLb0EES15_IbLb1EEEEDaS11_S12_EUlS11_E_NS1_11comp_targetILNS1_3genE4ELNS1_11target_archE910ELNS1_3gpuE8ELNS1_3repE0EEENS1_30default_config_static_selectorELNS0_4arch9wavefront6targetE1EEEvT1_,"axG",@progbits,_ZN7rocprim17ROCPRIM_400000_NS6detail17trampoline_kernelINS0_14default_configENS1_25partition_config_selectorILNS1_17partition_subalgoE5ElNS0_10empty_typeEbEEZZNS1_14partition_implILS5_5ELb0ES3_mN6hipcub16HIPCUB_304000_NS21CountingInputIteratorIllEEPS6_NSA_22TransformInputIteratorIb7NonZeroIdEPdlEENS0_5tupleIJPlS6_EEENSJ_IJSD_SD_EEES6_SK_JS6_EEE10hipError_tPvRmT3_T4_T5_T6_T7_T9_mT8_P12ihipStream_tbDpT10_ENKUlT_T0_E_clISt17integral_constantIbLb0EES15_IbLb1EEEEDaS11_S12_EUlS11_E_NS1_11comp_targetILNS1_3genE4ELNS1_11target_archE910ELNS1_3gpuE8ELNS1_3repE0EEENS1_30default_config_static_selectorELNS0_4arch9wavefront6targetE1EEEvT1_,comdat
.Lfunc_end347:
	.size	_ZN7rocprim17ROCPRIM_400000_NS6detail17trampoline_kernelINS0_14default_configENS1_25partition_config_selectorILNS1_17partition_subalgoE5ElNS0_10empty_typeEbEEZZNS1_14partition_implILS5_5ELb0ES3_mN6hipcub16HIPCUB_304000_NS21CountingInputIteratorIllEEPS6_NSA_22TransformInputIteratorIb7NonZeroIdEPdlEENS0_5tupleIJPlS6_EEENSJ_IJSD_SD_EEES6_SK_JS6_EEE10hipError_tPvRmT3_T4_T5_T6_T7_T9_mT8_P12ihipStream_tbDpT10_ENKUlT_T0_E_clISt17integral_constantIbLb0EES15_IbLb1EEEEDaS11_S12_EUlS11_E_NS1_11comp_targetILNS1_3genE4ELNS1_11target_archE910ELNS1_3gpuE8ELNS1_3repE0EEENS1_30default_config_static_selectorELNS0_4arch9wavefront6targetE1EEEvT1_, .Lfunc_end347-_ZN7rocprim17ROCPRIM_400000_NS6detail17trampoline_kernelINS0_14default_configENS1_25partition_config_selectorILNS1_17partition_subalgoE5ElNS0_10empty_typeEbEEZZNS1_14partition_implILS5_5ELb0ES3_mN6hipcub16HIPCUB_304000_NS21CountingInputIteratorIllEEPS6_NSA_22TransformInputIteratorIb7NonZeroIdEPdlEENS0_5tupleIJPlS6_EEENSJ_IJSD_SD_EEES6_SK_JS6_EEE10hipError_tPvRmT3_T4_T5_T6_T7_T9_mT8_P12ihipStream_tbDpT10_ENKUlT_T0_E_clISt17integral_constantIbLb0EES15_IbLb1EEEEDaS11_S12_EUlS11_E_NS1_11comp_targetILNS1_3genE4ELNS1_11target_archE910ELNS1_3gpuE8ELNS1_3repE0EEENS1_30default_config_static_selectorELNS0_4arch9wavefront6targetE1EEEvT1_
                                        ; -- End function
	.set _ZN7rocprim17ROCPRIM_400000_NS6detail17trampoline_kernelINS0_14default_configENS1_25partition_config_selectorILNS1_17partition_subalgoE5ElNS0_10empty_typeEbEEZZNS1_14partition_implILS5_5ELb0ES3_mN6hipcub16HIPCUB_304000_NS21CountingInputIteratorIllEEPS6_NSA_22TransformInputIteratorIb7NonZeroIdEPdlEENS0_5tupleIJPlS6_EEENSJ_IJSD_SD_EEES6_SK_JS6_EEE10hipError_tPvRmT3_T4_T5_T6_T7_T9_mT8_P12ihipStream_tbDpT10_ENKUlT_T0_E_clISt17integral_constantIbLb0EES15_IbLb1EEEEDaS11_S12_EUlS11_E_NS1_11comp_targetILNS1_3genE4ELNS1_11target_archE910ELNS1_3gpuE8ELNS1_3repE0EEENS1_30default_config_static_selectorELNS0_4arch9wavefront6targetE1EEEvT1_.num_vgpr, 0
	.set _ZN7rocprim17ROCPRIM_400000_NS6detail17trampoline_kernelINS0_14default_configENS1_25partition_config_selectorILNS1_17partition_subalgoE5ElNS0_10empty_typeEbEEZZNS1_14partition_implILS5_5ELb0ES3_mN6hipcub16HIPCUB_304000_NS21CountingInputIteratorIllEEPS6_NSA_22TransformInputIteratorIb7NonZeroIdEPdlEENS0_5tupleIJPlS6_EEENSJ_IJSD_SD_EEES6_SK_JS6_EEE10hipError_tPvRmT3_T4_T5_T6_T7_T9_mT8_P12ihipStream_tbDpT10_ENKUlT_T0_E_clISt17integral_constantIbLb0EES15_IbLb1EEEEDaS11_S12_EUlS11_E_NS1_11comp_targetILNS1_3genE4ELNS1_11target_archE910ELNS1_3gpuE8ELNS1_3repE0EEENS1_30default_config_static_selectorELNS0_4arch9wavefront6targetE1EEEvT1_.num_agpr, 0
	.set _ZN7rocprim17ROCPRIM_400000_NS6detail17trampoline_kernelINS0_14default_configENS1_25partition_config_selectorILNS1_17partition_subalgoE5ElNS0_10empty_typeEbEEZZNS1_14partition_implILS5_5ELb0ES3_mN6hipcub16HIPCUB_304000_NS21CountingInputIteratorIllEEPS6_NSA_22TransformInputIteratorIb7NonZeroIdEPdlEENS0_5tupleIJPlS6_EEENSJ_IJSD_SD_EEES6_SK_JS6_EEE10hipError_tPvRmT3_T4_T5_T6_T7_T9_mT8_P12ihipStream_tbDpT10_ENKUlT_T0_E_clISt17integral_constantIbLb0EES15_IbLb1EEEEDaS11_S12_EUlS11_E_NS1_11comp_targetILNS1_3genE4ELNS1_11target_archE910ELNS1_3gpuE8ELNS1_3repE0EEENS1_30default_config_static_selectorELNS0_4arch9wavefront6targetE1EEEvT1_.numbered_sgpr, 0
	.set _ZN7rocprim17ROCPRIM_400000_NS6detail17trampoline_kernelINS0_14default_configENS1_25partition_config_selectorILNS1_17partition_subalgoE5ElNS0_10empty_typeEbEEZZNS1_14partition_implILS5_5ELb0ES3_mN6hipcub16HIPCUB_304000_NS21CountingInputIteratorIllEEPS6_NSA_22TransformInputIteratorIb7NonZeroIdEPdlEENS0_5tupleIJPlS6_EEENSJ_IJSD_SD_EEES6_SK_JS6_EEE10hipError_tPvRmT3_T4_T5_T6_T7_T9_mT8_P12ihipStream_tbDpT10_ENKUlT_T0_E_clISt17integral_constantIbLb0EES15_IbLb1EEEEDaS11_S12_EUlS11_E_NS1_11comp_targetILNS1_3genE4ELNS1_11target_archE910ELNS1_3gpuE8ELNS1_3repE0EEENS1_30default_config_static_selectorELNS0_4arch9wavefront6targetE1EEEvT1_.num_named_barrier, 0
	.set _ZN7rocprim17ROCPRIM_400000_NS6detail17trampoline_kernelINS0_14default_configENS1_25partition_config_selectorILNS1_17partition_subalgoE5ElNS0_10empty_typeEbEEZZNS1_14partition_implILS5_5ELb0ES3_mN6hipcub16HIPCUB_304000_NS21CountingInputIteratorIllEEPS6_NSA_22TransformInputIteratorIb7NonZeroIdEPdlEENS0_5tupleIJPlS6_EEENSJ_IJSD_SD_EEES6_SK_JS6_EEE10hipError_tPvRmT3_T4_T5_T6_T7_T9_mT8_P12ihipStream_tbDpT10_ENKUlT_T0_E_clISt17integral_constantIbLb0EES15_IbLb1EEEEDaS11_S12_EUlS11_E_NS1_11comp_targetILNS1_3genE4ELNS1_11target_archE910ELNS1_3gpuE8ELNS1_3repE0EEENS1_30default_config_static_selectorELNS0_4arch9wavefront6targetE1EEEvT1_.private_seg_size, 0
	.set _ZN7rocprim17ROCPRIM_400000_NS6detail17trampoline_kernelINS0_14default_configENS1_25partition_config_selectorILNS1_17partition_subalgoE5ElNS0_10empty_typeEbEEZZNS1_14partition_implILS5_5ELb0ES3_mN6hipcub16HIPCUB_304000_NS21CountingInputIteratorIllEEPS6_NSA_22TransformInputIteratorIb7NonZeroIdEPdlEENS0_5tupleIJPlS6_EEENSJ_IJSD_SD_EEES6_SK_JS6_EEE10hipError_tPvRmT3_T4_T5_T6_T7_T9_mT8_P12ihipStream_tbDpT10_ENKUlT_T0_E_clISt17integral_constantIbLb0EES15_IbLb1EEEEDaS11_S12_EUlS11_E_NS1_11comp_targetILNS1_3genE4ELNS1_11target_archE910ELNS1_3gpuE8ELNS1_3repE0EEENS1_30default_config_static_selectorELNS0_4arch9wavefront6targetE1EEEvT1_.uses_vcc, 0
	.set _ZN7rocprim17ROCPRIM_400000_NS6detail17trampoline_kernelINS0_14default_configENS1_25partition_config_selectorILNS1_17partition_subalgoE5ElNS0_10empty_typeEbEEZZNS1_14partition_implILS5_5ELb0ES3_mN6hipcub16HIPCUB_304000_NS21CountingInputIteratorIllEEPS6_NSA_22TransformInputIteratorIb7NonZeroIdEPdlEENS0_5tupleIJPlS6_EEENSJ_IJSD_SD_EEES6_SK_JS6_EEE10hipError_tPvRmT3_T4_T5_T6_T7_T9_mT8_P12ihipStream_tbDpT10_ENKUlT_T0_E_clISt17integral_constantIbLb0EES15_IbLb1EEEEDaS11_S12_EUlS11_E_NS1_11comp_targetILNS1_3genE4ELNS1_11target_archE910ELNS1_3gpuE8ELNS1_3repE0EEENS1_30default_config_static_selectorELNS0_4arch9wavefront6targetE1EEEvT1_.uses_flat_scratch, 0
	.set _ZN7rocprim17ROCPRIM_400000_NS6detail17trampoline_kernelINS0_14default_configENS1_25partition_config_selectorILNS1_17partition_subalgoE5ElNS0_10empty_typeEbEEZZNS1_14partition_implILS5_5ELb0ES3_mN6hipcub16HIPCUB_304000_NS21CountingInputIteratorIllEEPS6_NSA_22TransformInputIteratorIb7NonZeroIdEPdlEENS0_5tupleIJPlS6_EEENSJ_IJSD_SD_EEES6_SK_JS6_EEE10hipError_tPvRmT3_T4_T5_T6_T7_T9_mT8_P12ihipStream_tbDpT10_ENKUlT_T0_E_clISt17integral_constantIbLb0EES15_IbLb1EEEEDaS11_S12_EUlS11_E_NS1_11comp_targetILNS1_3genE4ELNS1_11target_archE910ELNS1_3gpuE8ELNS1_3repE0EEENS1_30default_config_static_selectorELNS0_4arch9wavefront6targetE1EEEvT1_.has_dyn_sized_stack, 0
	.set _ZN7rocprim17ROCPRIM_400000_NS6detail17trampoline_kernelINS0_14default_configENS1_25partition_config_selectorILNS1_17partition_subalgoE5ElNS0_10empty_typeEbEEZZNS1_14partition_implILS5_5ELb0ES3_mN6hipcub16HIPCUB_304000_NS21CountingInputIteratorIllEEPS6_NSA_22TransformInputIteratorIb7NonZeroIdEPdlEENS0_5tupleIJPlS6_EEENSJ_IJSD_SD_EEES6_SK_JS6_EEE10hipError_tPvRmT3_T4_T5_T6_T7_T9_mT8_P12ihipStream_tbDpT10_ENKUlT_T0_E_clISt17integral_constantIbLb0EES15_IbLb1EEEEDaS11_S12_EUlS11_E_NS1_11comp_targetILNS1_3genE4ELNS1_11target_archE910ELNS1_3gpuE8ELNS1_3repE0EEENS1_30default_config_static_selectorELNS0_4arch9wavefront6targetE1EEEvT1_.has_recursion, 0
	.set _ZN7rocprim17ROCPRIM_400000_NS6detail17trampoline_kernelINS0_14default_configENS1_25partition_config_selectorILNS1_17partition_subalgoE5ElNS0_10empty_typeEbEEZZNS1_14partition_implILS5_5ELb0ES3_mN6hipcub16HIPCUB_304000_NS21CountingInputIteratorIllEEPS6_NSA_22TransformInputIteratorIb7NonZeroIdEPdlEENS0_5tupleIJPlS6_EEENSJ_IJSD_SD_EEES6_SK_JS6_EEE10hipError_tPvRmT3_T4_T5_T6_T7_T9_mT8_P12ihipStream_tbDpT10_ENKUlT_T0_E_clISt17integral_constantIbLb0EES15_IbLb1EEEEDaS11_S12_EUlS11_E_NS1_11comp_targetILNS1_3genE4ELNS1_11target_archE910ELNS1_3gpuE8ELNS1_3repE0EEENS1_30default_config_static_selectorELNS0_4arch9wavefront6targetE1EEEvT1_.has_indirect_call, 0
	.section	.AMDGPU.csdata,"",@progbits
; Kernel info:
; codeLenInByte = 0
; TotalNumSgprs: 4
; NumVgprs: 0
; ScratchSize: 0
; MemoryBound: 0
; FloatMode: 240
; IeeeMode: 1
; LDSByteSize: 0 bytes/workgroup (compile time only)
; SGPRBlocks: 0
; VGPRBlocks: 0
; NumSGPRsForWavesPerEU: 4
; NumVGPRsForWavesPerEU: 1
; Occupancy: 10
; WaveLimiterHint : 0
; COMPUTE_PGM_RSRC2:SCRATCH_EN: 0
; COMPUTE_PGM_RSRC2:USER_SGPR: 6
; COMPUTE_PGM_RSRC2:TRAP_HANDLER: 0
; COMPUTE_PGM_RSRC2:TGID_X_EN: 1
; COMPUTE_PGM_RSRC2:TGID_Y_EN: 0
; COMPUTE_PGM_RSRC2:TGID_Z_EN: 0
; COMPUTE_PGM_RSRC2:TIDIG_COMP_CNT: 0
	.section	.text._ZN7rocprim17ROCPRIM_400000_NS6detail17trampoline_kernelINS0_14default_configENS1_25partition_config_selectorILNS1_17partition_subalgoE5ElNS0_10empty_typeEbEEZZNS1_14partition_implILS5_5ELb0ES3_mN6hipcub16HIPCUB_304000_NS21CountingInputIteratorIllEEPS6_NSA_22TransformInputIteratorIb7NonZeroIdEPdlEENS0_5tupleIJPlS6_EEENSJ_IJSD_SD_EEES6_SK_JS6_EEE10hipError_tPvRmT3_T4_T5_T6_T7_T9_mT8_P12ihipStream_tbDpT10_ENKUlT_T0_E_clISt17integral_constantIbLb0EES15_IbLb1EEEEDaS11_S12_EUlS11_E_NS1_11comp_targetILNS1_3genE3ELNS1_11target_archE908ELNS1_3gpuE7ELNS1_3repE0EEENS1_30default_config_static_selectorELNS0_4arch9wavefront6targetE1EEEvT1_,"axG",@progbits,_ZN7rocprim17ROCPRIM_400000_NS6detail17trampoline_kernelINS0_14default_configENS1_25partition_config_selectorILNS1_17partition_subalgoE5ElNS0_10empty_typeEbEEZZNS1_14partition_implILS5_5ELb0ES3_mN6hipcub16HIPCUB_304000_NS21CountingInputIteratorIllEEPS6_NSA_22TransformInputIteratorIb7NonZeroIdEPdlEENS0_5tupleIJPlS6_EEENSJ_IJSD_SD_EEES6_SK_JS6_EEE10hipError_tPvRmT3_T4_T5_T6_T7_T9_mT8_P12ihipStream_tbDpT10_ENKUlT_T0_E_clISt17integral_constantIbLb0EES15_IbLb1EEEEDaS11_S12_EUlS11_E_NS1_11comp_targetILNS1_3genE3ELNS1_11target_archE908ELNS1_3gpuE7ELNS1_3repE0EEENS1_30default_config_static_selectorELNS0_4arch9wavefront6targetE1EEEvT1_,comdat
	.protected	_ZN7rocprim17ROCPRIM_400000_NS6detail17trampoline_kernelINS0_14default_configENS1_25partition_config_selectorILNS1_17partition_subalgoE5ElNS0_10empty_typeEbEEZZNS1_14partition_implILS5_5ELb0ES3_mN6hipcub16HIPCUB_304000_NS21CountingInputIteratorIllEEPS6_NSA_22TransformInputIteratorIb7NonZeroIdEPdlEENS0_5tupleIJPlS6_EEENSJ_IJSD_SD_EEES6_SK_JS6_EEE10hipError_tPvRmT3_T4_T5_T6_T7_T9_mT8_P12ihipStream_tbDpT10_ENKUlT_T0_E_clISt17integral_constantIbLb0EES15_IbLb1EEEEDaS11_S12_EUlS11_E_NS1_11comp_targetILNS1_3genE3ELNS1_11target_archE908ELNS1_3gpuE7ELNS1_3repE0EEENS1_30default_config_static_selectorELNS0_4arch9wavefront6targetE1EEEvT1_ ; -- Begin function _ZN7rocprim17ROCPRIM_400000_NS6detail17trampoline_kernelINS0_14default_configENS1_25partition_config_selectorILNS1_17partition_subalgoE5ElNS0_10empty_typeEbEEZZNS1_14partition_implILS5_5ELb0ES3_mN6hipcub16HIPCUB_304000_NS21CountingInputIteratorIllEEPS6_NSA_22TransformInputIteratorIb7NonZeroIdEPdlEENS0_5tupleIJPlS6_EEENSJ_IJSD_SD_EEES6_SK_JS6_EEE10hipError_tPvRmT3_T4_T5_T6_T7_T9_mT8_P12ihipStream_tbDpT10_ENKUlT_T0_E_clISt17integral_constantIbLb0EES15_IbLb1EEEEDaS11_S12_EUlS11_E_NS1_11comp_targetILNS1_3genE3ELNS1_11target_archE908ELNS1_3gpuE7ELNS1_3repE0EEENS1_30default_config_static_selectorELNS0_4arch9wavefront6targetE1EEEvT1_
	.globl	_ZN7rocprim17ROCPRIM_400000_NS6detail17trampoline_kernelINS0_14default_configENS1_25partition_config_selectorILNS1_17partition_subalgoE5ElNS0_10empty_typeEbEEZZNS1_14partition_implILS5_5ELb0ES3_mN6hipcub16HIPCUB_304000_NS21CountingInputIteratorIllEEPS6_NSA_22TransformInputIteratorIb7NonZeroIdEPdlEENS0_5tupleIJPlS6_EEENSJ_IJSD_SD_EEES6_SK_JS6_EEE10hipError_tPvRmT3_T4_T5_T6_T7_T9_mT8_P12ihipStream_tbDpT10_ENKUlT_T0_E_clISt17integral_constantIbLb0EES15_IbLb1EEEEDaS11_S12_EUlS11_E_NS1_11comp_targetILNS1_3genE3ELNS1_11target_archE908ELNS1_3gpuE7ELNS1_3repE0EEENS1_30default_config_static_selectorELNS0_4arch9wavefront6targetE1EEEvT1_
	.p2align	8
	.type	_ZN7rocprim17ROCPRIM_400000_NS6detail17trampoline_kernelINS0_14default_configENS1_25partition_config_selectorILNS1_17partition_subalgoE5ElNS0_10empty_typeEbEEZZNS1_14partition_implILS5_5ELb0ES3_mN6hipcub16HIPCUB_304000_NS21CountingInputIteratorIllEEPS6_NSA_22TransformInputIteratorIb7NonZeroIdEPdlEENS0_5tupleIJPlS6_EEENSJ_IJSD_SD_EEES6_SK_JS6_EEE10hipError_tPvRmT3_T4_T5_T6_T7_T9_mT8_P12ihipStream_tbDpT10_ENKUlT_T0_E_clISt17integral_constantIbLb0EES15_IbLb1EEEEDaS11_S12_EUlS11_E_NS1_11comp_targetILNS1_3genE3ELNS1_11target_archE908ELNS1_3gpuE7ELNS1_3repE0EEENS1_30default_config_static_selectorELNS0_4arch9wavefront6targetE1EEEvT1_,@function
_ZN7rocprim17ROCPRIM_400000_NS6detail17trampoline_kernelINS0_14default_configENS1_25partition_config_selectorILNS1_17partition_subalgoE5ElNS0_10empty_typeEbEEZZNS1_14partition_implILS5_5ELb0ES3_mN6hipcub16HIPCUB_304000_NS21CountingInputIteratorIllEEPS6_NSA_22TransformInputIteratorIb7NonZeroIdEPdlEENS0_5tupleIJPlS6_EEENSJ_IJSD_SD_EEES6_SK_JS6_EEE10hipError_tPvRmT3_T4_T5_T6_T7_T9_mT8_P12ihipStream_tbDpT10_ENKUlT_T0_E_clISt17integral_constantIbLb0EES15_IbLb1EEEEDaS11_S12_EUlS11_E_NS1_11comp_targetILNS1_3genE3ELNS1_11target_archE908ELNS1_3gpuE7ELNS1_3repE0EEENS1_30default_config_static_selectorELNS0_4arch9wavefront6targetE1EEEvT1_: ; @_ZN7rocprim17ROCPRIM_400000_NS6detail17trampoline_kernelINS0_14default_configENS1_25partition_config_selectorILNS1_17partition_subalgoE5ElNS0_10empty_typeEbEEZZNS1_14partition_implILS5_5ELb0ES3_mN6hipcub16HIPCUB_304000_NS21CountingInputIteratorIllEEPS6_NSA_22TransformInputIteratorIb7NonZeroIdEPdlEENS0_5tupleIJPlS6_EEENSJ_IJSD_SD_EEES6_SK_JS6_EEE10hipError_tPvRmT3_T4_T5_T6_T7_T9_mT8_P12ihipStream_tbDpT10_ENKUlT_T0_E_clISt17integral_constantIbLb0EES15_IbLb1EEEEDaS11_S12_EUlS11_E_NS1_11comp_targetILNS1_3genE3ELNS1_11target_archE908ELNS1_3gpuE7ELNS1_3repE0EEENS1_30default_config_static_selectorELNS0_4arch9wavefront6targetE1EEEvT1_
; %bb.0:
	.section	.rodata,"a",@progbits
	.p2align	6, 0x0
	.amdhsa_kernel _ZN7rocprim17ROCPRIM_400000_NS6detail17trampoline_kernelINS0_14default_configENS1_25partition_config_selectorILNS1_17partition_subalgoE5ElNS0_10empty_typeEbEEZZNS1_14partition_implILS5_5ELb0ES3_mN6hipcub16HIPCUB_304000_NS21CountingInputIteratorIllEEPS6_NSA_22TransformInputIteratorIb7NonZeroIdEPdlEENS0_5tupleIJPlS6_EEENSJ_IJSD_SD_EEES6_SK_JS6_EEE10hipError_tPvRmT3_T4_T5_T6_T7_T9_mT8_P12ihipStream_tbDpT10_ENKUlT_T0_E_clISt17integral_constantIbLb0EES15_IbLb1EEEEDaS11_S12_EUlS11_E_NS1_11comp_targetILNS1_3genE3ELNS1_11target_archE908ELNS1_3gpuE7ELNS1_3repE0EEENS1_30default_config_static_selectorELNS0_4arch9wavefront6targetE1EEEvT1_
		.amdhsa_group_segment_fixed_size 0
		.amdhsa_private_segment_fixed_size 0
		.amdhsa_kernarg_size 136
		.amdhsa_user_sgpr_count 6
		.amdhsa_user_sgpr_private_segment_buffer 1
		.amdhsa_user_sgpr_dispatch_ptr 0
		.amdhsa_user_sgpr_queue_ptr 0
		.amdhsa_user_sgpr_kernarg_segment_ptr 1
		.amdhsa_user_sgpr_dispatch_id 0
		.amdhsa_user_sgpr_flat_scratch_init 0
		.amdhsa_user_sgpr_private_segment_size 0
		.amdhsa_uses_dynamic_stack 0
		.amdhsa_system_sgpr_private_segment_wavefront_offset 0
		.amdhsa_system_sgpr_workgroup_id_x 1
		.amdhsa_system_sgpr_workgroup_id_y 0
		.amdhsa_system_sgpr_workgroup_id_z 0
		.amdhsa_system_sgpr_workgroup_info 0
		.amdhsa_system_vgpr_workitem_id 0
		.amdhsa_next_free_vgpr 1
		.amdhsa_next_free_sgpr 0
		.amdhsa_reserve_vcc 0
		.amdhsa_reserve_flat_scratch 0
		.amdhsa_float_round_mode_32 0
		.amdhsa_float_round_mode_16_64 0
		.amdhsa_float_denorm_mode_32 3
		.amdhsa_float_denorm_mode_16_64 3
		.amdhsa_dx10_clamp 1
		.amdhsa_ieee_mode 1
		.amdhsa_fp16_overflow 0
		.amdhsa_exception_fp_ieee_invalid_op 0
		.amdhsa_exception_fp_denorm_src 0
		.amdhsa_exception_fp_ieee_div_zero 0
		.amdhsa_exception_fp_ieee_overflow 0
		.amdhsa_exception_fp_ieee_underflow 0
		.amdhsa_exception_fp_ieee_inexact 0
		.amdhsa_exception_int_div_zero 0
	.end_amdhsa_kernel
	.section	.text._ZN7rocprim17ROCPRIM_400000_NS6detail17trampoline_kernelINS0_14default_configENS1_25partition_config_selectorILNS1_17partition_subalgoE5ElNS0_10empty_typeEbEEZZNS1_14partition_implILS5_5ELb0ES3_mN6hipcub16HIPCUB_304000_NS21CountingInputIteratorIllEEPS6_NSA_22TransformInputIteratorIb7NonZeroIdEPdlEENS0_5tupleIJPlS6_EEENSJ_IJSD_SD_EEES6_SK_JS6_EEE10hipError_tPvRmT3_T4_T5_T6_T7_T9_mT8_P12ihipStream_tbDpT10_ENKUlT_T0_E_clISt17integral_constantIbLb0EES15_IbLb1EEEEDaS11_S12_EUlS11_E_NS1_11comp_targetILNS1_3genE3ELNS1_11target_archE908ELNS1_3gpuE7ELNS1_3repE0EEENS1_30default_config_static_selectorELNS0_4arch9wavefront6targetE1EEEvT1_,"axG",@progbits,_ZN7rocprim17ROCPRIM_400000_NS6detail17trampoline_kernelINS0_14default_configENS1_25partition_config_selectorILNS1_17partition_subalgoE5ElNS0_10empty_typeEbEEZZNS1_14partition_implILS5_5ELb0ES3_mN6hipcub16HIPCUB_304000_NS21CountingInputIteratorIllEEPS6_NSA_22TransformInputIteratorIb7NonZeroIdEPdlEENS0_5tupleIJPlS6_EEENSJ_IJSD_SD_EEES6_SK_JS6_EEE10hipError_tPvRmT3_T4_T5_T6_T7_T9_mT8_P12ihipStream_tbDpT10_ENKUlT_T0_E_clISt17integral_constantIbLb0EES15_IbLb1EEEEDaS11_S12_EUlS11_E_NS1_11comp_targetILNS1_3genE3ELNS1_11target_archE908ELNS1_3gpuE7ELNS1_3repE0EEENS1_30default_config_static_selectorELNS0_4arch9wavefront6targetE1EEEvT1_,comdat
.Lfunc_end348:
	.size	_ZN7rocprim17ROCPRIM_400000_NS6detail17trampoline_kernelINS0_14default_configENS1_25partition_config_selectorILNS1_17partition_subalgoE5ElNS0_10empty_typeEbEEZZNS1_14partition_implILS5_5ELb0ES3_mN6hipcub16HIPCUB_304000_NS21CountingInputIteratorIllEEPS6_NSA_22TransformInputIteratorIb7NonZeroIdEPdlEENS0_5tupleIJPlS6_EEENSJ_IJSD_SD_EEES6_SK_JS6_EEE10hipError_tPvRmT3_T4_T5_T6_T7_T9_mT8_P12ihipStream_tbDpT10_ENKUlT_T0_E_clISt17integral_constantIbLb0EES15_IbLb1EEEEDaS11_S12_EUlS11_E_NS1_11comp_targetILNS1_3genE3ELNS1_11target_archE908ELNS1_3gpuE7ELNS1_3repE0EEENS1_30default_config_static_selectorELNS0_4arch9wavefront6targetE1EEEvT1_, .Lfunc_end348-_ZN7rocprim17ROCPRIM_400000_NS6detail17trampoline_kernelINS0_14default_configENS1_25partition_config_selectorILNS1_17partition_subalgoE5ElNS0_10empty_typeEbEEZZNS1_14partition_implILS5_5ELb0ES3_mN6hipcub16HIPCUB_304000_NS21CountingInputIteratorIllEEPS6_NSA_22TransformInputIteratorIb7NonZeroIdEPdlEENS0_5tupleIJPlS6_EEENSJ_IJSD_SD_EEES6_SK_JS6_EEE10hipError_tPvRmT3_T4_T5_T6_T7_T9_mT8_P12ihipStream_tbDpT10_ENKUlT_T0_E_clISt17integral_constantIbLb0EES15_IbLb1EEEEDaS11_S12_EUlS11_E_NS1_11comp_targetILNS1_3genE3ELNS1_11target_archE908ELNS1_3gpuE7ELNS1_3repE0EEENS1_30default_config_static_selectorELNS0_4arch9wavefront6targetE1EEEvT1_
                                        ; -- End function
	.set _ZN7rocprim17ROCPRIM_400000_NS6detail17trampoline_kernelINS0_14default_configENS1_25partition_config_selectorILNS1_17partition_subalgoE5ElNS0_10empty_typeEbEEZZNS1_14partition_implILS5_5ELb0ES3_mN6hipcub16HIPCUB_304000_NS21CountingInputIteratorIllEEPS6_NSA_22TransformInputIteratorIb7NonZeroIdEPdlEENS0_5tupleIJPlS6_EEENSJ_IJSD_SD_EEES6_SK_JS6_EEE10hipError_tPvRmT3_T4_T5_T6_T7_T9_mT8_P12ihipStream_tbDpT10_ENKUlT_T0_E_clISt17integral_constantIbLb0EES15_IbLb1EEEEDaS11_S12_EUlS11_E_NS1_11comp_targetILNS1_3genE3ELNS1_11target_archE908ELNS1_3gpuE7ELNS1_3repE0EEENS1_30default_config_static_selectorELNS0_4arch9wavefront6targetE1EEEvT1_.num_vgpr, 0
	.set _ZN7rocprim17ROCPRIM_400000_NS6detail17trampoline_kernelINS0_14default_configENS1_25partition_config_selectorILNS1_17partition_subalgoE5ElNS0_10empty_typeEbEEZZNS1_14partition_implILS5_5ELb0ES3_mN6hipcub16HIPCUB_304000_NS21CountingInputIteratorIllEEPS6_NSA_22TransformInputIteratorIb7NonZeroIdEPdlEENS0_5tupleIJPlS6_EEENSJ_IJSD_SD_EEES6_SK_JS6_EEE10hipError_tPvRmT3_T4_T5_T6_T7_T9_mT8_P12ihipStream_tbDpT10_ENKUlT_T0_E_clISt17integral_constantIbLb0EES15_IbLb1EEEEDaS11_S12_EUlS11_E_NS1_11comp_targetILNS1_3genE3ELNS1_11target_archE908ELNS1_3gpuE7ELNS1_3repE0EEENS1_30default_config_static_selectorELNS0_4arch9wavefront6targetE1EEEvT1_.num_agpr, 0
	.set _ZN7rocprim17ROCPRIM_400000_NS6detail17trampoline_kernelINS0_14default_configENS1_25partition_config_selectorILNS1_17partition_subalgoE5ElNS0_10empty_typeEbEEZZNS1_14partition_implILS5_5ELb0ES3_mN6hipcub16HIPCUB_304000_NS21CountingInputIteratorIllEEPS6_NSA_22TransformInputIteratorIb7NonZeroIdEPdlEENS0_5tupleIJPlS6_EEENSJ_IJSD_SD_EEES6_SK_JS6_EEE10hipError_tPvRmT3_T4_T5_T6_T7_T9_mT8_P12ihipStream_tbDpT10_ENKUlT_T0_E_clISt17integral_constantIbLb0EES15_IbLb1EEEEDaS11_S12_EUlS11_E_NS1_11comp_targetILNS1_3genE3ELNS1_11target_archE908ELNS1_3gpuE7ELNS1_3repE0EEENS1_30default_config_static_selectorELNS0_4arch9wavefront6targetE1EEEvT1_.numbered_sgpr, 0
	.set _ZN7rocprim17ROCPRIM_400000_NS6detail17trampoline_kernelINS0_14default_configENS1_25partition_config_selectorILNS1_17partition_subalgoE5ElNS0_10empty_typeEbEEZZNS1_14partition_implILS5_5ELb0ES3_mN6hipcub16HIPCUB_304000_NS21CountingInputIteratorIllEEPS6_NSA_22TransformInputIteratorIb7NonZeroIdEPdlEENS0_5tupleIJPlS6_EEENSJ_IJSD_SD_EEES6_SK_JS6_EEE10hipError_tPvRmT3_T4_T5_T6_T7_T9_mT8_P12ihipStream_tbDpT10_ENKUlT_T0_E_clISt17integral_constantIbLb0EES15_IbLb1EEEEDaS11_S12_EUlS11_E_NS1_11comp_targetILNS1_3genE3ELNS1_11target_archE908ELNS1_3gpuE7ELNS1_3repE0EEENS1_30default_config_static_selectorELNS0_4arch9wavefront6targetE1EEEvT1_.num_named_barrier, 0
	.set _ZN7rocprim17ROCPRIM_400000_NS6detail17trampoline_kernelINS0_14default_configENS1_25partition_config_selectorILNS1_17partition_subalgoE5ElNS0_10empty_typeEbEEZZNS1_14partition_implILS5_5ELb0ES3_mN6hipcub16HIPCUB_304000_NS21CountingInputIteratorIllEEPS6_NSA_22TransformInputIteratorIb7NonZeroIdEPdlEENS0_5tupleIJPlS6_EEENSJ_IJSD_SD_EEES6_SK_JS6_EEE10hipError_tPvRmT3_T4_T5_T6_T7_T9_mT8_P12ihipStream_tbDpT10_ENKUlT_T0_E_clISt17integral_constantIbLb0EES15_IbLb1EEEEDaS11_S12_EUlS11_E_NS1_11comp_targetILNS1_3genE3ELNS1_11target_archE908ELNS1_3gpuE7ELNS1_3repE0EEENS1_30default_config_static_selectorELNS0_4arch9wavefront6targetE1EEEvT1_.private_seg_size, 0
	.set _ZN7rocprim17ROCPRIM_400000_NS6detail17trampoline_kernelINS0_14default_configENS1_25partition_config_selectorILNS1_17partition_subalgoE5ElNS0_10empty_typeEbEEZZNS1_14partition_implILS5_5ELb0ES3_mN6hipcub16HIPCUB_304000_NS21CountingInputIteratorIllEEPS6_NSA_22TransformInputIteratorIb7NonZeroIdEPdlEENS0_5tupleIJPlS6_EEENSJ_IJSD_SD_EEES6_SK_JS6_EEE10hipError_tPvRmT3_T4_T5_T6_T7_T9_mT8_P12ihipStream_tbDpT10_ENKUlT_T0_E_clISt17integral_constantIbLb0EES15_IbLb1EEEEDaS11_S12_EUlS11_E_NS1_11comp_targetILNS1_3genE3ELNS1_11target_archE908ELNS1_3gpuE7ELNS1_3repE0EEENS1_30default_config_static_selectorELNS0_4arch9wavefront6targetE1EEEvT1_.uses_vcc, 0
	.set _ZN7rocprim17ROCPRIM_400000_NS6detail17trampoline_kernelINS0_14default_configENS1_25partition_config_selectorILNS1_17partition_subalgoE5ElNS0_10empty_typeEbEEZZNS1_14partition_implILS5_5ELb0ES3_mN6hipcub16HIPCUB_304000_NS21CountingInputIteratorIllEEPS6_NSA_22TransformInputIteratorIb7NonZeroIdEPdlEENS0_5tupleIJPlS6_EEENSJ_IJSD_SD_EEES6_SK_JS6_EEE10hipError_tPvRmT3_T4_T5_T6_T7_T9_mT8_P12ihipStream_tbDpT10_ENKUlT_T0_E_clISt17integral_constantIbLb0EES15_IbLb1EEEEDaS11_S12_EUlS11_E_NS1_11comp_targetILNS1_3genE3ELNS1_11target_archE908ELNS1_3gpuE7ELNS1_3repE0EEENS1_30default_config_static_selectorELNS0_4arch9wavefront6targetE1EEEvT1_.uses_flat_scratch, 0
	.set _ZN7rocprim17ROCPRIM_400000_NS6detail17trampoline_kernelINS0_14default_configENS1_25partition_config_selectorILNS1_17partition_subalgoE5ElNS0_10empty_typeEbEEZZNS1_14partition_implILS5_5ELb0ES3_mN6hipcub16HIPCUB_304000_NS21CountingInputIteratorIllEEPS6_NSA_22TransformInputIteratorIb7NonZeroIdEPdlEENS0_5tupleIJPlS6_EEENSJ_IJSD_SD_EEES6_SK_JS6_EEE10hipError_tPvRmT3_T4_T5_T6_T7_T9_mT8_P12ihipStream_tbDpT10_ENKUlT_T0_E_clISt17integral_constantIbLb0EES15_IbLb1EEEEDaS11_S12_EUlS11_E_NS1_11comp_targetILNS1_3genE3ELNS1_11target_archE908ELNS1_3gpuE7ELNS1_3repE0EEENS1_30default_config_static_selectorELNS0_4arch9wavefront6targetE1EEEvT1_.has_dyn_sized_stack, 0
	.set _ZN7rocprim17ROCPRIM_400000_NS6detail17trampoline_kernelINS0_14default_configENS1_25partition_config_selectorILNS1_17partition_subalgoE5ElNS0_10empty_typeEbEEZZNS1_14partition_implILS5_5ELb0ES3_mN6hipcub16HIPCUB_304000_NS21CountingInputIteratorIllEEPS6_NSA_22TransformInputIteratorIb7NonZeroIdEPdlEENS0_5tupleIJPlS6_EEENSJ_IJSD_SD_EEES6_SK_JS6_EEE10hipError_tPvRmT3_T4_T5_T6_T7_T9_mT8_P12ihipStream_tbDpT10_ENKUlT_T0_E_clISt17integral_constantIbLb0EES15_IbLb1EEEEDaS11_S12_EUlS11_E_NS1_11comp_targetILNS1_3genE3ELNS1_11target_archE908ELNS1_3gpuE7ELNS1_3repE0EEENS1_30default_config_static_selectorELNS0_4arch9wavefront6targetE1EEEvT1_.has_recursion, 0
	.set _ZN7rocprim17ROCPRIM_400000_NS6detail17trampoline_kernelINS0_14default_configENS1_25partition_config_selectorILNS1_17partition_subalgoE5ElNS0_10empty_typeEbEEZZNS1_14partition_implILS5_5ELb0ES3_mN6hipcub16HIPCUB_304000_NS21CountingInputIteratorIllEEPS6_NSA_22TransformInputIteratorIb7NonZeroIdEPdlEENS0_5tupleIJPlS6_EEENSJ_IJSD_SD_EEES6_SK_JS6_EEE10hipError_tPvRmT3_T4_T5_T6_T7_T9_mT8_P12ihipStream_tbDpT10_ENKUlT_T0_E_clISt17integral_constantIbLb0EES15_IbLb1EEEEDaS11_S12_EUlS11_E_NS1_11comp_targetILNS1_3genE3ELNS1_11target_archE908ELNS1_3gpuE7ELNS1_3repE0EEENS1_30default_config_static_selectorELNS0_4arch9wavefront6targetE1EEEvT1_.has_indirect_call, 0
	.section	.AMDGPU.csdata,"",@progbits
; Kernel info:
; codeLenInByte = 0
; TotalNumSgprs: 4
; NumVgprs: 0
; ScratchSize: 0
; MemoryBound: 0
; FloatMode: 240
; IeeeMode: 1
; LDSByteSize: 0 bytes/workgroup (compile time only)
; SGPRBlocks: 0
; VGPRBlocks: 0
; NumSGPRsForWavesPerEU: 4
; NumVGPRsForWavesPerEU: 1
; Occupancy: 10
; WaveLimiterHint : 0
; COMPUTE_PGM_RSRC2:SCRATCH_EN: 0
; COMPUTE_PGM_RSRC2:USER_SGPR: 6
; COMPUTE_PGM_RSRC2:TRAP_HANDLER: 0
; COMPUTE_PGM_RSRC2:TGID_X_EN: 1
; COMPUTE_PGM_RSRC2:TGID_Y_EN: 0
; COMPUTE_PGM_RSRC2:TGID_Z_EN: 0
; COMPUTE_PGM_RSRC2:TIDIG_COMP_CNT: 0
	.section	.text._ZN7rocprim17ROCPRIM_400000_NS6detail17trampoline_kernelINS0_14default_configENS1_25partition_config_selectorILNS1_17partition_subalgoE5ElNS0_10empty_typeEbEEZZNS1_14partition_implILS5_5ELb0ES3_mN6hipcub16HIPCUB_304000_NS21CountingInputIteratorIllEEPS6_NSA_22TransformInputIteratorIb7NonZeroIdEPdlEENS0_5tupleIJPlS6_EEENSJ_IJSD_SD_EEES6_SK_JS6_EEE10hipError_tPvRmT3_T4_T5_T6_T7_T9_mT8_P12ihipStream_tbDpT10_ENKUlT_T0_E_clISt17integral_constantIbLb0EES15_IbLb1EEEEDaS11_S12_EUlS11_E_NS1_11comp_targetILNS1_3genE2ELNS1_11target_archE906ELNS1_3gpuE6ELNS1_3repE0EEENS1_30default_config_static_selectorELNS0_4arch9wavefront6targetE1EEEvT1_,"axG",@progbits,_ZN7rocprim17ROCPRIM_400000_NS6detail17trampoline_kernelINS0_14default_configENS1_25partition_config_selectorILNS1_17partition_subalgoE5ElNS0_10empty_typeEbEEZZNS1_14partition_implILS5_5ELb0ES3_mN6hipcub16HIPCUB_304000_NS21CountingInputIteratorIllEEPS6_NSA_22TransformInputIteratorIb7NonZeroIdEPdlEENS0_5tupleIJPlS6_EEENSJ_IJSD_SD_EEES6_SK_JS6_EEE10hipError_tPvRmT3_T4_T5_T6_T7_T9_mT8_P12ihipStream_tbDpT10_ENKUlT_T0_E_clISt17integral_constantIbLb0EES15_IbLb1EEEEDaS11_S12_EUlS11_E_NS1_11comp_targetILNS1_3genE2ELNS1_11target_archE906ELNS1_3gpuE6ELNS1_3repE0EEENS1_30default_config_static_selectorELNS0_4arch9wavefront6targetE1EEEvT1_,comdat
	.protected	_ZN7rocprim17ROCPRIM_400000_NS6detail17trampoline_kernelINS0_14default_configENS1_25partition_config_selectorILNS1_17partition_subalgoE5ElNS0_10empty_typeEbEEZZNS1_14partition_implILS5_5ELb0ES3_mN6hipcub16HIPCUB_304000_NS21CountingInputIteratorIllEEPS6_NSA_22TransformInputIteratorIb7NonZeroIdEPdlEENS0_5tupleIJPlS6_EEENSJ_IJSD_SD_EEES6_SK_JS6_EEE10hipError_tPvRmT3_T4_T5_T6_T7_T9_mT8_P12ihipStream_tbDpT10_ENKUlT_T0_E_clISt17integral_constantIbLb0EES15_IbLb1EEEEDaS11_S12_EUlS11_E_NS1_11comp_targetILNS1_3genE2ELNS1_11target_archE906ELNS1_3gpuE6ELNS1_3repE0EEENS1_30default_config_static_selectorELNS0_4arch9wavefront6targetE1EEEvT1_ ; -- Begin function _ZN7rocprim17ROCPRIM_400000_NS6detail17trampoline_kernelINS0_14default_configENS1_25partition_config_selectorILNS1_17partition_subalgoE5ElNS0_10empty_typeEbEEZZNS1_14partition_implILS5_5ELb0ES3_mN6hipcub16HIPCUB_304000_NS21CountingInputIteratorIllEEPS6_NSA_22TransformInputIteratorIb7NonZeroIdEPdlEENS0_5tupleIJPlS6_EEENSJ_IJSD_SD_EEES6_SK_JS6_EEE10hipError_tPvRmT3_T4_T5_T6_T7_T9_mT8_P12ihipStream_tbDpT10_ENKUlT_T0_E_clISt17integral_constantIbLb0EES15_IbLb1EEEEDaS11_S12_EUlS11_E_NS1_11comp_targetILNS1_3genE2ELNS1_11target_archE906ELNS1_3gpuE6ELNS1_3repE0EEENS1_30default_config_static_selectorELNS0_4arch9wavefront6targetE1EEEvT1_
	.globl	_ZN7rocprim17ROCPRIM_400000_NS6detail17trampoline_kernelINS0_14default_configENS1_25partition_config_selectorILNS1_17partition_subalgoE5ElNS0_10empty_typeEbEEZZNS1_14partition_implILS5_5ELb0ES3_mN6hipcub16HIPCUB_304000_NS21CountingInputIteratorIllEEPS6_NSA_22TransformInputIteratorIb7NonZeroIdEPdlEENS0_5tupleIJPlS6_EEENSJ_IJSD_SD_EEES6_SK_JS6_EEE10hipError_tPvRmT3_T4_T5_T6_T7_T9_mT8_P12ihipStream_tbDpT10_ENKUlT_T0_E_clISt17integral_constantIbLb0EES15_IbLb1EEEEDaS11_S12_EUlS11_E_NS1_11comp_targetILNS1_3genE2ELNS1_11target_archE906ELNS1_3gpuE6ELNS1_3repE0EEENS1_30default_config_static_selectorELNS0_4arch9wavefront6targetE1EEEvT1_
	.p2align	8
	.type	_ZN7rocprim17ROCPRIM_400000_NS6detail17trampoline_kernelINS0_14default_configENS1_25partition_config_selectorILNS1_17partition_subalgoE5ElNS0_10empty_typeEbEEZZNS1_14partition_implILS5_5ELb0ES3_mN6hipcub16HIPCUB_304000_NS21CountingInputIteratorIllEEPS6_NSA_22TransformInputIteratorIb7NonZeroIdEPdlEENS0_5tupleIJPlS6_EEENSJ_IJSD_SD_EEES6_SK_JS6_EEE10hipError_tPvRmT3_T4_T5_T6_T7_T9_mT8_P12ihipStream_tbDpT10_ENKUlT_T0_E_clISt17integral_constantIbLb0EES15_IbLb1EEEEDaS11_S12_EUlS11_E_NS1_11comp_targetILNS1_3genE2ELNS1_11target_archE906ELNS1_3gpuE6ELNS1_3repE0EEENS1_30default_config_static_selectorELNS0_4arch9wavefront6targetE1EEEvT1_,@function
_ZN7rocprim17ROCPRIM_400000_NS6detail17trampoline_kernelINS0_14default_configENS1_25partition_config_selectorILNS1_17partition_subalgoE5ElNS0_10empty_typeEbEEZZNS1_14partition_implILS5_5ELb0ES3_mN6hipcub16HIPCUB_304000_NS21CountingInputIteratorIllEEPS6_NSA_22TransformInputIteratorIb7NonZeroIdEPdlEENS0_5tupleIJPlS6_EEENSJ_IJSD_SD_EEES6_SK_JS6_EEE10hipError_tPvRmT3_T4_T5_T6_T7_T9_mT8_P12ihipStream_tbDpT10_ENKUlT_T0_E_clISt17integral_constantIbLb0EES15_IbLb1EEEEDaS11_S12_EUlS11_E_NS1_11comp_targetILNS1_3genE2ELNS1_11target_archE906ELNS1_3gpuE6ELNS1_3repE0EEENS1_30default_config_static_selectorELNS0_4arch9wavefront6targetE1EEEvT1_: ; @_ZN7rocprim17ROCPRIM_400000_NS6detail17trampoline_kernelINS0_14default_configENS1_25partition_config_selectorILNS1_17partition_subalgoE5ElNS0_10empty_typeEbEEZZNS1_14partition_implILS5_5ELb0ES3_mN6hipcub16HIPCUB_304000_NS21CountingInputIteratorIllEEPS6_NSA_22TransformInputIteratorIb7NonZeroIdEPdlEENS0_5tupleIJPlS6_EEENSJ_IJSD_SD_EEES6_SK_JS6_EEE10hipError_tPvRmT3_T4_T5_T6_T7_T9_mT8_P12ihipStream_tbDpT10_ENKUlT_T0_E_clISt17integral_constantIbLb0EES15_IbLb1EEEEDaS11_S12_EUlS11_E_NS1_11comp_targetILNS1_3genE2ELNS1_11target_archE906ELNS1_3gpuE6ELNS1_3repE0EEENS1_30default_config_static_selectorELNS0_4arch9wavefront6targetE1EEEvT1_
; %bb.0:
	s_load_dwordx2 s[2:3], s[4:5], 0x20
	s_load_dwordx2 s[16:17], s[4:5], 0x30
	;; [unrolled: 1-line block ×3, first 2 shown]
	s_load_dwordx4 s[8:11], s[4:5], 0x48
	s_load_dwordx2 s[20:21], s[4:5], 0x68
	v_cmp_eq_u32_e64 s[0:1], 0, v0
	s_and_saveexec_b64 s[12:13], s[0:1]
	s_cbranch_execz .LBB349_4
; %bb.1:
	s_mov_b64 s[18:19], exec
	v_mbcnt_lo_u32_b32 v1, s18, 0
	v_mbcnt_hi_u32_b32 v1, s19, v1
	v_cmp_eq_u32_e32 vcc, 0, v1
                                        ; implicit-def: $vgpr2
	s_and_saveexec_b64 s[14:15], vcc
	s_cbranch_execz .LBB349_3
; %bb.2:
	s_load_dwordx2 s[22:23], s[4:5], 0x78
	s_bcnt1_i32_b64 s18, s[18:19]
	v_mov_b32_e32 v2, 0
	v_mov_b32_e32 v3, s18
	s_waitcnt lgkmcnt(0)
	global_atomic_add v2, v2, v3, s[22:23] glc
.LBB349_3:
	s_or_b64 exec, exec, s[14:15]
	s_waitcnt vmcnt(0)
	v_readfirstlane_b32 s14, v2
	v_add_u32_e32 v1, s14, v1
	v_mov_b32_e32 v2, 0
	ds_write_b32 v2, v1
.LBB349_4:
	s_or_b64 exec, exec, s[12:13]
	v_mov_b32_e32 v1, 0
	s_load_dwordx4 s[12:15], s[4:5], 0x8
	s_load_dword s18, s[4:5], 0x70
	s_waitcnt lgkmcnt(0)
	s_barrier
	ds_read_b32 v5, v1
	s_waitcnt lgkmcnt(0)
	s_barrier
	global_load_dwordx2 v[1:2], v1, s[10:11]
	s_add_u32 s26, s14, s12
	s_mul_i32 s25, s18, 0x700
	s_addc_u32 s27, s15, s13
	s_add_i32 s18, s18, -1
	s_add_u32 s10, s14, s25
	s_addc_u32 s11, s15, 0
	v_mov_b32_e32 v3, s10
	v_mov_b32_e32 v4, s11
	v_readfirstlane_b32 s24, v5
	v_cmp_le_u64_e32 vcc, s[6:7], v[3:4]
	s_cmp_eq_u32 s24, s18
	s_cselect_b64 s[12:13], -1, 0
	s_and_b64 s[10:11], vcc, s[12:13]
	s_xor_b64 s[18:19], s[10:11], -1
	s_mov_b32 s5, 0
	s_mov_b64 s[22:23], -1
	s_mul_i32 s4, s24, 0x700
	s_and_b64 vcc, exec, s[18:19]
	s_waitcnt vmcnt(0)
	v_readfirstlane_b32 s10, v1
	v_readfirstlane_b32 s11, v2
	s_cbranch_vccz .LBB349_6
; %bb.5:
	s_add_u32 s7, s4, s26
	s_addc_u32 s22, 0, s27
	v_mov_b32_e32 v2, s22
	v_add_co_u32_e32 v1, vcc, s7, v0
	v_addc_co_u32_e32 v2, vcc, 0, v2, vcc
	v_add_co_u32_e32 v3, vcc, 0x100, v1
	v_addc_co_u32_e32 v4, vcc, 0, v2, vcc
	;; [unrolled: 2-line block ×6, first 2 shown]
	v_add_co_u32_e32 v13, vcc, 0x600, v1
	v_lshlrev_b32_e32 v15, 3, v0
	v_addc_co_u32_e32 v14, vcc, 0, v2, vcc
	ds_write2st64_b64 v15, v[1:2], v[3:4] offset1:4
	ds_write2st64_b64 v15, v[5:6], v[7:8] offset0:8 offset1:12
	ds_write2st64_b64 v15, v[9:10], v[11:12] offset0:16 offset1:20
	ds_write_b64 v15, v[13:14] offset:12288
	s_waitcnt lgkmcnt(0)
	s_barrier
	s_mov_b64 s[22:23], 0
.LBB349_6:
	s_andn2_b64 vcc, exec, s[22:23]
	s_cbranch_vccnz .LBB349_8
; %bb.7:
	s_add_u32 s7, s26, s4
	s_addc_u32 s22, s27, 0
	v_mov_b32_e32 v2, s22
	v_add_co_u32_e32 v1, vcc, s7, v0
	v_addc_co_u32_e32 v2, vcc, 0, v2, vcc
	v_or_b32_e32 v3, 0x100, v0
	v_mov_b32_e32 v4, s22
	v_add_co_u32_e32 v3, vcc, s7, v3
	v_addc_co_u32_e32 v4, vcc, 0, v4, vcc
	v_or_b32_e32 v5, 0x200, v0
	v_mov_b32_e32 v6, s22
	v_add_co_u32_e32 v5, vcc, s7, v5
	v_addc_co_u32_e32 v6, vcc, 0, v6, vcc
	v_or_b32_e32 v7, 0x300, v0
	v_mov_b32_e32 v8, s22
	v_add_co_u32_e32 v7, vcc, s7, v7
	v_addc_co_u32_e32 v8, vcc, 0, v8, vcc
	v_or_b32_e32 v9, 0x400, v0
	v_mov_b32_e32 v10, s22
	v_add_co_u32_e32 v9, vcc, s7, v9
	v_addc_co_u32_e32 v10, vcc, 0, v10, vcc
	v_or_b32_e32 v11, 0x500, v0
	v_mov_b32_e32 v12, s22
	v_add_co_u32_e32 v11, vcc, s7, v11
	v_addc_co_u32_e32 v12, vcc, 0, v12, vcc
	v_or_b32_e32 v13, 0x600, v0
	v_mov_b32_e32 v14, s22
	v_add_co_u32_e32 v13, vcc, s7, v13
	v_lshlrev_b32_e32 v15, 3, v0
	v_addc_co_u32_e32 v14, vcc, 0, v14, vcc
	ds_write2st64_b64 v15, v[1:2], v[3:4] offset1:4
	ds_write2st64_b64 v15, v[5:6], v[7:8] offset0:8 offset1:12
	ds_write2st64_b64 v15, v[9:10], v[11:12] offset0:16 offset1:20
	ds_write_b64 v15, v[13:14] offset:12288
	s_waitcnt lgkmcnt(0)
	s_barrier
.LBB349_8:
	v_mul_u32_u24_e32 v1, 7, v0
	v_lshlrev_b32_e32 v13, 3, v1
	ds_read_b64 v[21:22], v13 offset:48
	ds_read2_b64 v[1:4], v13 offset0:4 offset1:5
	ds_read2_b64 v[5:8], v13 offset0:2 offset1:3
	ds_read2_b64 v[9:12], v13 offset1:1
	s_lshl_b64 s[22:23], s[14:15], 3
	s_add_u32 s7, s2, s22
	s_addc_u32 s15, s3, s23
	s_lshl_b64 s[2:3], s[4:5], 3
	s_add_u32 s2, s7, s2
	s_addc_u32 s3, s15, s3
	s_mov_b64 s[4:5], -1
	s_and_b64 vcc, exec, s[18:19]
	s_waitcnt lgkmcnt(0)
	s_barrier
	s_cbranch_vccz .LBB349_10
; %bb.9:
	v_lshlrev_b32_e32 v20, 3, v0
	v_mov_b32_e32 v14, s3
	v_add_co_u32_e32 v31, vcc, s2, v20
	v_addc_co_u32_e32 v32, vcc, 0, v14, vcc
	v_add_co_u32_e32 v14, vcc, 0x1000, v31
	v_addc_co_u32_e32 v15, vcc, 0, v32, vcc
	global_load_dwordx2 v[16:17], v20, s[2:3]
	global_load_dwordx2 v[18:19], v20, s[2:3] offset:2048
	global_load_dwordx2 v[23:24], v[14:15], off
	global_load_dwordx2 v[25:26], v[14:15], off offset:2048
	v_add_co_u32_e32 v14, vcc, 0x2000, v31
	v_addc_co_u32_e32 v15, vcc, 0, v32, vcc
	global_load_dwordx2 v[27:28], v[14:15], off
	global_load_dwordx2 v[29:30], v[14:15], off offset:2048
	v_add_co_u32_e32 v14, vcc, 0x3000, v31
	v_addc_co_u32_e32 v15, vcc, 0, v32, vcc
	global_load_dwordx2 v[14:15], v[14:15], off
	s_mov_b64 s[4:5], 0
	s_waitcnt vmcnt(6)
	v_cmp_neq_f64_e32 vcc, 0, v[16:17]
	v_cndmask_b32_e64 v16, 0, 1, vcc
	s_waitcnt vmcnt(5)
	v_cmp_neq_f64_e32 vcc, 0, v[18:19]
	v_cndmask_b32_e64 v17, 0, 1, vcc
	s_waitcnt vmcnt(4)
	v_cmp_neq_f64_e32 vcc, 0, v[23:24]
	ds_write_b8 v0, v16
	ds_write_b8 v0, v17 offset:256
	v_cndmask_b32_e64 v16, 0, 1, vcc
	s_waitcnt vmcnt(3)
	v_cmp_neq_f64_e32 vcc, 0, v[25:26]
	v_cndmask_b32_e64 v17, 0, 1, vcc
	s_waitcnt vmcnt(2)
	v_cmp_neq_f64_e32 vcc, 0, v[27:28]
	ds_write_b8 v0, v16 offset:512
	ds_write_b8 v0, v17 offset:768
	v_cndmask_b32_e64 v18, 0, 1, vcc
	s_waitcnt vmcnt(1)
	v_cmp_neq_f64_e32 vcc, 0, v[29:30]
	v_cndmask_b32_e64 v19, 0, 1, vcc
	s_waitcnt vmcnt(0)
	v_cmp_neq_f64_e32 vcc, 0, v[14:15]
	v_cndmask_b32_e64 v14, 0, 1, vcc
	ds_write_b8 v0, v18 offset:1024
	ds_write_b8 v0, v19 offset:1280
	;; [unrolled: 1-line block ×3, first 2 shown]
	s_waitcnt lgkmcnt(0)
	s_barrier
.LBB349_10:
	s_andn2_b64 vcc, exec, s[4:5]
	s_cbranch_vccnz .LBB349_26
; %bb.11:
	s_add_i32 s25, s25, s14
	s_sub_i32 s6, s6, s25
	s_addk_i32 s6, 0x700
	v_mov_b32_e32 v14, 0
	v_cmp_gt_u32_e32 vcc, s6, v0
	s_mov_b32 s7, 0
	v_mov_b32_e32 v16, v14
	v_mov_b32_e32 v15, v14
	s_and_saveexec_b64 s[4:5], vcc
	s_cbranch_execz .LBB349_13
; %bb.12:
	v_lshlrev_b32_e32 v14, 3, v0
	global_load_dwordx2 v[14:15], v14, s[2:3]
	v_mov_b32_e32 v16, s7
	s_waitcnt vmcnt(0)
	v_cmp_neq_f64_e32 vcc, 0, v[14:15]
	v_cndmask_b32_e64 v14, 0, 1, vcc
	v_mov_b32_e32 v15, v14
.LBB349_13:
	s_or_b64 exec, exec, s[4:5]
	v_or_b32_e32 v17, 0x100, v0
	v_cmp_gt_u32_e32 vcc, s6, v17
	s_and_saveexec_b64 s[4:5], vcc
	s_cbranch_execz .LBB349_15
; %bb.14:
	v_lshlrev_b32_e32 v17, 3, v0
	global_load_dwordx2 v[17:18], v17, s[2:3] offset:2048
	v_mov_b32_e32 v20, 8
	s_movk_i32 s7, 0xff
	v_lshrrev_b32_e32 v19, 24, v14
	v_lshrrev_b32_sdwa v20, v20, v16 dst_sel:BYTE_1 dst_unused:UNUSED_PAD src0_sel:DWORD src1_sel:DWORD
	v_bfe_u32 v23, v16, 16, 8
	v_lshlrev_b16_e32 v19, 8, v19
	v_and_b32_sdwa v24, v14, s7 dst_sel:DWORD dst_unused:UNUSED_PAD src0_sel:WORD_1 src1_sel:DWORD
	v_or_b32_sdwa v16, v16, v20 dst_sel:DWORD dst_unused:UNUSED_PAD src0_sel:BYTE_0 src1_sel:DWORD
	v_or_b32_sdwa v19, v24, v19 dst_sel:WORD_1 dst_unused:UNUSED_PAD src0_sel:DWORD src1_sel:DWORD
	v_and_b32_e32 v16, 0xffff, v16
	v_lshl_or_b32 v16, v23, 16, v16
	s_waitcnt vmcnt(0)
	v_cmp_neq_f64_e32 vcc, 0, v[17:18]
	v_cndmask_b32_e64 v17, 0, 1, vcc
	v_lshlrev_b16_e32 v17, 8, v17
	v_or_b32_sdwa v14, v14, v17 dst_sel:DWORD dst_unused:UNUSED_PAD src0_sel:BYTE_0 src1_sel:DWORD
	v_or_b32_sdwa v14, v14, v19 dst_sel:DWORD dst_unused:UNUSED_PAD src0_sel:WORD_0 src1_sel:DWORD
.LBB349_15:
	s_or_b64 exec, exec, s[4:5]
	v_or_b32_e32 v17, 0x200, v0
	v_cmp_gt_u32_e32 vcc, s6, v17
	s_and_saveexec_b64 s[4:5], vcc
	s_cbranch_execz .LBB349_17
; %bb.16:
	v_lshlrev_b32_e32 v17, 3, v17
	global_load_dwordx2 v[17:18], v17, s[2:3]
	v_mov_b32_e32 v19, 8
	v_lshrrev_b32_e32 v23, 24, v14
	v_lshrrev_b32_sdwa v19, v19, v16 dst_sel:BYTE_1 dst_unused:UNUSED_PAD src0_sel:DWORD src1_sel:DWORD
	v_bfe_u32 v20, v16, 16, 8
	s_mov_b32 s7, 0xc0c0104
	v_lshlrev_b16_e32 v23, 8, v23
	v_or_b32_sdwa v16, v16, v19 dst_sel:DWORD dst_unused:UNUSED_PAD src0_sel:BYTE_0 src1_sel:DWORD
	v_and_b32_e32 v16, 0xffff, v16
	v_perm_b32 v14, v14, v14, s7
	v_lshl_or_b32 v16, v20, 16, v16
	s_waitcnt vmcnt(0)
	v_cmp_neq_f64_e32 vcc, 0, v[17:18]
	v_cndmask_b32_e64 v17, 0, 1, vcc
	v_or_b32_sdwa v17, v17, v23 dst_sel:WORD_1 dst_unused:UNUSED_PAD src0_sel:DWORD src1_sel:DWORD
	v_or_b32_e32 v14, v14, v17
.LBB349_17:
	s_or_b64 exec, exec, s[4:5]
	v_or_b32_e32 v17, 0x300, v0
	v_cmp_gt_u32_e32 vcc, s6, v17
	s_and_saveexec_b64 s[4:5], vcc
	s_cbranch_execz .LBB349_19
; %bb.18:
	v_lshlrev_b32_e32 v17, 3, v17
	global_load_dwordx2 v[17:18], v17, s[2:3]
	v_mov_b32_e32 v19, 8
	s_movk_i32 s7, 0xff
	v_lshrrev_b32_sdwa v19, v19, v16 dst_sel:BYTE_1 dst_unused:UNUSED_PAD src0_sel:DWORD src1_sel:DWORD
	v_bfe_u32 v20, v16, 16, 8
	s_mov_b32 s14, 0xc0c0104
	v_and_b32_sdwa v23, v14, s7 dst_sel:DWORD dst_unused:UNUSED_PAD src0_sel:WORD_1 src1_sel:DWORD
	v_or_b32_sdwa v16, v16, v19 dst_sel:DWORD dst_unused:UNUSED_PAD src0_sel:BYTE_0 src1_sel:DWORD
	v_and_b32_e32 v16, 0xffff, v16
	v_perm_b32 v14, v14, v14, s14
	v_lshl_or_b32 v16, v20, 16, v16
	s_waitcnt vmcnt(0)
	v_cmp_neq_f64_e32 vcc, 0, v[17:18]
	v_cndmask_b32_e64 v17, 0, 1, vcc
	v_lshlrev_b16_e32 v17, 8, v17
	v_or_b32_sdwa v17, v23, v17 dst_sel:WORD_1 dst_unused:UNUSED_PAD src0_sel:DWORD src1_sel:DWORD
	v_or_b32_e32 v14, v14, v17
.LBB349_19:
	s_or_b64 exec, exec, s[4:5]
	v_or_b32_e32 v17, 0x400, v0
	v_cmp_gt_u32_e32 vcc, s6, v17
	s_and_saveexec_b64 s[4:5], vcc
	s_cbranch_execz .LBB349_21
; %bb.20:
	v_lshlrev_b32_e32 v17, 3, v17
	global_load_dwordx2 v[17:18], v17, s[2:3]
	v_mov_b32_e32 v19, 8
	v_bfe_u32 v20, v16, 16, 8
	v_lshrrev_b32_sdwa v16, v19, v16 dst_sel:BYTE_1 dst_unused:UNUSED_PAD src0_sel:DWORD src1_sel:DWORD
	s_mov_b32 s7, 0x3020104
	v_perm_b32 v14, v14, v14, s7
	s_waitcnt vmcnt(0)
	v_cmp_neq_f64_e32 vcc, 0, v[17:18]
	v_cndmask_b32_e64 v17, 0, 1, vcc
	v_or_b32_e32 v16, v17, v16
	v_and_b32_e32 v16, 0xffff, v16
	v_lshl_or_b32 v16, v20, 16, v16
.LBB349_21:
	s_or_b64 exec, exec, s[4:5]
	v_or_b32_e32 v17, 0x500, v0
	v_cmp_gt_u32_e32 vcc, s6, v17
	s_and_saveexec_b64 s[4:5], vcc
	s_cbranch_execz .LBB349_23
; %bb.22:
	v_lshlrev_b32_e32 v17, 3, v17
	global_load_dwordx2 v[17:18], v17, s[2:3]
	v_bfe_u32 v19, v16, 16, 8
	s_mov_b32 s7, 0x3020104
	v_perm_b32 v14, v14, v14, s7
	s_waitcnt vmcnt(0)
	v_cmp_neq_f64_e32 vcc, 0, v[17:18]
	v_cndmask_b32_e64 v17, 0, 1, vcc
	v_lshlrev_b16_e32 v17, 8, v17
	v_or_b32_sdwa v16, v16, v17 dst_sel:DWORD dst_unused:UNUSED_PAD src0_sel:BYTE_0 src1_sel:DWORD
	v_and_b32_e32 v16, 0xffff, v16
	v_lshl_or_b32 v16, v19, 16, v16
.LBB349_23:
	s_or_b64 exec, exec, s[4:5]
	v_or_b32_e32 v17, 0x600, v0
	v_cmp_gt_u32_e32 vcc, s6, v17
	s_and_saveexec_b64 s[4:5], vcc
	s_cbranch_execz .LBB349_25
; %bb.24:
	v_lshlrev_b32_e32 v17, 3, v17
	global_load_dwordx2 v[17:18], v17, s[2:3]
	v_mov_b32_e32 v19, 8
	v_lshrrev_b32_sdwa v19, v19, v16 dst_sel:BYTE_1 dst_unused:UNUSED_PAD src0_sel:DWORD src1_sel:DWORD
	v_or_b32_sdwa v16, v16, v19 dst_sel:DWORD dst_unused:UNUSED_PAD src0_sel:BYTE_0 src1_sel:DWORD
	s_mov_b32 s2, 0x3020104
	v_and_b32_e32 v16, 0xffff, v16
	v_perm_b32 v14, v14, v14, s2
	s_waitcnt vmcnt(0)
	v_cmp_neq_f64_e32 vcc, 0, v[17:18]
	v_cndmask_b32_e64 v17, 0, 1, vcc
	v_lshl_or_b32 v16, v17, 16, v16
.LBB349_25:
	s_or_b64 exec, exec, s[4:5]
	ds_write_b8 v0, v15
	v_lshrrev_b32_e32 v15, 8, v14
	ds_write_b8 v0, v15 offset:256
	ds_write_b8_d16_hi v0, v14 offset:512
	v_lshrrev_b32_e32 v14, 24, v14
	ds_write_b8 v0, v14 offset:768
	ds_write_b8 v0, v16 offset:1024
	v_lshrrev_b32_e32 v14, 8, v16
	ds_write_b8 v0, v14 offset:1280
	ds_write_b8_d16_hi v0, v16 offset:1536
	s_waitcnt lgkmcnt(0)
	s_barrier
.LBB349_26:
	s_movk_i32 s2, 0xffcf
	v_mad_i32_i24 v43, v0, s2, v13
	ds_read_u8 v13, v43
	ds_read_u8 v15, v43 offset:1
	ds_read_u8 v16, v43 offset:2
	;; [unrolled: 1-line block ×6, first 2 shown]
	s_waitcnt lgkmcnt(6)
	v_and_b32_e32 v41, 1, v13
	s_waitcnt lgkmcnt(5)
	v_and_b32_e32 v40, 1, v15
	;; [unrolled: 2-line block ×4, first 2 shown]
	v_add3_u32 v13, v40, v41, v39
	s_waitcnt lgkmcnt(2)
	v_and_b32_e32 v37, 1, v18
	v_add_co_u32_e32 v13, vcc, v13, v38
	v_addc_co_u32_e64 v15, s[2:3], 0, 0, vcc
	v_add_co_u32_e32 v13, vcc, v13, v37
	s_waitcnt lgkmcnt(1)
	v_and_b32_e32 v36, 1, v19
	v_addc_co_u32_e32 v15, vcc, 0, v15, vcc
	v_add_co_u32_e32 v13, vcc, v13, v36
	s_waitcnt lgkmcnt(0)
	v_and_b32_e32 v35, 1, v20
	v_addc_co_u32_e32 v15, vcc, 0, v15, vcc
	v_add_co_u32_e32 v23, vcc, v13, v35
	v_mbcnt_lo_u32_b32 v13, -1, 0
	v_mbcnt_hi_u32_b32 v42, -1, v13
	v_and_b32_e32 v44, 15, v42
	s_cmp_lg_u32 s24, 0
	v_mov_b32_e32 v14, 0
	v_addc_co_u32_e32 v24, vcc, 0, v15, vcc
	v_cmp_ne_u32_e64 s[2:3], 0, v44
	s_barrier
	s_cbranch_scc0 .LBB349_82
; %bb.27:
	v_mov_b32_e32 v15, v23
	v_mov_b32_dpp v13, v23 row_shr:1 row_mask:0xf bank_mask:0xf
	v_mov_b32_dpp v18, v14 row_shr:1 row_mask:0xf bank_mask:0xf
	v_mov_b32_e32 v17, v23
	v_mov_b32_e32 v16, v24
	s_and_saveexec_b64 s[4:5], s[2:3]
; %bb.28:
	v_add_co_u32_e32 v17, vcc, v23, v13
	v_addc_co_u32_e32 v14, vcc, 0, v24, vcc
	v_add_co_u32_e32 v13, vcc, 0, v17
	v_addc_co_u32_e32 v14, vcc, v18, v14, vcc
	v_mov_b32_e32 v16, v14
	v_mov_b32_e32 v15, v13
; %bb.29:
	s_or_b64 exec, exec, s[4:5]
	v_mov_b32_dpp v13, v17 row_shr:2 row_mask:0xf bank_mask:0xf
	v_mov_b32_dpp v18, v14 row_shr:2 row_mask:0xf bank_mask:0xf
	v_cmp_lt_u32_e32 vcc, 1, v44
	s_and_saveexec_b64 s[4:5], vcc
; %bb.30:
	v_add_co_u32_e32 v17, vcc, v15, v13
	v_addc_co_u32_e32 v14, vcc, 0, v16, vcc
	v_add_co_u32_e32 v13, vcc, 0, v17
	v_addc_co_u32_e32 v14, vcc, v18, v14, vcc
	v_mov_b32_e32 v16, v14
	v_mov_b32_e32 v15, v13
; %bb.31:
	s_or_b64 exec, exec, s[4:5]
	v_mov_b32_dpp v13, v17 row_shr:4 row_mask:0xf bank_mask:0xf
	v_mov_b32_dpp v18, v14 row_shr:4 row_mask:0xf bank_mask:0xf
	v_cmp_lt_u32_e32 vcc, 3, v44
	s_and_saveexec_b64 s[4:5], vcc
; %bb.32:
	v_add_co_u32_e32 v17, vcc, v15, v13
	v_addc_co_u32_e32 v14, vcc, 0, v16, vcc
	v_add_co_u32_e32 v13, vcc, 0, v17
	v_addc_co_u32_e32 v14, vcc, v18, v14, vcc
	v_mov_b32_e32 v16, v14
	v_mov_b32_e32 v15, v13
; %bb.33:
	s_or_b64 exec, exec, s[4:5]
	v_mov_b32_dpp v13, v17 row_shr:8 row_mask:0xf bank_mask:0xf
	v_mov_b32_dpp v18, v14 row_shr:8 row_mask:0xf bank_mask:0xf
	v_cmp_lt_u32_e32 vcc, 7, v44
	s_and_saveexec_b64 s[4:5], vcc
; %bb.34:
	v_add_co_u32_e32 v17, vcc, v15, v13
	v_addc_co_u32_e32 v14, vcc, 0, v16, vcc
	v_add_co_u32_e32 v13, vcc, 0, v17
	v_addc_co_u32_e32 v14, vcc, v18, v14, vcc
	v_mov_b32_e32 v16, v14
	v_mov_b32_e32 v15, v13
; %bb.35:
	s_or_b64 exec, exec, s[4:5]
	v_and_b32_e32 v19, 16, v42
	v_mov_b32_dpp v13, v17 row_bcast:15 row_mask:0xf bank_mask:0xf
	v_mov_b32_dpp v18, v14 row_bcast:15 row_mask:0xf bank_mask:0xf
	v_cmp_ne_u32_e32 vcc, 0, v19
	s_and_saveexec_b64 s[4:5], vcc
; %bb.36:
	v_add_co_u32_e32 v17, vcc, v15, v13
	v_addc_co_u32_e32 v14, vcc, 0, v16, vcc
	v_add_co_u32_e32 v13, vcc, 0, v17
	v_addc_co_u32_e32 v14, vcc, v18, v14, vcc
	v_mov_b32_e32 v16, v14
	v_mov_b32_e32 v15, v13
; %bb.37:
	s_or_b64 exec, exec, s[4:5]
	v_mov_b32_dpp v13, v17 row_bcast:31 row_mask:0xf bank_mask:0xf
	v_mov_b32_dpp v18, v14 row_bcast:31 row_mask:0xf bank_mask:0xf
	v_cmp_lt_u32_e32 vcc, 31, v42
	s_and_saveexec_b64 s[4:5], vcc
; %bb.38:
	v_add_co_u32_e32 v17, vcc, v15, v13
	v_addc_co_u32_e32 v14, vcc, 0, v16, vcc
	v_add_co_u32_e32 v13, vcc, 0, v17
	v_addc_co_u32_e32 v14, vcc, v18, v14, vcc
	v_mov_b32_e32 v16, v14
	v_mov_b32_e32 v15, v13
; %bb.39:
	s_or_b64 exec, exec, s[4:5]
	v_or_b32_e32 v18, 63, v0
	v_lshrrev_b32_e32 v13, 6, v0
	v_cmp_eq_u32_e32 vcc, v0, v18
	s_and_saveexec_b64 s[4:5], vcc
; %bb.40:
	v_lshlrev_b32_e32 v18, 3, v13
	ds_write_b64 v18, v[15:16]
; %bb.41:
	s_or_b64 exec, exec, s[4:5]
	v_cmp_gt_u32_e32 vcc, 4, v0
	s_waitcnt lgkmcnt(0)
	s_barrier
	s_and_saveexec_b64 s[4:5], vcc
	s_cbranch_execz .LBB349_45
; %bb.42:
	v_lshlrev_b32_e32 v18, 3, v0
	ds_read_b64 v[15:16], v18
	v_and_b32_e32 v19, 3, v42
	v_cmp_ne_u32_e32 vcc, 0, v19
	s_waitcnt lgkmcnt(0)
	v_mov_b32_dpp v26, v15 row_shr:1 row_mask:0xf bank_mask:0xf
	v_mov_b32_dpp v25, v16 row_shr:1 row_mask:0xf bank_mask:0xf
	v_mov_b32_e32 v20, v15
	s_and_saveexec_b64 s[6:7], vcc
; %bb.43:
	v_add_co_u32_e32 v20, vcc, v15, v26
	v_addc_co_u32_e32 v16, vcc, 0, v16, vcc
	v_add_co_u32_e32 v15, vcc, 0, v20
	v_addc_co_u32_e32 v16, vcc, v25, v16, vcc
; %bb.44:
	s_or_b64 exec, exec, s[6:7]
	v_mov_b32_dpp v20, v20 row_shr:2 row_mask:0xf bank_mask:0xf
	v_add_co_u32_e32 v20, vcc, v15, v20
	v_addc_co_u32_e32 v26, vcc, 0, v16, vcc
	v_mov_b32_dpp v25, v16 row_shr:2 row_mask:0xf bank_mask:0xf
	v_add_co_u32_e32 v20, vcc, 0, v20
	v_addc_co_u32_e32 v25, vcc, v26, v25, vcc
	v_cmp_lt_u32_e32 vcc, 1, v19
	v_cndmask_b32_e32 v16, v16, v25, vcc
	v_cndmask_b32_e32 v15, v15, v20, vcc
	ds_write_b64 v18, v[15:16]
.LBB349_45:
	s_or_b64 exec, exec, s[4:5]
	v_cmp_gt_u32_e32 vcc, 64, v0
	v_cmp_lt_u32_e64 s[4:5], 63, v0
	s_waitcnt lgkmcnt(0)
	s_barrier
                                        ; implicit-def: $vgpr25_vgpr26
	s_and_saveexec_b64 s[6:7], s[4:5]
	s_cbranch_execz .LBB349_47
; %bb.46:
	v_lshl_add_u32 v13, v13, 3, -8
	ds_read_b64 v[25:26], v13
	s_waitcnt lgkmcnt(0)
	v_add_co_u32_e64 v17, s[4:5], v17, v25
	v_addc_co_u32_e64 v14, s[4:5], v14, v26, s[4:5]
.LBB349_47:
	s_or_b64 exec, exec, s[6:7]
	v_subrev_co_u32_e64 v13, s[4:5], 1, v42
	v_and_b32_e32 v15, 64, v42
	v_cmp_lt_i32_e64 s[6:7], v13, v15
	v_cndmask_b32_e64 v13, v13, v42, s[6:7]
	v_lshlrev_b32_e32 v13, 2, v13
	ds_bpermute_b32 v34, v13, v17
	ds_bpermute_b32 v33, v13, v14
	s_and_saveexec_b64 s[6:7], vcc
	s_cbranch_execz .LBB349_87
; %bb.48:
	v_mov_b32_e32 v16, 0
	ds_read_b64 v[13:14], v16 offset:24
	s_and_saveexec_b64 s[14:15], s[4:5]
	s_cbranch_execz .LBB349_50
; %bb.49:
	s_add_i32 s22, s24, 64
	s_mov_b32 s23, 0
	s_lshl_b64 s[22:23], s[22:23], 4
	s_add_u32 s22, s20, s22
	s_addc_u32 s23, s21, s23
	v_mov_b32_e32 v17, s22
	v_mov_b32_e32 v15, 1
	;; [unrolled: 1-line block ×3, first 2 shown]
	s_waitcnt lgkmcnt(0)
	;;#ASMSTART
	global_store_dwordx4 v[17:18], v[13:16] off	
s_waitcnt vmcnt(0)
	;;#ASMEND
.LBB349_50:
	s_or_b64 exec, exec, s[14:15]
	v_xad_u32 v27, v42, -1, s24
	v_add_u32_e32 v15, 64, v27
	v_lshlrev_b64 v[17:18], 4, v[15:16]
	v_mov_b32_e32 v15, s21
	v_add_co_u32_e32 v28, vcc, s20, v17
	v_addc_co_u32_e32 v29, vcc, v15, v18, vcc
	;;#ASMSTART
	global_load_dwordx4 v[17:20], v[28:29] off glc	
s_waitcnt vmcnt(0)
	;;#ASMEND
	v_cmp_eq_u16_sdwa s[22:23], v19, v16 src0_sel:BYTE_0 src1_sel:DWORD
	s_and_saveexec_b64 s[14:15], s[22:23]
	s_cbranch_execz .LBB349_54
; %bb.51:
	s_mov_b64 s[22:23], 0
	v_mov_b32_e32 v15, 0
.LBB349_52:                             ; =>This Inner Loop Header: Depth=1
	;;#ASMSTART
	global_load_dwordx4 v[17:20], v[28:29] off glc	
s_waitcnt vmcnt(0)
	;;#ASMEND
	v_cmp_ne_u16_sdwa s[26:27], v19, v15 src0_sel:BYTE_0 src1_sel:DWORD
	s_or_b64 s[22:23], s[26:27], s[22:23]
	s_andn2_b64 exec, exec, s[22:23]
	s_cbranch_execnz .LBB349_52
; %bb.53:
	s_or_b64 exec, exec, s[22:23]
.LBB349_54:
	s_or_b64 exec, exec, s[14:15]
	v_and_b32_e32 v45, 63, v42
	v_mov_b32_e32 v15, 2
	v_lshlrev_b64 v[29:30], v42, -1
	v_cmp_ne_u32_e32 vcc, 63, v45
	v_cmp_eq_u16_sdwa s[14:15], v19, v15 src0_sel:BYTE_0 src1_sel:DWORD
	v_addc_co_u32_e32 v20, vcc, 0, v42, vcc
	v_and_b32_e32 v15, s15, v30
	v_lshlrev_b32_e32 v46, 2, v20
	v_or_b32_e32 v15, 0x80000000, v15
	ds_bpermute_b32 v28, v46, v17
	ds_bpermute_b32 v20, v46, v18
	v_and_b32_e32 v16, s14, v29
	v_ffbl_b32_e32 v15, v15
	v_add_u32_e32 v15, 32, v15
	v_ffbl_b32_e32 v16, v16
	v_min_u32_e32 v15, v16, v15
	v_cmp_lt_u32_e32 vcc, v45, v15
	v_mov_b32_e32 v16, v17
	s_and_saveexec_b64 s[14:15], vcc
	s_cbranch_execz .LBB349_56
; %bb.55:
	s_waitcnt lgkmcnt(1)
	v_add_co_u32_e32 v16, vcc, v17, v28
	v_addc_co_u32_e32 v18, vcc, 0, v18, vcc
	v_add_co_u32_e32 v17, vcc, 0, v16
	s_waitcnt lgkmcnt(0)
	v_addc_co_u32_e32 v18, vcc, v20, v18, vcc
.LBB349_56:
	s_or_b64 exec, exec, s[14:15]
	v_cmp_gt_u32_e32 vcc, 62, v45
	s_waitcnt lgkmcnt(0)
	v_cndmask_b32_e64 v20, 0, 2, vcc
	v_add_lshl_u32 v47, v20, v42, 2
	ds_bpermute_b32 v28, v47, v16
	ds_bpermute_b32 v20, v47, v18
	v_add_u32_e32 v48, 2, v45
	v_cmp_le_u32_e32 vcc, v48, v15
	s_and_saveexec_b64 s[14:15], vcc
	s_cbranch_execz .LBB349_58
; %bb.57:
	s_waitcnt lgkmcnt(1)
	v_add_co_u32_e32 v16, vcc, v17, v28
	v_addc_co_u32_e32 v18, vcc, 0, v18, vcc
	v_add_co_u32_e32 v17, vcc, 0, v16
	s_waitcnt lgkmcnt(0)
	v_addc_co_u32_e32 v18, vcc, v20, v18, vcc
.LBB349_58:
	s_or_b64 exec, exec, s[14:15]
	v_cmp_gt_u32_e32 vcc, 60, v45
	s_waitcnt lgkmcnt(0)
	v_cndmask_b32_e64 v20, 0, 4, vcc
	v_add_lshl_u32 v49, v20, v42, 2
	ds_bpermute_b32 v28, v49, v16
	ds_bpermute_b32 v20, v49, v18
	v_add_u32_e32 v50, 4, v45
	v_cmp_le_u32_e32 vcc, v50, v15
	;; [unrolled: 19-line block ×4, first 2 shown]
	s_and_saveexec_b64 s[14:15], vcc
	s_cbranch_execz .LBB349_64
; %bb.63:
	s_waitcnt lgkmcnt(1)
	v_add_co_u32_e32 v16, vcc, v17, v28
	v_addc_co_u32_e32 v18, vcc, 0, v18, vcc
	v_add_co_u32_e32 v17, vcc, 0, v16
	s_waitcnt lgkmcnt(0)
	v_addc_co_u32_e32 v18, vcc, v20, v18, vcc
.LBB349_64:
	s_or_b64 exec, exec, s[14:15]
	s_waitcnt lgkmcnt(0)
	v_mov_b32_e32 v20, 0x80
	v_lshl_or_b32 v55, v42, 2, v20
	ds_bpermute_b32 v16, v55, v16
	ds_bpermute_b32 v20, v55, v18
	v_add_u32_e32 v56, 32, v45
	v_mov_b32_e32 v28, 0
	v_mov_b32_e32 v57, 2
	s_waitcnt lgkmcnt(1)
	v_add_co_u32_e32 v16, vcc, v17, v16
	v_addc_co_u32_e32 v31, vcc, 0, v18, vcc
	v_add_co_u32_e32 v16, vcc, 0, v16
	s_waitcnt lgkmcnt(0)
	v_addc_co_u32_e32 v20, vcc, v31, v20, vcc
	v_cmp_gt_u32_e32 vcc, v56, v15
	v_cndmask_b32_e32 v18, v20, v18, vcc
	v_cndmask_b32_e32 v17, v16, v17, vcc
	s_branch .LBB349_67
.LBB349_65:                             ;   in Loop: Header=BB349_67 Depth=1
	s_or_b64 exec, exec, s[14:15]
	ds_bpermute_b32 v31, v55, v31
	s_waitcnt lgkmcnt(1)
	ds_bpermute_b32 v32, v55, v18
	v_subrev_u32_e32 v27, 64, v27
	s_mov_b64 s[14:15], 0
	s_waitcnt lgkmcnt(1)
	v_add_co_u32_e32 v31, vcc, v17, v31
	v_addc_co_u32_e32 v58, vcc, 0, v18, vcc
	v_add_co_u32_e32 v31, vcc, 0, v31
	s_waitcnt lgkmcnt(0)
	v_addc_co_u32_e32 v32, vcc, v58, v32, vcc
	v_cmp_gt_u32_e32 vcc, v56, v20
	v_cndmask_b32_e32 v17, v31, v17, vcc
	v_cndmask_b32_e32 v18, v32, v18, vcc
	v_add_co_u32_e32 v17, vcc, v17, v15
	v_addc_co_u32_e32 v18, vcc, v18, v16, vcc
.LBB349_66:                             ;   in Loop: Header=BB349_67 Depth=1
	s_and_b64 vcc, exec, s[14:15]
	s_cbranch_vccnz .LBB349_83
.LBB349_67:                             ; =>This Loop Header: Depth=1
                                        ;     Child Loop BB349_70 Depth 2
	v_mov_b32_e32 v15, v17
	v_cmp_ne_u16_sdwa s[14:15], v19, v57 src0_sel:BYTE_0 src1_sel:DWORD
	v_mov_b32_e32 v16, v18
	s_cmp_lg_u64 s[14:15], exec
	s_mov_b64 s[14:15], -1
                                        ; implicit-def: $vgpr17_vgpr18
                                        ; implicit-def: $vgpr19
	s_cbranch_scc1 .LBB349_66
; %bb.68:                               ;   in Loop: Header=BB349_67 Depth=1
	v_lshlrev_b64 v[17:18], 4, v[27:28]
	v_mov_b32_e32 v19, s21
	v_add_co_u32_e32 v31, vcc, s20, v17
	v_addc_co_u32_e32 v32, vcc, v19, v18, vcc
	;;#ASMSTART
	global_load_dwordx4 v[17:20], v[31:32] off glc	
s_waitcnt vmcnt(0)
	;;#ASMEND
	v_cmp_eq_u16_sdwa s[22:23], v19, v28 src0_sel:BYTE_0 src1_sel:DWORD
	s_and_saveexec_b64 s[14:15], s[22:23]
	s_cbranch_execz .LBB349_72
; %bb.69:                               ;   in Loop: Header=BB349_67 Depth=1
	s_mov_b64 s[22:23], 0
.LBB349_70:                             ;   Parent Loop BB349_67 Depth=1
                                        ; =>  This Inner Loop Header: Depth=2
	;;#ASMSTART
	global_load_dwordx4 v[17:20], v[31:32] off glc	
s_waitcnt vmcnt(0)
	;;#ASMEND
	v_cmp_ne_u16_sdwa s[26:27], v19, v28 src0_sel:BYTE_0 src1_sel:DWORD
	s_or_b64 s[22:23], s[26:27], s[22:23]
	s_andn2_b64 exec, exec, s[22:23]
	s_cbranch_execnz .LBB349_70
; %bb.71:                               ;   in Loop: Header=BB349_67 Depth=1
	s_or_b64 exec, exec, s[22:23]
.LBB349_72:                             ;   in Loop: Header=BB349_67 Depth=1
	s_or_b64 exec, exec, s[14:15]
	v_cmp_eq_u16_sdwa s[14:15], v19, v57 src0_sel:BYTE_0 src1_sel:DWORD
	v_and_b32_e32 v20, s15, v30
	v_or_b32_e32 v20, 0x80000000, v20
	ds_bpermute_b32 v58, v46, v17
	ds_bpermute_b32 v32, v46, v18
	v_and_b32_e32 v31, s14, v29
	v_ffbl_b32_e32 v20, v20
	v_add_u32_e32 v20, 32, v20
	v_ffbl_b32_e32 v31, v31
	v_min_u32_e32 v20, v31, v20
	v_cmp_lt_u32_e32 vcc, v45, v20
	v_mov_b32_e32 v31, v17
	s_and_saveexec_b64 s[14:15], vcc
	s_cbranch_execz .LBB349_74
; %bb.73:                               ;   in Loop: Header=BB349_67 Depth=1
	s_waitcnt lgkmcnt(1)
	v_add_co_u32_e32 v31, vcc, v17, v58
	v_addc_co_u32_e32 v18, vcc, 0, v18, vcc
	v_add_co_u32_e32 v17, vcc, 0, v31
	s_waitcnt lgkmcnt(0)
	v_addc_co_u32_e32 v18, vcc, v32, v18, vcc
.LBB349_74:                             ;   in Loop: Header=BB349_67 Depth=1
	s_or_b64 exec, exec, s[14:15]
	s_waitcnt lgkmcnt(1)
	ds_bpermute_b32 v58, v47, v31
	s_waitcnt lgkmcnt(1)
	ds_bpermute_b32 v32, v47, v18
	v_cmp_le_u32_e32 vcc, v48, v20
	s_and_saveexec_b64 s[14:15], vcc
	s_cbranch_execz .LBB349_76
; %bb.75:                               ;   in Loop: Header=BB349_67 Depth=1
	s_waitcnt lgkmcnt(1)
	v_add_co_u32_e32 v31, vcc, v17, v58
	v_addc_co_u32_e32 v18, vcc, 0, v18, vcc
	v_add_co_u32_e32 v17, vcc, 0, v31
	s_waitcnt lgkmcnt(0)
	v_addc_co_u32_e32 v18, vcc, v32, v18, vcc
.LBB349_76:                             ;   in Loop: Header=BB349_67 Depth=1
	s_or_b64 exec, exec, s[14:15]
	s_waitcnt lgkmcnt(1)
	ds_bpermute_b32 v58, v49, v31
	s_waitcnt lgkmcnt(1)
	ds_bpermute_b32 v32, v49, v18
	v_cmp_le_u32_e32 vcc, v50, v20
	;; [unrolled: 16-line block ×4, first 2 shown]
	s_and_saveexec_b64 s[14:15], vcc
	s_cbranch_execz .LBB349_65
; %bb.81:                               ;   in Loop: Header=BB349_67 Depth=1
	s_waitcnt lgkmcnt(1)
	v_add_co_u32_e32 v31, vcc, v17, v58
	v_addc_co_u32_e32 v18, vcc, 0, v18, vcc
	v_add_co_u32_e32 v17, vcc, 0, v31
	s_waitcnt lgkmcnt(0)
	v_addc_co_u32_e32 v18, vcc, v32, v18, vcc
	s_branch .LBB349_65
.LBB349_82:
                                        ; implicit-def: $vgpr19_vgpr20
                                        ; implicit-def: $vgpr17_vgpr18
                                        ; implicit-def: $vgpr25_vgpr26
                                        ; implicit-def: $vgpr27_vgpr28
                                        ; implicit-def: $vgpr29_vgpr30
                                        ; implicit-def: $vgpr31_vgpr32
                                        ; implicit-def: $vgpr33_vgpr34
                                        ; implicit-def: $vgpr15_vgpr16
	s_cbranch_execnz .LBB349_88
	s_branch .LBB349_109
.LBB349_83:
	s_and_saveexec_b64 s[14:15], s[4:5]
	s_cbranch_execz .LBB349_85
; %bb.84:
	s_add_i32 s22, s24, 64
	s_mov_b32 s23, 0
	s_lshl_b64 s[22:23], s[22:23], 4
	s_add_u32 s22, s20, s22
	s_addc_u32 s23, s21, s23
	v_add_co_u32_e32 v17, vcc, v15, v13
	v_mov_b32_e32 v28, s23
	v_addc_co_u32_e32 v18, vcc, v16, v14, vcc
	v_mov_b32_e32 v19, 2
	v_mov_b32_e32 v20, 0
	;; [unrolled: 1-line block ×3, first 2 shown]
	;;#ASMSTART
	global_store_dwordx4 v[27:28], v[17:20] off	
s_waitcnt vmcnt(0)
	;;#ASMEND
	ds_write_b128 v20, v[13:16] offset:14336
.LBB349_85:
	s_or_b64 exec, exec, s[14:15]
	s_and_b64 exec, exec, s[0:1]
; %bb.86:
	v_mov_b32_e32 v13, 0
	ds_write_b64 v13, v[15:16] offset:24
.LBB349_87:
	s_or_b64 exec, exec, s[6:7]
	v_mov_b32_e32 v16, 0
	s_waitcnt lgkmcnt(0)
	s_barrier
	ds_read_b64 v[13:14], v16 offset:24
	v_cndmask_b32_e64 v15, v34, v25, s[4:5]
	v_cndmask_b32_e64 v17, v33, v26, s[4:5]
	;; [unrolled: 1-line block ×4, first 2 shown]
	s_waitcnt lgkmcnt(0)
	v_add_co_u32_e32 v33, vcc, v13, v15
	v_addc_co_u32_e32 v34, vcc, v14, v17, vcc
	v_add_co_u32_e32 v31, vcc, v33, v41
	v_addc_co_u32_e32 v32, vcc, 0, v34, vcc
	;; [unrolled: 2-line block ×5, first 2 shown]
	s_barrier
	ds_read_b128 v[13:16], v16 offset:14336
	v_add_co_u32_e32 v17, vcc, v25, v37
	v_addc_co_u32_e32 v18, vcc, 0, v26, vcc
	v_add_co_u32_e32 v19, vcc, v17, v36
	v_addc_co_u32_e32 v20, vcc, 0, v18, vcc
	s_branch .LBB349_109
.LBB349_88:
	s_waitcnt lgkmcnt(0)
	v_mov_b32_e32 v14, 0
	v_mov_b32_dpp v16, v23 row_shr:1 row_mask:0xf bank_mask:0xf
	v_mov_b32_e32 v15, v23
	v_mov_b32_dpp v13, v14 row_shr:1 row_mask:0xf bank_mask:0xf
	s_and_saveexec_b64 s[4:5], s[2:3]
; %bb.89:
	v_add_co_u32_e32 v15, vcc, v23, v16
	v_addc_co_u32_e32 v14, vcc, 0, v24, vcc
	v_add_co_u32_e32 v23, vcc, 0, v15
	v_addc_co_u32_e32 v24, vcc, v13, v14, vcc
	v_mov_b32_e32 v14, v24
; %bb.90:
	s_or_b64 exec, exec, s[4:5]
	v_mov_b32_dpp v13, v15 row_shr:2 row_mask:0xf bank_mask:0xf
	v_mov_b32_dpp v16, v14 row_shr:2 row_mask:0xf bank_mask:0xf
	v_cmp_lt_u32_e32 vcc, 1, v44
	s_and_saveexec_b64 s[2:3], vcc
; %bb.91:
	v_add_co_u32_e32 v15, vcc, v23, v13
	v_addc_co_u32_e32 v14, vcc, 0, v24, vcc
	v_add_co_u32_e32 v13, vcc, 0, v15
	v_addc_co_u32_e32 v14, vcc, v16, v14, vcc
	v_mov_b32_e32 v24, v14
	v_mov_b32_e32 v23, v13
; %bb.92:
	s_or_b64 exec, exec, s[2:3]
	v_mov_b32_dpp v13, v15 row_shr:4 row_mask:0xf bank_mask:0xf
	v_mov_b32_dpp v16, v14 row_shr:4 row_mask:0xf bank_mask:0xf
	v_cmp_lt_u32_e32 vcc, 3, v44
	s_and_saveexec_b64 s[2:3], vcc
; %bb.93:
	v_add_co_u32_e32 v15, vcc, v23, v13
	v_addc_co_u32_e32 v14, vcc, 0, v24, vcc
	v_add_co_u32_e32 v13, vcc, 0, v15
	v_addc_co_u32_e32 v14, vcc, v16, v14, vcc
	v_mov_b32_e32 v24, v14
	;; [unrolled: 13-line block ×3, first 2 shown]
	v_mov_b32_e32 v23, v13
; %bb.96:
	s_or_b64 exec, exec, s[2:3]
	v_and_b32_e32 v17, 16, v42
	v_mov_b32_dpp v16, v15 row_bcast:15 row_mask:0xf bank_mask:0xf
	v_mov_b32_dpp v13, v14 row_bcast:15 row_mask:0xf bank_mask:0xf
	v_cmp_ne_u32_e32 vcc, 0, v17
	s_and_saveexec_b64 s[2:3], vcc
; %bb.97:
	v_add_co_u32_e32 v15, vcc, v23, v16
	v_addc_co_u32_e32 v14, vcc, 0, v24, vcc
	v_add_co_u32_e32 v23, vcc, 0, v15
	v_addc_co_u32_e32 v24, vcc, v13, v14, vcc
	v_mov_b32_e32 v14, v24
; %bb.98:
	s_or_b64 exec, exec, s[2:3]
	v_mov_b32_dpp v13, v15 row_bcast:31 row_mask:0xf bank_mask:0xf
	v_add_co_u32_e32 v13, vcc, v23, v13
	v_addc_co_u32_e32 v15, vcc, 0, v24, vcc
	v_mov_b32_dpp v14, v14 row_bcast:31 row_mask:0xf bank_mask:0xf
	v_add_co_u32_e32 v13, vcc, 0, v13
	v_addc_co_u32_e32 v14, vcc, v15, v14, vcc
	v_cmp_lt_u32_e32 vcc, 31, v42
	v_or_b32_e32 v15, 63, v0
	v_cndmask_b32_e32 v14, v24, v14, vcc
	v_cndmask_b32_e32 v13, v23, v13, vcc
	v_lshrrev_b32_e32 v19, 6, v0
	v_cmp_eq_u32_e32 vcc, v0, v15
	s_and_saveexec_b64 s[2:3], vcc
; %bb.99:
	v_lshlrev_b32_e32 v15, 3, v19
	ds_write_b64 v15, v[13:14]
; %bb.100:
	s_or_b64 exec, exec, s[2:3]
	v_cmp_gt_u32_e32 vcc, 4, v0
	s_waitcnt lgkmcnt(0)
	s_barrier
	s_and_saveexec_b64 s[2:3], vcc
	s_cbranch_execz .LBB349_104
; %bb.101:
	v_add_u32_e32 v17, v43, v0
	ds_read_b64 v[15:16], v17
	v_and_b32_e32 v18, 3, v42
	v_cmp_ne_u32_e32 vcc, 0, v18
	s_waitcnt lgkmcnt(0)
	v_mov_b32_dpp v24, v15 row_shr:1 row_mask:0xf bank_mask:0xf
	v_mov_b32_dpp v23, v16 row_shr:1 row_mask:0xf bank_mask:0xf
	v_mov_b32_e32 v20, v15
	s_and_saveexec_b64 s[4:5], vcc
; %bb.102:
	v_add_co_u32_e32 v20, vcc, v15, v24
	v_addc_co_u32_e32 v16, vcc, 0, v16, vcc
	v_add_co_u32_e32 v15, vcc, 0, v20
	v_addc_co_u32_e32 v16, vcc, v23, v16, vcc
; %bb.103:
	s_or_b64 exec, exec, s[4:5]
	v_mov_b32_dpp v20, v20 row_shr:2 row_mask:0xf bank_mask:0xf
	v_add_co_u32_e32 v20, vcc, v15, v20
	v_addc_co_u32_e32 v24, vcc, 0, v16, vcc
	v_mov_b32_dpp v23, v16 row_shr:2 row_mask:0xf bank_mask:0xf
	v_add_co_u32_e32 v20, vcc, 0, v20
	v_addc_co_u32_e32 v23, vcc, v24, v23, vcc
	v_cmp_lt_u32_e32 vcc, 1, v18
	v_cndmask_b32_e32 v16, v16, v23, vcc
	v_cndmask_b32_e32 v15, v15, v20, vcc
	ds_write_b64 v17, v[15:16]
.LBB349_104:
	s_or_b64 exec, exec, s[2:3]
	v_mov_b32_e32 v17, 0
	v_mov_b32_e32 v18, 0
	v_cmp_lt_u32_e32 vcc, 63, v0
	s_waitcnt lgkmcnt(0)
	s_barrier
	s_and_saveexec_b64 s[2:3], vcc
; %bb.105:
	v_lshl_add_u32 v15, v19, 3, -8
	ds_read_b64 v[17:18], v15
; %bb.106:
	s_or_b64 exec, exec, s[2:3]
	s_waitcnt lgkmcnt(0)
	v_add_co_u32_e32 v13, vcc, v17, v13
	v_addc_co_u32_e32 v14, vcc, v18, v14, vcc
	v_subrev_co_u32_e32 v15, vcc, 1, v42
	v_and_b32_e32 v16, 64, v42
	v_cmp_lt_i32_e64 s[2:3], v15, v16
	v_cndmask_b32_e64 v15, v15, v42, s[2:3]
	v_lshlrev_b32_e32 v15, 2, v15
	v_mov_b32_e32 v16, 0
	ds_bpermute_b32 v19, v15, v13
	ds_bpermute_b32 v20, v15, v14
	ds_read_b64 v[13:14], v16 offset:24
	s_and_saveexec_b64 s[2:3], s[0:1]
	s_cbranch_execz .LBB349_108
; %bb.107:
	s_add_u32 s4, s20, 0x400
	s_addc_u32 s5, s21, 0
	v_mov_b32_e32 v24, s5
	v_mov_b32_e32 v15, 2
	;; [unrolled: 1-line block ×3, first 2 shown]
	s_waitcnt lgkmcnt(0)
	;;#ASMSTART
	global_store_dwordx4 v[23:24], v[13:16] off	
s_waitcnt vmcnt(0)
	;;#ASMEND
.LBB349_108:
	s_or_b64 exec, exec, s[2:3]
	s_waitcnt lgkmcnt(2)
	v_cndmask_b32_e32 v15, v19, v17, vcc
	s_waitcnt lgkmcnt(1)
	v_cndmask_b32_e32 v16, v20, v18, vcc
	v_cndmask_b32_e64 v33, v15, 0, s[0:1]
	v_cndmask_b32_e64 v34, v16, 0, s[0:1]
	v_add_co_u32_e32 v31, vcc, v33, v41
	v_addc_co_u32_e32 v32, vcc, 0, v34, vcc
	v_add_co_u32_e32 v29, vcc, v31, v40
	v_addc_co_u32_e32 v30, vcc, 0, v32, vcc
	;; [unrolled: 2-line block ×5, first 2 shown]
	v_add_co_u32_e32 v19, vcc, v17, v36
	v_mov_b32_e32 v15, 0
	v_addc_co_u32_e32 v20, vcc, 0, v18, vcc
	s_waitcnt lgkmcnt(0)
	s_barrier
	v_mov_b32_e32 v16, 0
.LBB349_109:
	s_mov_b64 s[2:3], 0x101
	s_waitcnt lgkmcnt(0)
	v_cmp_gt_u64_e32 vcc, s[2:3], v[13:14]
	s_mov_b64 s[4:5], -1
	v_cmp_eq_u32_e64 s[2:3], 1, v41
	s_cbranch_vccnz .LBB349_113
; %bb.110:
	s_and_b64 vcc, exec, s[4:5]
	s_cbranch_vccnz .LBB349_128
.LBB349_111:
	s_and_b64 s[0:1], s[0:1], s[12:13]
	s_and_saveexec_b64 s[2:3], s[0:1]
	s_cbranch_execnz .LBB349_139
.LBB349_112:
	s_endpgm
.LBB349_113:
	v_add_co_u32_e32 v23, vcc, v15, v13
	v_addc_co_u32_e32 v24, vcc, v16, v14, vcc
	v_cmp_lt_u64_e32 vcc, v[33:34], v[23:24]
	s_or_b64 s[4:5], s[18:19], vcc
	s_and_b64 s[4:5], s[4:5], s[2:3]
	s_and_saveexec_b64 s[2:3], s[4:5]
	s_cbranch_execz .LBB349_115
; %bb.114:
	s_lshl_b64 s[4:5], s[10:11], 3
	s_add_u32 s4, s16, s4
	v_lshlrev_b64 v[42:43], 3, v[33:34]
	s_addc_u32 s5, s17, s5
	v_mov_b32_e32 v34, s5
	v_add_co_u32_e32 v42, vcc, s4, v42
	v_addc_co_u32_e32 v43, vcc, v34, v43, vcc
	global_store_dwordx2 v[42:43], v[9:10], off
.LBB349_115:
	s_or_b64 exec, exec, s[2:3]
	v_cmp_lt_u64_e32 vcc, v[31:32], v[23:24]
	s_or_b64 s[2:3], s[18:19], vcc
	v_cmp_eq_u32_e32 vcc, 1, v40
	s_and_b64 s[4:5], s[2:3], vcc
	s_and_saveexec_b64 s[2:3], s[4:5]
	s_cbranch_execz .LBB349_117
; %bb.116:
	s_lshl_b64 s[4:5], s[10:11], 3
	s_add_u32 s4, s16, s4
	v_lshlrev_b64 v[42:43], 3, v[31:32]
	s_addc_u32 s5, s17, s5
	v_mov_b32_e32 v32, s5
	v_add_co_u32_e32 v42, vcc, s4, v42
	v_addc_co_u32_e32 v43, vcc, v32, v43, vcc
	global_store_dwordx2 v[42:43], v[11:12], off
.LBB349_117:
	s_or_b64 exec, exec, s[2:3]
	v_cmp_lt_u64_e32 vcc, v[29:30], v[23:24]
	s_or_b64 s[2:3], s[18:19], vcc
	v_cmp_eq_u32_e32 vcc, 1, v39
	s_and_b64 s[4:5], s[2:3], vcc
	s_and_saveexec_b64 s[2:3], s[4:5]
	s_cbranch_execz .LBB349_119
; %bb.118:
	s_lshl_b64 s[4:5], s[10:11], 3
	s_add_u32 s4, s16, s4
	v_lshlrev_b64 v[42:43], 3, v[29:30]
	s_addc_u32 s5, s17, s5
	v_mov_b32_e32 v30, s5
	v_add_co_u32_e32 v42, vcc, s4, v42
	v_addc_co_u32_e32 v43, vcc, v30, v43, vcc
	global_store_dwordx2 v[42:43], v[5:6], off
.LBB349_119:
	s_or_b64 exec, exec, s[2:3]
	v_cmp_lt_u64_e32 vcc, v[27:28], v[23:24]
	s_or_b64 s[2:3], s[18:19], vcc
	v_cmp_eq_u32_e32 vcc, 1, v38
	s_and_b64 s[4:5], s[2:3], vcc
	s_and_saveexec_b64 s[2:3], s[4:5]
	s_cbranch_execz .LBB349_121
; %bb.120:
	s_lshl_b64 s[4:5], s[10:11], 3
	s_add_u32 s4, s16, s4
	v_lshlrev_b64 v[42:43], 3, v[27:28]
	s_addc_u32 s5, s17, s5
	v_mov_b32_e32 v28, s5
	v_add_co_u32_e32 v42, vcc, s4, v42
	v_addc_co_u32_e32 v43, vcc, v28, v43, vcc
	global_store_dwordx2 v[42:43], v[7:8], off
.LBB349_121:
	s_or_b64 exec, exec, s[2:3]
	v_cmp_lt_u64_e32 vcc, v[25:26], v[23:24]
	s_or_b64 s[2:3], s[18:19], vcc
	v_cmp_eq_u32_e32 vcc, 1, v37
	s_and_b64 s[4:5], s[2:3], vcc
	s_and_saveexec_b64 s[2:3], s[4:5]
	s_cbranch_execz .LBB349_123
; %bb.122:
	s_lshl_b64 s[4:5], s[10:11], 3
	s_add_u32 s4, s16, s4
	v_lshlrev_b64 v[42:43], 3, v[25:26]
	s_addc_u32 s5, s17, s5
	v_mov_b32_e32 v26, s5
	v_add_co_u32_e32 v42, vcc, s4, v42
	v_addc_co_u32_e32 v43, vcc, v26, v43, vcc
	global_store_dwordx2 v[42:43], v[1:2], off
.LBB349_123:
	s_or_b64 exec, exec, s[2:3]
	v_cmp_lt_u64_e32 vcc, v[17:18], v[23:24]
	s_or_b64 s[2:3], s[18:19], vcc
	v_cmp_eq_u32_e32 vcc, 1, v36
	s_and_b64 s[4:5], s[2:3], vcc
	s_and_saveexec_b64 s[2:3], s[4:5]
	s_cbranch_execz .LBB349_125
; %bb.124:
	s_lshl_b64 s[4:5], s[10:11], 3
	s_add_u32 s4, s16, s4
	v_lshlrev_b64 v[42:43], 3, v[17:18]
	s_addc_u32 s5, s17, s5
	v_mov_b32_e32 v18, s5
	v_add_co_u32_e32 v42, vcc, s4, v42
	v_addc_co_u32_e32 v43, vcc, v18, v43, vcc
	global_store_dwordx2 v[42:43], v[3:4], off
.LBB349_125:
	s_or_b64 exec, exec, s[2:3]
	v_cmp_lt_u64_e32 vcc, v[19:20], v[23:24]
	s_or_b64 s[2:3], s[18:19], vcc
	v_cmp_eq_u32_e32 vcc, 1, v35
	s_and_b64 s[4:5], s[2:3], vcc
	s_and_saveexec_b64 s[2:3], s[4:5]
	s_cbranch_execz .LBB349_127
; %bb.126:
	s_lshl_b64 s[4:5], s[10:11], 3
	s_add_u32 s4, s16, s4
	v_lshlrev_b64 v[23:24], 3, v[19:20]
	s_addc_u32 s5, s17, s5
	v_mov_b32_e32 v18, s5
	v_add_co_u32_e32 v23, vcc, s4, v23
	v_addc_co_u32_e32 v24, vcc, v18, v24, vcc
	global_store_dwordx2 v[23:24], v[21:22], off
.LBB349_127:
	s_or_b64 exec, exec, s[2:3]
	s_branch .LBB349_111
.LBB349_128:
	v_cmp_eq_u32_e32 vcc, 1, v41
	s_and_saveexec_b64 s[2:3], vcc
	s_cbranch_execnz .LBB349_140
; %bb.129:
	s_or_b64 exec, exec, s[2:3]
	v_cmp_eq_u32_e32 vcc, 1, v40
	s_and_saveexec_b64 s[2:3], vcc
	s_cbranch_execnz .LBB349_141
.LBB349_130:
	s_or_b64 exec, exec, s[2:3]
	v_cmp_eq_u32_e32 vcc, 1, v39
	s_and_saveexec_b64 s[2:3], vcc
	s_cbranch_execnz .LBB349_142
.LBB349_131:
	s_or_b64 exec, exec, s[2:3]
	v_cmp_eq_u32_e32 vcc, 1, v38
	s_and_saveexec_b64 s[2:3], vcc
	s_cbranch_execnz .LBB349_143
.LBB349_132:
	s_or_b64 exec, exec, s[2:3]
	v_cmp_eq_u32_e32 vcc, 1, v37
	s_and_saveexec_b64 s[2:3], vcc
	s_cbranch_execnz .LBB349_144
.LBB349_133:
	s_or_b64 exec, exec, s[2:3]
	v_cmp_eq_u32_e32 vcc, 1, v36
	s_and_saveexec_b64 s[2:3], vcc
	s_cbranch_execnz .LBB349_145
.LBB349_134:
	s_or_b64 exec, exec, s[2:3]
	v_cmp_eq_u32_e32 vcc, 1, v35
	s_and_saveexec_b64 s[2:3], vcc
.LBB349_135:
	v_sub_u32_e32 v1, v19, v15
	v_lshlrev_b32_e32 v1, 3, v1
	ds_write_b64 v1, v[21:22]
.LBB349_136:
	s_or_b64 exec, exec, s[2:3]
	v_lshlrev_b64 v[4:5], 3, v[15:16]
	v_mov_b32_e32 v6, s17
	v_add_co_u32_e32 v4, vcc, s16, v4
	v_mov_b32_e32 v1, 0
	v_addc_co_u32_e32 v5, vcc, v6, v5, vcc
	s_lshl_b64 s[2:3], s[10:11], 3
	v_mov_b32_e32 v3, v1
	v_mov_b32_e32 v6, s3
	v_add_co_u32_e32 v4, vcc, s2, v4
	v_mov_b32_e32 v2, v0
	v_addc_co_u32_e32 v5, vcc, v5, v6, vcc
	v_or_b32_e32 v0, 0x100, v0
	s_mov_b64 s[4:5], 0
	s_waitcnt vmcnt(0) lgkmcnt(0)
	s_barrier
.LBB349_137:                            ; =>This Inner Loop Header: Depth=1
	v_lshlrev_b32_e32 v8, 3, v2
	ds_read_b64 v[8:9], v8
	v_lshlrev_b64 v[6:7], 3, v[2:3]
	v_cmp_le_u64_e32 vcc, v[13:14], v[0:1]
	v_mov_b32_e32 v3, v1
	v_add_co_u32_e64 v6, s[2:3], v4, v6
	v_mov_b32_e32 v2, v0
	v_add_u32_e32 v0, 0x100, v0
	v_addc_co_u32_e64 v7, s[2:3], v5, v7, s[2:3]
	s_or_b64 s[4:5], vcc, s[4:5]
	s_waitcnt lgkmcnt(0)
	global_store_dwordx2 v[6:7], v[8:9], off
	s_andn2_b64 exec, exec, s[4:5]
	s_cbranch_execnz .LBB349_137
; %bb.138:
	s_or_b64 exec, exec, s[4:5]
	s_and_b64 s[0:1], s[0:1], s[12:13]
	s_and_saveexec_b64 s[2:3], s[0:1]
	s_cbranch_execz .LBB349_112
.LBB349_139:
	v_add_co_u32_e32 v0, vcc, v15, v13
	v_addc_co_u32_e32 v1, vcc, v16, v14, vcc
	v_mov_b32_e32 v3, s11
	v_add_co_u32_e32 v0, vcc, s10, v0
	v_mov_b32_e32 v2, 0
	v_addc_co_u32_e32 v1, vcc, v1, v3, vcc
	global_store_dwordx2 v2, v[0:1], s[8:9]
	s_endpgm
.LBB349_140:
	v_sub_u32_e32 v18, v33, v15
	v_lshlrev_b32_e32 v18, 3, v18
	ds_write_b64 v18, v[9:10]
	s_or_b64 exec, exec, s[2:3]
	v_cmp_eq_u32_e32 vcc, 1, v40
	s_and_saveexec_b64 s[2:3], vcc
	s_cbranch_execz .LBB349_130
.LBB349_141:
	v_sub_u32_e32 v9, v31, v15
	v_lshlrev_b32_e32 v9, 3, v9
	ds_write_b64 v9, v[11:12]
	s_or_b64 exec, exec, s[2:3]
	v_cmp_eq_u32_e32 vcc, 1, v39
	s_and_saveexec_b64 s[2:3], vcc
	s_cbranch_execz .LBB349_131
.LBB349_142:
	v_sub_u32_e32 v9, v29, v15
	v_lshlrev_b32_e32 v9, 3, v9
	ds_write_b64 v9, v[5:6]
	s_or_b64 exec, exec, s[2:3]
	v_cmp_eq_u32_e32 vcc, 1, v38
	s_and_saveexec_b64 s[2:3], vcc
	s_cbranch_execz .LBB349_132
.LBB349_143:
	v_sub_u32_e32 v5, v27, v15
	v_lshlrev_b32_e32 v5, 3, v5
	ds_write_b64 v5, v[7:8]
	s_or_b64 exec, exec, s[2:3]
	v_cmp_eq_u32_e32 vcc, 1, v37
	s_and_saveexec_b64 s[2:3], vcc
	s_cbranch_execz .LBB349_133
.LBB349_144:
	v_sub_u32_e32 v5, v25, v15
	v_lshlrev_b32_e32 v5, 3, v5
	ds_write_b64 v5, v[1:2]
	s_or_b64 exec, exec, s[2:3]
	v_cmp_eq_u32_e32 vcc, 1, v36
	s_and_saveexec_b64 s[2:3], vcc
	s_cbranch_execz .LBB349_134
.LBB349_145:
	v_sub_u32_e32 v1, v17, v15
	v_lshlrev_b32_e32 v1, 3, v1
	ds_write_b64 v1, v[3:4]
	s_or_b64 exec, exec, s[2:3]
	v_cmp_eq_u32_e32 vcc, 1, v35
	s_and_saveexec_b64 s[2:3], vcc
	s_cbranch_execnz .LBB349_135
	s_branch .LBB349_136
	.section	.rodata,"a",@progbits
	.p2align	6, 0x0
	.amdhsa_kernel _ZN7rocprim17ROCPRIM_400000_NS6detail17trampoline_kernelINS0_14default_configENS1_25partition_config_selectorILNS1_17partition_subalgoE5ElNS0_10empty_typeEbEEZZNS1_14partition_implILS5_5ELb0ES3_mN6hipcub16HIPCUB_304000_NS21CountingInputIteratorIllEEPS6_NSA_22TransformInputIteratorIb7NonZeroIdEPdlEENS0_5tupleIJPlS6_EEENSJ_IJSD_SD_EEES6_SK_JS6_EEE10hipError_tPvRmT3_T4_T5_T6_T7_T9_mT8_P12ihipStream_tbDpT10_ENKUlT_T0_E_clISt17integral_constantIbLb0EES15_IbLb1EEEEDaS11_S12_EUlS11_E_NS1_11comp_targetILNS1_3genE2ELNS1_11target_archE906ELNS1_3gpuE6ELNS1_3repE0EEENS1_30default_config_static_selectorELNS0_4arch9wavefront6targetE1EEEvT1_
		.amdhsa_group_segment_fixed_size 14352
		.amdhsa_private_segment_fixed_size 0
		.amdhsa_kernarg_size 136
		.amdhsa_user_sgpr_count 6
		.amdhsa_user_sgpr_private_segment_buffer 1
		.amdhsa_user_sgpr_dispatch_ptr 0
		.amdhsa_user_sgpr_queue_ptr 0
		.amdhsa_user_sgpr_kernarg_segment_ptr 1
		.amdhsa_user_sgpr_dispatch_id 0
		.amdhsa_user_sgpr_flat_scratch_init 0
		.amdhsa_user_sgpr_private_segment_size 0
		.amdhsa_uses_dynamic_stack 0
		.amdhsa_system_sgpr_private_segment_wavefront_offset 0
		.amdhsa_system_sgpr_workgroup_id_x 1
		.amdhsa_system_sgpr_workgroup_id_y 0
		.amdhsa_system_sgpr_workgroup_id_z 0
		.amdhsa_system_sgpr_workgroup_info 0
		.amdhsa_system_vgpr_workitem_id 0
		.amdhsa_next_free_vgpr 59
		.amdhsa_next_free_sgpr 98
		.amdhsa_reserve_vcc 1
		.amdhsa_reserve_flat_scratch 0
		.amdhsa_float_round_mode_32 0
		.amdhsa_float_round_mode_16_64 0
		.amdhsa_float_denorm_mode_32 3
		.amdhsa_float_denorm_mode_16_64 3
		.amdhsa_dx10_clamp 1
		.amdhsa_ieee_mode 1
		.amdhsa_fp16_overflow 0
		.amdhsa_exception_fp_ieee_invalid_op 0
		.amdhsa_exception_fp_denorm_src 0
		.amdhsa_exception_fp_ieee_div_zero 0
		.amdhsa_exception_fp_ieee_overflow 0
		.amdhsa_exception_fp_ieee_underflow 0
		.amdhsa_exception_fp_ieee_inexact 0
		.amdhsa_exception_int_div_zero 0
	.end_amdhsa_kernel
	.section	.text._ZN7rocprim17ROCPRIM_400000_NS6detail17trampoline_kernelINS0_14default_configENS1_25partition_config_selectorILNS1_17partition_subalgoE5ElNS0_10empty_typeEbEEZZNS1_14partition_implILS5_5ELb0ES3_mN6hipcub16HIPCUB_304000_NS21CountingInputIteratorIllEEPS6_NSA_22TransformInputIteratorIb7NonZeroIdEPdlEENS0_5tupleIJPlS6_EEENSJ_IJSD_SD_EEES6_SK_JS6_EEE10hipError_tPvRmT3_T4_T5_T6_T7_T9_mT8_P12ihipStream_tbDpT10_ENKUlT_T0_E_clISt17integral_constantIbLb0EES15_IbLb1EEEEDaS11_S12_EUlS11_E_NS1_11comp_targetILNS1_3genE2ELNS1_11target_archE906ELNS1_3gpuE6ELNS1_3repE0EEENS1_30default_config_static_selectorELNS0_4arch9wavefront6targetE1EEEvT1_,"axG",@progbits,_ZN7rocprim17ROCPRIM_400000_NS6detail17trampoline_kernelINS0_14default_configENS1_25partition_config_selectorILNS1_17partition_subalgoE5ElNS0_10empty_typeEbEEZZNS1_14partition_implILS5_5ELb0ES3_mN6hipcub16HIPCUB_304000_NS21CountingInputIteratorIllEEPS6_NSA_22TransformInputIteratorIb7NonZeroIdEPdlEENS0_5tupleIJPlS6_EEENSJ_IJSD_SD_EEES6_SK_JS6_EEE10hipError_tPvRmT3_T4_T5_T6_T7_T9_mT8_P12ihipStream_tbDpT10_ENKUlT_T0_E_clISt17integral_constantIbLb0EES15_IbLb1EEEEDaS11_S12_EUlS11_E_NS1_11comp_targetILNS1_3genE2ELNS1_11target_archE906ELNS1_3gpuE6ELNS1_3repE0EEENS1_30default_config_static_selectorELNS0_4arch9wavefront6targetE1EEEvT1_,comdat
.Lfunc_end349:
	.size	_ZN7rocprim17ROCPRIM_400000_NS6detail17trampoline_kernelINS0_14default_configENS1_25partition_config_selectorILNS1_17partition_subalgoE5ElNS0_10empty_typeEbEEZZNS1_14partition_implILS5_5ELb0ES3_mN6hipcub16HIPCUB_304000_NS21CountingInputIteratorIllEEPS6_NSA_22TransformInputIteratorIb7NonZeroIdEPdlEENS0_5tupleIJPlS6_EEENSJ_IJSD_SD_EEES6_SK_JS6_EEE10hipError_tPvRmT3_T4_T5_T6_T7_T9_mT8_P12ihipStream_tbDpT10_ENKUlT_T0_E_clISt17integral_constantIbLb0EES15_IbLb1EEEEDaS11_S12_EUlS11_E_NS1_11comp_targetILNS1_3genE2ELNS1_11target_archE906ELNS1_3gpuE6ELNS1_3repE0EEENS1_30default_config_static_selectorELNS0_4arch9wavefront6targetE1EEEvT1_, .Lfunc_end349-_ZN7rocprim17ROCPRIM_400000_NS6detail17trampoline_kernelINS0_14default_configENS1_25partition_config_selectorILNS1_17partition_subalgoE5ElNS0_10empty_typeEbEEZZNS1_14partition_implILS5_5ELb0ES3_mN6hipcub16HIPCUB_304000_NS21CountingInputIteratorIllEEPS6_NSA_22TransformInputIteratorIb7NonZeroIdEPdlEENS0_5tupleIJPlS6_EEENSJ_IJSD_SD_EEES6_SK_JS6_EEE10hipError_tPvRmT3_T4_T5_T6_T7_T9_mT8_P12ihipStream_tbDpT10_ENKUlT_T0_E_clISt17integral_constantIbLb0EES15_IbLb1EEEEDaS11_S12_EUlS11_E_NS1_11comp_targetILNS1_3genE2ELNS1_11target_archE906ELNS1_3gpuE6ELNS1_3repE0EEENS1_30default_config_static_selectorELNS0_4arch9wavefront6targetE1EEEvT1_
                                        ; -- End function
	.set _ZN7rocprim17ROCPRIM_400000_NS6detail17trampoline_kernelINS0_14default_configENS1_25partition_config_selectorILNS1_17partition_subalgoE5ElNS0_10empty_typeEbEEZZNS1_14partition_implILS5_5ELb0ES3_mN6hipcub16HIPCUB_304000_NS21CountingInputIteratorIllEEPS6_NSA_22TransformInputIteratorIb7NonZeroIdEPdlEENS0_5tupleIJPlS6_EEENSJ_IJSD_SD_EEES6_SK_JS6_EEE10hipError_tPvRmT3_T4_T5_T6_T7_T9_mT8_P12ihipStream_tbDpT10_ENKUlT_T0_E_clISt17integral_constantIbLb0EES15_IbLb1EEEEDaS11_S12_EUlS11_E_NS1_11comp_targetILNS1_3genE2ELNS1_11target_archE906ELNS1_3gpuE6ELNS1_3repE0EEENS1_30default_config_static_selectorELNS0_4arch9wavefront6targetE1EEEvT1_.num_vgpr, 59
	.set _ZN7rocprim17ROCPRIM_400000_NS6detail17trampoline_kernelINS0_14default_configENS1_25partition_config_selectorILNS1_17partition_subalgoE5ElNS0_10empty_typeEbEEZZNS1_14partition_implILS5_5ELb0ES3_mN6hipcub16HIPCUB_304000_NS21CountingInputIteratorIllEEPS6_NSA_22TransformInputIteratorIb7NonZeroIdEPdlEENS0_5tupleIJPlS6_EEENSJ_IJSD_SD_EEES6_SK_JS6_EEE10hipError_tPvRmT3_T4_T5_T6_T7_T9_mT8_P12ihipStream_tbDpT10_ENKUlT_T0_E_clISt17integral_constantIbLb0EES15_IbLb1EEEEDaS11_S12_EUlS11_E_NS1_11comp_targetILNS1_3genE2ELNS1_11target_archE906ELNS1_3gpuE6ELNS1_3repE0EEENS1_30default_config_static_selectorELNS0_4arch9wavefront6targetE1EEEvT1_.num_agpr, 0
	.set _ZN7rocprim17ROCPRIM_400000_NS6detail17trampoline_kernelINS0_14default_configENS1_25partition_config_selectorILNS1_17partition_subalgoE5ElNS0_10empty_typeEbEEZZNS1_14partition_implILS5_5ELb0ES3_mN6hipcub16HIPCUB_304000_NS21CountingInputIteratorIllEEPS6_NSA_22TransformInputIteratorIb7NonZeroIdEPdlEENS0_5tupleIJPlS6_EEENSJ_IJSD_SD_EEES6_SK_JS6_EEE10hipError_tPvRmT3_T4_T5_T6_T7_T9_mT8_P12ihipStream_tbDpT10_ENKUlT_T0_E_clISt17integral_constantIbLb0EES15_IbLb1EEEEDaS11_S12_EUlS11_E_NS1_11comp_targetILNS1_3genE2ELNS1_11target_archE906ELNS1_3gpuE6ELNS1_3repE0EEENS1_30default_config_static_selectorELNS0_4arch9wavefront6targetE1EEEvT1_.numbered_sgpr, 28
	.set _ZN7rocprim17ROCPRIM_400000_NS6detail17trampoline_kernelINS0_14default_configENS1_25partition_config_selectorILNS1_17partition_subalgoE5ElNS0_10empty_typeEbEEZZNS1_14partition_implILS5_5ELb0ES3_mN6hipcub16HIPCUB_304000_NS21CountingInputIteratorIllEEPS6_NSA_22TransformInputIteratorIb7NonZeroIdEPdlEENS0_5tupleIJPlS6_EEENSJ_IJSD_SD_EEES6_SK_JS6_EEE10hipError_tPvRmT3_T4_T5_T6_T7_T9_mT8_P12ihipStream_tbDpT10_ENKUlT_T0_E_clISt17integral_constantIbLb0EES15_IbLb1EEEEDaS11_S12_EUlS11_E_NS1_11comp_targetILNS1_3genE2ELNS1_11target_archE906ELNS1_3gpuE6ELNS1_3repE0EEENS1_30default_config_static_selectorELNS0_4arch9wavefront6targetE1EEEvT1_.num_named_barrier, 0
	.set _ZN7rocprim17ROCPRIM_400000_NS6detail17trampoline_kernelINS0_14default_configENS1_25partition_config_selectorILNS1_17partition_subalgoE5ElNS0_10empty_typeEbEEZZNS1_14partition_implILS5_5ELb0ES3_mN6hipcub16HIPCUB_304000_NS21CountingInputIteratorIllEEPS6_NSA_22TransformInputIteratorIb7NonZeroIdEPdlEENS0_5tupleIJPlS6_EEENSJ_IJSD_SD_EEES6_SK_JS6_EEE10hipError_tPvRmT3_T4_T5_T6_T7_T9_mT8_P12ihipStream_tbDpT10_ENKUlT_T0_E_clISt17integral_constantIbLb0EES15_IbLb1EEEEDaS11_S12_EUlS11_E_NS1_11comp_targetILNS1_3genE2ELNS1_11target_archE906ELNS1_3gpuE6ELNS1_3repE0EEENS1_30default_config_static_selectorELNS0_4arch9wavefront6targetE1EEEvT1_.private_seg_size, 0
	.set _ZN7rocprim17ROCPRIM_400000_NS6detail17trampoline_kernelINS0_14default_configENS1_25partition_config_selectorILNS1_17partition_subalgoE5ElNS0_10empty_typeEbEEZZNS1_14partition_implILS5_5ELb0ES3_mN6hipcub16HIPCUB_304000_NS21CountingInputIteratorIllEEPS6_NSA_22TransformInputIteratorIb7NonZeroIdEPdlEENS0_5tupleIJPlS6_EEENSJ_IJSD_SD_EEES6_SK_JS6_EEE10hipError_tPvRmT3_T4_T5_T6_T7_T9_mT8_P12ihipStream_tbDpT10_ENKUlT_T0_E_clISt17integral_constantIbLb0EES15_IbLb1EEEEDaS11_S12_EUlS11_E_NS1_11comp_targetILNS1_3genE2ELNS1_11target_archE906ELNS1_3gpuE6ELNS1_3repE0EEENS1_30default_config_static_selectorELNS0_4arch9wavefront6targetE1EEEvT1_.uses_vcc, 1
	.set _ZN7rocprim17ROCPRIM_400000_NS6detail17trampoline_kernelINS0_14default_configENS1_25partition_config_selectorILNS1_17partition_subalgoE5ElNS0_10empty_typeEbEEZZNS1_14partition_implILS5_5ELb0ES3_mN6hipcub16HIPCUB_304000_NS21CountingInputIteratorIllEEPS6_NSA_22TransformInputIteratorIb7NonZeroIdEPdlEENS0_5tupleIJPlS6_EEENSJ_IJSD_SD_EEES6_SK_JS6_EEE10hipError_tPvRmT3_T4_T5_T6_T7_T9_mT8_P12ihipStream_tbDpT10_ENKUlT_T0_E_clISt17integral_constantIbLb0EES15_IbLb1EEEEDaS11_S12_EUlS11_E_NS1_11comp_targetILNS1_3genE2ELNS1_11target_archE906ELNS1_3gpuE6ELNS1_3repE0EEENS1_30default_config_static_selectorELNS0_4arch9wavefront6targetE1EEEvT1_.uses_flat_scratch, 0
	.set _ZN7rocprim17ROCPRIM_400000_NS6detail17trampoline_kernelINS0_14default_configENS1_25partition_config_selectorILNS1_17partition_subalgoE5ElNS0_10empty_typeEbEEZZNS1_14partition_implILS5_5ELb0ES3_mN6hipcub16HIPCUB_304000_NS21CountingInputIteratorIllEEPS6_NSA_22TransformInputIteratorIb7NonZeroIdEPdlEENS0_5tupleIJPlS6_EEENSJ_IJSD_SD_EEES6_SK_JS6_EEE10hipError_tPvRmT3_T4_T5_T6_T7_T9_mT8_P12ihipStream_tbDpT10_ENKUlT_T0_E_clISt17integral_constantIbLb0EES15_IbLb1EEEEDaS11_S12_EUlS11_E_NS1_11comp_targetILNS1_3genE2ELNS1_11target_archE906ELNS1_3gpuE6ELNS1_3repE0EEENS1_30default_config_static_selectorELNS0_4arch9wavefront6targetE1EEEvT1_.has_dyn_sized_stack, 0
	.set _ZN7rocprim17ROCPRIM_400000_NS6detail17trampoline_kernelINS0_14default_configENS1_25partition_config_selectorILNS1_17partition_subalgoE5ElNS0_10empty_typeEbEEZZNS1_14partition_implILS5_5ELb0ES3_mN6hipcub16HIPCUB_304000_NS21CountingInputIteratorIllEEPS6_NSA_22TransformInputIteratorIb7NonZeroIdEPdlEENS0_5tupleIJPlS6_EEENSJ_IJSD_SD_EEES6_SK_JS6_EEE10hipError_tPvRmT3_T4_T5_T6_T7_T9_mT8_P12ihipStream_tbDpT10_ENKUlT_T0_E_clISt17integral_constantIbLb0EES15_IbLb1EEEEDaS11_S12_EUlS11_E_NS1_11comp_targetILNS1_3genE2ELNS1_11target_archE906ELNS1_3gpuE6ELNS1_3repE0EEENS1_30default_config_static_selectorELNS0_4arch9wavefront6targetE1EEEvT1_.has_recursion, 0
	.set _ZN7rocprim17ROCPRIM_400000_NS6detail17trampoline_kernelINS0_14default_configENS1_25partition_config_selectorILNS1_17partition_subalgoE5ElNS0_10empty_typeEbEEZZNS1_14partition_implILS5_5ELb0ES3_mN6hipcub16HIPCUB_304000_NS21CountingInputIteratorIllEEPS6_NSA_22TransformInputIteratorIb7NonZeroIdEPdlEENS0_5tupleIJPlS6_EEENSJ_IJSD_SD_EEES6_SK_JS6_EEE10hipError_tPvRmT3_T4_T5_T6_T7_T9_mT8_P12ihipStream_tbDpT10_ENKUlT_T0_E_clISt17integral_constantIbLb0EES15_IbLb1EEEEDaS11_S12_EUlS11_E_NS1_11comp_targetILNS1_3genE2ELNS1_11target_archE906ELNS1_3gpuE6ELNS1_3repE0EEENS1_30default_config_static_selectorELNS0_4arch9wavefront6targetE1EEEvT1_.has_indirect_call, 0
	.section	.AMDGPU.csdata,"",@progbits
; Kernel info:
; codeLenInByte = 6092
; TotalNumSgprs: 32
; NumVgprs: 59
; ScratchSize: 0
; MemoryBound: 0
; FloatMode: 240
; IeeeMode: 1
; LDSByteSize: 14352 bytes/workgroup (compile time only)
; SGPRBlocks: 12
; VGPRBlocks: 14
; NumSGPRsForWavesPerEU: 102
; NumVGPRsForWavesPerEU: 59
; Occupancy: 4
; WaveLimiterHint : 1
; COMPUTE_PGM_RSRC2:SCRATCH_EN: 0
; COMPUTE_PGM_RSRC2:USER_SGPR: 6
; COMPUTE_PGM_RSRC2:TRAP_HANDLER: 0
; COMPUTE_PGM_RSRC2:TGID_X_EN: 1
; COMPUTE_PGM_RSRC2:TGID_Y_EN: 0
; COMPUTE_PGM_RSRC2:TGID_Z_EN: 0
; COMPUTE_PGM_RSRC2:TIDIG_COMP_CNT: 0
	.section	.text._ZN7rocprim17ROCPRIM_400000_NS6detail17trampoline_kernelINS0_14default_configENS1_25partition_config_selectorILNS1_17partition_subalgoE5ElNS0_10empty_typeEbEEZZNS1_14partition_implILS5_5ELb0ES3_mN6hipcub16HIPCUB_304000_NS21CountingInputIteratorIllEEPS6_NSA_22TransformInputIteratorIb7NonZeroIdEPdlEENS0_5tupleIJPlS6_EEENSJ_IJSD_SD_EEES6_SK_JS6_EEE10hipError_tPvRmT3_T4_T5_T6_T7_T9_mT8_P12ihipStream_tbDpT10_ENKUlT_T0_E_clISt17integral_constantIbLb0EES15_IbLb1EEEEDaS11_S12_EUlS11_E_NS1_11comp_targetILNS1_3genE10ELNS1_11target_archE1200ELNS1_3gpuE4ELNS1_3repE0EEENS1_30default_config_static_selectorELNS0_4arch9wavefront6targetE1EEEvT1_,"axG",@progbits,_ZN7rocprim17ROCPRIM_400000_NS6detail17trampoline_kernelINS0_14default_configENS1_25partition_config_selectorILNS1_17partition_subalgoE5ElNS0_10empty_typeEbEEZZNS1_14partition_implILS5_5ELb0ES3_mN6hipcub16HIPCUB_304000_NS21CountingInputIteratorIllEEPS6_NSA_22TransformInputIteratorIb7NonZeroIdEPdlEENS0_5tupleIJPlS6_EEENSJ_IJSD_SD_EEES6_SK_JS6_EEE10hipError_tPvRmT3_T4_T5_T6_T7_T9_mT8_P12ihipStream_tbDpT10_ENKUlT_T0_E_clISt17integral_constantIbLb0EES15_IbLb1EEEEDaS11_S12_EUlS11_E_NS1_11comp_targetILNS1_3genE10ELNS1_11target_archE1200ELNS1_3gpuE4ELNS1_3repE0EEENS1_30default_config_static_selectorELNS0_4arch9wavefront6targetE1EEEvT1_,comdat
	.protected	_ZN7rocprim17ROCPRIM_400000_NS6detail17trampoline_kernelINS0_14default_configENS1_25partition_config_selectorILNS1_17partition_subalgoE5ElNS0_10empty_typeEbEEZZNS1_14partition_implILS5_5ELb0ES3_mN6hipcub16HIPCUB_304000_NS21CountingInputIteratorIllEEPS6_NSA_22TransformInputIteratorIb7NonZeroIdEPdlEENS0_5tupleIJPlS6_EEENSJ_IJSD_SD_EEES6_SK_JS6_EEE10hipError_tPvRmT3_T4_T5_T6_T7_T9_mT8_P12ihipStream_tbDpT10_ENKUlT_T0_E_clISt17integral_constantIbLb0EES15_IbLb1EEEEDaS11_S12_EUlS11_E_NS1_11comp_targetILNS1_3genE10ELNS1_11target_archE1200ELNS1_3gpuE4ELNS1_3repE0EEENS1_30default_config_static_selectorELNS0_4arch9wavefront6targetE1EEEvT1_ ; -- Begin function _ZN7rocprim17ROCPRIM_400000_NS6detail17trampoline_kernelINS0_14default_configENS1_25partition_config_selectorILNS1_17partition_subalgoE5ElNS0_10empty_typeEbEEZZNS1_14partition_implILS5_5ELb0ES3_mN6hipcub16HIPCUB_304000_NS21CountingInputIteratorIllEEPS6_NSA_22TransformInputIteratorIb7NonZeroIdEPdlEENS0_5tupleIJPlS6_EEENSJ_IJSD_SD_EEES6_SK_JS6_EEE10hipError_tPvRmT3_T4_T5_T6_T7_T9_mT8_P12ihipStream_tbDpT10_ENKUlT_T0_E_clISt17integral_constantIbLb0EES15_IbLb1EEEEDaS11_S12_EUlS11_E_NS1_11comp_targetILNS1_3genE10ELNS1_11target_archE1200ELNS1_3gpuE4ELNS1_3repE0EEENS1_30default_config_static_selectorELNS0_4arch9wavefront6targetE1EEEvT1_
	.globl	_ZN7rocprim17ROCPRIM_400000_NS6detail17trampoline_kernelINS0_14default_configENS1_25partition_config_selectorILNS1_17partition_subalgoE5ElNS0_10empty_typeEbEEZZNS1_14partition_implILS5_5ELb0ES3_mN6hipcub16HIPCUB_304000_NS21CountingInputIteratorIllEEPS6_NSA_22TransformInputIteratorIb7NonZeroIdEPdlEENS0_5tupleIJPlS6_EEENSJ_IJSD_SD_EEES6_SK_JS6_EEE10hipError_tPvRmT3_T4_T5_T6_T7_T9_mT8_P12ihipStream_tbDpT10_ENKUlT_T0_E_clISt17integral_constantIbLb0EES15_IbLb1EEEEDaS11_S12_EUlS11_E_NS1_11comp_targetILNS1_3genE10ELNS1_11target_archE1200ELNS1_3gpuE4ELNS1_3repE0EEENS1_30default_config_static_selectorELNS0_4arch9wavefront6targetE1EEEvT1_
	.p2align	8
	.type	_ZN7rocprim17ROCPRIM_400000_NS6detail17trampoline_kernelINS0_14default_configENS1_25partition_config_selectorILNS1_17partition_subalgoE5ElNS0_10empty_typeEbEEZZNS1_14partition_implILS5_5ELb0ES3_mN6hipcub16HIPCUB_304000_NS21CountingInputIteratorIllEEPS6_NSA_22TransformInputIteratorIb7NonZeroIdEPdlEENS0_5tupleIJPlS6_EEENSJ_IJSD_SD_EEES6_SK_JS6_EEE10hipError_tPvRmT3_T4_T5_T6_T7_T9_mT8_P12ihipStream_tbDpT10_ENKUlT_T0_E_clISt17integral_constantIbLb0EES15_IbLb1EEEEDaS11_S12_EUlS11_E_NS1_11comp_targetILNS1_3genE10ELNS1_11target_archE1200ELNS1_3gpuE4ELNS1_3repE0EEENS1_30default_config_static_selectorELNS0_4arch9wavefront6targetE1EEEvT1_,@function
_ZN7rocprim17ROCPRIM_400000_NS6detail17trampoline_kernelINS0_14default_configENS1_25partition_config_selectorILNS1_17partition_subalgoE5ElNS0_10empty_typeEbEEZZNS1_14partition_implILS5_5ELb0ES3_mN6hipcub16HIPCUB_304000_NS21CountingInputIteratorIllEEPS6_NSA_22TransformInputIteratorIb7NonZeroIdEPdlEENS0_5tupleIJPlS6_EEENSJ_IJSD_SD_EEES6_SK_JS6_EEE10hipError_tPvRmT3_T4_T5_T6_T7_T9_mT8_P12ihipStream_tbDpT10_ENKUlT_T0_E_clISt17integral_constantIbLb0EES15_IbLb1EEEEDaS11_S12_EUlS11_E_NS1_11comp_targetILNS1_3genE10ELNS1_11target_archE1200ELNS1_3gpuE4ELNS1_3repE0EEENS1_30default_config_static_selectorELNS0_4arch9wavefront6targetE1EEEvT1_: ; @_ZN7rocprim17ROCPRIM_400000_NS6detail17trampoline_kernelINS0_14default_configENS1_25partition_config_selectorILNS1_17partition_subalgoE5ElNS0_10empty_typeEbEEZZNS1_14partition_implILS5_5ELb0ES3_mN6hipcub16HIPCUB_304000_NS21CountingInputIteratorIllEEPS6_NSA_22TransformInputIteratorIb7NonZeroIdEPdlEENS0_5tupleIJPlS6_EEENSJ_IJSD_SD_EEES6_SK_JS6_EEE10hipError_tPvRmT3_T4_T5_T6_T7_T9_mT8_P12ihipStream_tbDpT10_ENKUlT_T0_E_clISt17integral_constantIbLb0EES15_IbLb1EEEEDaS11_S12_EUlS11_E_NS1_11comp_targetILNS1_3genE10ELNS1_11target_archE1200ELNS1_3gpuE4ELNS1_3repE0EEENS1_30default_config_static_selectorELNS0_4arch9wavefront6targetE1EEEvT1_
; %bb.0:
	.section	.rodata,"a",@progbits
	.p2align	6, 0x0
	.amdhsa_kernel _ZN7rocprim17ROCPRIM_400000_NS6detail17trampoline_kernelINS0_14default_configENS1_25partition_config_selectorILNS1_17partition_subalgoE5ElNS0_10empty_typeEbEEZZNS1_14partition_implILS5_5ELb0ES3_mN6hipcub16HIPCUB_304000_NS21CountingInputIteratorIllEEPS6_NSA_22TransformInputIteratorIb7NonZeroIdEPdlEENS0_5tupleIJPlS6_EEENSJ_IJSD_SD_EEES6_SK_JS6_EEE10hipError_tPvRmT3_T4_T5_T6_T7_T9_mT8_P12ihipStream_tbDpT10_ENKUlT_T0_E_clISt17integral_constantIbLb0EES15_IbLb1EEEEDaS11_S12_EUlS11_E_NS1_11comp_targetILNS1_3genE10ELNS1_11target_archE1200ELNS1_3gpuE4ELNS1_3repE0EEENS1_30default_config_static_selectorELNS0_4arch9wavefront6targetE1EEEvT1_
		.amdhsa_group_segment_fixed_size 0
		.amdhsa_private_segment_fixed_size 0
		.amdhsa_kernarg_size 136
		.amdhsa_user_sgpr_count 6
		.amdhsa_user_sgpr_private_segment_buffer 1
		.amdhsa_user_sgpr_dispatch_ptr 0
		.amdhsa_user_sgpr_queue_ptr 0
		.amdhsa_user_sgpr_kernarg_segment_ptr 1
		.amdhsa_user_sgpr_dispatch_id 0
		.amdhsa_user_sgpr_flat_scratch_init 0
		.amdhsa_user_sgpr_private_segment_size 0
		.amdhsa_uses_dynamic_stack 0
		.amdhsa_system_sgpr_private_segment_wavefront_offset 0
		.amdhsa_system_sgpr_workgroup_id_x 1
		.amdhsa_system_sgpr_workgroup_id_y 0
		.amdhsa_system_sgpr_workgroup_id_z 0
		.amdhsa_system_sgpr_workgroup_info 0
		.amdhsa_system_vgpr_workitem_id 0
		.amdhsa_next_free_vgpr 1
		.amdhsa_next_free_sgpr 0
		.amdhsa_reserve_vcc 0
		.amdhsa_reserve_flat_scratch 0
		.amdhsa_float_round_mode_32 0
		.amdhsa_float_round_mode_16_64 0
		.amdhsa_float_denorm_mode_32 3
		.amdhsa_float_denorm_mode_16_64 3
		.amdhsa_dx10_clamp 1
		.amdhsa_ieee_mode 1
		.amdhsa_fp16_overflow 0
		.amdhsa_exception_fp_ieee_invalid_op 0
		.amdhsa_exception_fp_denorm_src 0
		.amdhsa_exception_fp_ieee_div_zero 0
		.amdhsa_exception_fp_ieee_overflow 0
		.amdhsa_exception_fp_ieee_underflow 0
		.amdhsa_exception_fp_ieee_inexact 0
		.amdhsa_exception_int_div_zero 0
	.end_amdhsa_kernel
	.section	.text._ZN7rocprim17ROCPRIM_400000_NS6detail17trampoline_kernelINS0_14default_configENS1_25partition_config_selectorILNS1_17partition_subalgoE5ElNS0_10empty_typeEbEEZZNS1_14partition_implILS5_5ELb0ES3_mN6hipcub16HIPCUB_304000_NS21CountingInputIteratorIllEEPS6_NSA_22TransformInputIteratorIb7NonZeroIdEPdlEENS0_5tupleIJPlS6_EEENSJ_IJSD_SD_EEES6_SK_JS6_EEE10hipError_tPvRmT3_T4_T5_T6_T7_T9_mT8_P12ihipStream_tbDpT10_ENKUlT_T0_E_clISt17integral_constantIbLb0EES15_IbLb1EEEEDaS11_S12_EUlS11_E_NS1_11comp_targetILNS1_3genE10ELNS1_11target_archE1200ELNS1_3gpuE4ELNS1_3repE0EEENS1_30default_config_static_selectorELNS0_4arch9wavefront6targetE1EEEvT1_,"axG",@progbits,_ZN7rocprim17ROCPRIM_400000_NS6detail17trampoline_kernelINS0_14default_configENS1_25partition_config_selectorILNS1_17partition_subalgoE5ElNS0_10empty_typeEbEEZZNS1_14partition_implILS5_5ELb0ES3_mN6hipcub16HIPCUB_304000_NS21CountingInputIteratorIllEEPS6_NSA_22TransformInputIteratorIb7NonZeroIdEPdlEENS0_5tupleIJPlS6_EEENSJ_IJSD_SD_EEES6_SK_JS6_EEE10hipError_tPvRmT3_T4_T5_T6_T7_T9_mT8_P12ihipStream_tbDpT10_ENKUlT_T0_E_clISt17integral_constantIbLb0EES15_IbLb1EEEEDaS11_S12_EUlS11_E_NS1_11comp_targetILNS1_3genE10ELNS1_11target_archE1200ELNS1_3gpuE4ELNS1_3repE0EEENS1_30default_config_static_selectorELNS0_4arch9wavefront6targetE1EEEvT1_,comdat
.Lfunc_end350:
	.size	_ZN7rocprim17ROCPRIM_400000_NS6detail17trampoline_kernelINS0_14default_configENS1_25partition_config_selectorILNS1_17partition_subalgoE5ElNS0_10empty_typeEbEEZZNS1_14partition_implILS5_5ELb0ES3_mN6hipcub16HIPCUB_304000_NS21CountingInputIteratorIllEEPS6_NSA_22TransformInputIteratorIb7NonZeroIdEPdlEENS0_5tupleIJPlS6_EEENSJ_IJSD_SD_EEES6_SK_JS6_EEE10hipError_tPvRmT3_T4_T5_T6_T7_T9_mT8_P12ihipStream_tbDpT10_ENKUlT_T0_E_clISt17integral_constantIbLb0EES15_IbLb1EEEEDaS11_S12_EUlS11_E_NS1_11comp_targetILNS1_3genE10ELNS1_11target_archE1200ELNS1_3gpuE4ELNS1_3repE0EEENS1_30default_config_static_selectorELNS0_4arch9wavefront6targetE1EEEvT1_, .Lfunc_end350-_ZN7rocprim17ROCPRIM_400000_NS6detail17trampoline_kernelINS0_14default_configENS1_25partition_config_selectorILNS1_17partition_subalgoE5ElNS0_10empty_typeEbEEZZNS1_14partition_implILS5_5ELb0ES3_mN6hipcub16HIPCUB_304000_NS21CountingInputIteratorIllEEPS6_NSA_22TransformInputIteratorIb7NonZeroIdEPdlEENS0_5tupleIJPlS6_EEENSJ_IJSD_SD_EEES6_SK_JS6_EEE10hipError_tPvRmT3_T4_T5_T6_T7_T9_mT8_P12ihipStream_tbDpT10_ENKUlT_T0_E_clISt17integral_constantIbLb0EES15_IbLb1EEEEDaS11_S12_EUlS11_E_NS1_11comp_targetILNS1_3genE10ELNS1_11target_archE1200ELNS1_3gpuE4ELNS1_3repE0EEENS1_30default_config_static_selectorELNS0_4arch9wavefront6targetE1EEEvT1_
                                        ; -- End function
	.set _ZN7rocprim17ROCPRIM_400000_NS6detail17trampoline_kernelINS0_14default_configENS1_25partition_config_selectorILNS1_17partition_subalgoE5ElNS0_10empty_typeEbEEZZNS1_14partition_implILS5_5ELb0ES3_mN6hipcub16HIPCUB_304000_NS21CountingInputIteratorIllEEPS6_NSA_22TransformInputIteratorIb7NonZeroIdEPdlEENS0_5tupleIJPlS6_EEENSJ_IJSD_SD_EEES6_SK_JS6_EEE10hipError_tPvRmT3_T4_T5_T6_T7_T9_mT8_P12ihipStream_tbDpT10_ENKUlT_T0_E_clISt17integral_constantIbLb0EES15_IbLb1EEEEDaS11_S12_EUlS11_E_NS1_11comp_targetILNS1_3genE10ELNS1_11target_archE1200ELNS1_3gpuE4ELNS1_3repE0EEENS1_30default_config_static_selectorELNS0_4arch9wavefront6targetE1EEEvT1_.num_vgpr, 0
	.set _ZN7rocprim17ROCPRIM_400000_NS6detail17trampoline_kernelINS0_14default_configENS1_25partition_config_selectorILNS1_17partition_subalgoE5ElNS0_10empty_typeEbEEZZNS1_14partition_implILS5_5ELb0ES3_mN6hipcub16HIPCUB_304000_NS21CountingInputIteratorIllEEPS6_NSA_22TransformInputIteratorIb7NonZeroIdEPdlEENS0_5tupleIJPlS6_EEENSJ_IJSD_SD_EEES6_SK_JS6_EEE10hipError_tPvRmT3_T4_T5_T6_T7_T9_mT8_P12ihipStream_tbDpT10_ENKUlT_T0_E_clISt17integral_constantIbLb0EES15_IbLb1EEEEDaS11_S12_EUlS11_E_NS1_11comp_targetILNS1_3genE10ELNS1_11target_archE1200ELNS1_3gpuE4ELNS1_3repE0EEENS1_30default_config_static_selectorELNS0_4arch9wavefront6targetE1EEEvT1_.num_agpr, 0
	.set _ZN7rocprim17ROCPRIM_400000_NS6detail17trampoline_kernelINS0_14default_configENS1_25partition_config_selectorILNS1_17partition_subalgoE5ElNS0_10empty_typeEbEEZZNS1_14partition_implILS5_5ELb0ES3_mN6hipcub16HIPCUB_304000_NS21CountingInputIteratorIllEEPS6_NSA_22TransformInputIteratorIb7NonZeroIdEPdlEENS0_5tupleIJPlS6_EEENSJ_IJSD_SD_EEES6_SK_JS6_EEE10hipError_tPvRmT3_T4_T5_T6_T7_T9_mT8_P12ihipStream_tbDpT10_ENKUlT_T0_E_clISt17integral_constantIbLb0EES15_IbLb1EEEEDaS11_S12_EUlS11_E_NS1_11comp_targetILNS1_3genE10ELNS1_11target_archE1200ELNS1_3gpuE4ELNS1_3repE0EEENS1_30default_config_static_selectorELNS0_4arch9wavefront6targetE1EEEvT1_.numbered_sgpr, 0
	.set _ZN7rocprim17ROCPRIM_400000_NS6detail17trampoline_kernelINS0_14default_configENS1_25partition_config_selectorILNS1_17partition_subalgoE5ElNS0_10empty_typeEbEEZZNS1_14partition_implILS5_5ELb0ES3_mN6hipcub16HIPCUB_304000_NS21CountingInputIteratorIllEEPS6_NSA_22TransformInputIteratorIb7NonZeroIdEPdlEENS0_5tupleIJPlS6_EEENSJ_IJSD_SD_EEES6_SK_JS6_EEE10hipError_tPvRmT3_T4_T5_T6_T7_T9_mT8_P12ihipStream_tbDpT10_ENKUlT_T0_E_clISt17integral_constantIbLb0EES15_IbLb1EEEEDaS11_S12_EUlS11_E_NS1_11comp_targetILNS1_3genE10ELNS1_11target_archE1200ELNS1_3gpuE4ELNS1_3repE0EEENS1_30default_config_static_selectorELNS0_4arch9wavefront6targetE1EEEvT1_.num_named_barrier, 0
	.set _ZN7rocprim17ROCPRIM_400000_NS6detail17trampoline_kernelINS0_14default_configENS1_25partition_config_selectorILNS1_17partition_subalgoE5ElNS0_10empty_typeEbEEZZNS1_14partition_implILS5_5ELb0ES3_mN6hipcub16HIPCUB_304000_NS21CountingInputIteratorIllEEPS6_NSA_22TransformInputIteratorIb7NonZeroIdEPdlEENS0_5tupleIJPlS6_EEENSJ_IJSD_SD_EEES6_SK_JS6_EEE10hipError_tPvRmT3_T4_T5_T6_T7_T9_mT8_P12ihipStream_tbDpT10_ENKUlT_T0_E_clISt17integral_constantIbLb0EES15_IbLb1EEEEDaS11_S12_EUlS11_E_NS1_11comp_targetILNS1_3genE10ELNS1_11target_archE1200ELNS1_3gpuE4ELNS1_3repE0EEENS1_30default_config_static_selectorELNS0_4arch9wavefront6targetE1EEEvT1_.private_seg_size, 0
	.set _ZN7rocprim17ROCPRIM_400000_NS6detail17trampoline_kernelINS0_14default_configENS1_25partition_config_selectorILNS1_17partition_subalgoE5ElNS0_10empty_typeEbEEZZNS1_14partition_implILS5_5ELb0ES3_mN6hipcub16HIPCUB_304000_NS21CountingInputIteratorIllEEPS6_NSA_22TransformInputIteratorIb7NonZeroIdEPdlEENS0_5tupleIJPlS6_EEENSJ_IJSD_SD_EEES6_SK_JS6_EEE10hipError_tPvRmT3_T4_T5_T6_T7_T9_mT8_P12ihipStream_tbDpT10_ENKUlT_T0_E_clISt17integral_constantIbLb0EES15_IbLb1EEEEDaS11_S12_EUlS11_E_NS1_11comp_targetILNS1_3genE10ELNS1_11target_archE1200ELNS1_3gpuE4ELNS1_3repE0EEENS1_30default_config_static_selectorELNS0_4arch9wavefront6targetE1EEEvT1_.uses_vcc, 0
	.set _ZN7rocprim17ROCPRIM_400000_NS6detail17trampoline_kernelINS0_14default_configENS1_25partition_config_selectorILNS1_17partition_subalgoE5ElNS0_10empty_typeEbEEZZNS1_14partition_implILS5_5ELb0ES3_mN6hipcub16HIPCUB_304000_NS21CountingInputIteratorIllEEPS6_NSA_22TransformInputIteratorIb7NonZeroIdEPdlEENS0_5tupleIJPlS6_EEENSJ_IJSD_SD_EEES6_SK_JS6_EEE10hipError_tPvRmT3_T4_T5_T6_T7_T9_mT8_P12ihipStream_tbDpT10_ENKUlT_T0_E_clISt17integral_constantIbLb0EES15_IbLb1EEEEDaS11_S12_EUlS11_E_NS1_11comp_targetILNS1_3genE10ELNS1_11target_archE1200ELNS1_3gpuE4ELNS1_3repE0EEENS1_30default_config_static_selectorELNS0_4arch9wavefront6targetE1EEEvT1_.uses_flat_scratch, 0
	.set _ZN7rocprim17ROCPRIM_400000_NS6detail17trampoline_kernelINS0_14default_configENS1_25partition_config_selectorILNS1_17partition_subalgoE5ElNS0_10empty_typeEbEEZZNS1_14partition_implILS5_5ELb0ES3_mN6hipcub16HIPCUB_304000_NS21CountingInputIteratorIllEEPS6_NSA_22TransformInputIteratorIb7NonZeroIdEPdlEENS0_5tupleIJPlS6_EEENSJ_IJSD_SD_EEES6_SK_JS6_EEE10hipError_tPvRmT3_T4_T5_T6_T7_T9_mT8_P12ihipStream_tbDpT10_ENKUlT_T0_E_clISt17integral_constantIbLb0EES15_IbLb1EEEEDaS11_S12_EUlS11_E_NS1_11comp_targetILNS1_3genE10ELNS1_11target_archE1200ELNS1_3gpuE4ELNS1_3repE0EEENS1_30default_config_static_selectorELNS0_4arch9wavefront6targetE1EEEvT1_.has_dyn_sized_stack, 0
	.set _ZN7rocprim17ROCPRIM_400000_NS6detail17trampoline_kernelINS0_14default_configENS1_25partition_config_selectorILNS1_17partition_subalgoE5ElNS0_10empty_typeEbEEZZNS1_14partition_implILS5_5ELb0ES3_mN6hipcub16HIPCUB_304000_NS21CountingInputIteratorIllEEPS6_NSA_22TransformInputIteratorIb7NonZeroIdEPdlEENS0_5tupleIJPlS6_EEENSJ_IJSD_SD_EEES6_SK_JS6_EEE10hipError_tPvRmT3_T4_T5_T6_T7_T9_mT8_P12ihipStream_tbDpT10_ENKUlT_T0_E_clISt17integral_constantIbLb0EES15_IbLb1EEEEDaS11_S12_EUlS11_E_NS1_11comp_targetILNS1_3genE10ELNS1_11target_archE1200ELNS1_3gpuE4ELNS1_3repE0EEENS1_30default_config_static_selectorELNS0_4arch9wavefront6targetE1EEEvT1_.has_recursion, 0
	.set _ZN7rocprim17ROCPRIM_400000_NS6detail17trampoline_kernelINS0_14default_configENS1_25partition_config_selectorILNS1_17partition_subalgoE5ElNS0_10empty_typeEbEEZZNS1_14partition_implILS5_5ELb0ES3_mN6hipcub16HIPCUB_304000_NS21CountingInputIteratorIllEEPS6_NSA_22TransformInputIteratorIb7NonZeroIdEPdlEENS0_5tupleIJPlS6_EEENSJ_IJSD_SD_EEES6_SK_JS6_EEE10hipError_tPvRmT3_T4_T5_T6_T7_T9_mT8_P12ihipStream_tbDpT10_ENKUlT_T0_E_clISt17integral_constantIbLb0EES15_IbLb1EEEEDaS11_S12_EUlS11_E_NS1_11comp_targetILNS1_3genE10ELNS1_11target_archE1200ELNS1_3gpuE4ELNS1_3repE0EEENS1_30default_config_static_selectorELNS0_4arch9wavefront6targetE1EEEvT1_.has_indirect_call, 0
	.section	.AMDGPU.csdata,"",@progbits
; Kernel info:
; codeLenInByte = 0
; TotalNumSgprs: 4
; NumVgprs: 0
; ScratchSize: 0
; MemoryBound: 0
; FloatMode: 240
; IeeeMode: 1
; LDSByteSize: 0 bytes/workgroup (compile time only)
; SGPRBlocks: 0
; VGPRBlocks: 0
; NumSGPRsForWavesPerEU: 4
; NumVGPRsForWavesPerEU: 1
; Occupancy: 10
; WaveLimiterHint : 0
; COMPUTE_PGM_RSRC2:SCRATCH_EN: 0
; COMPUTE_PGM_RSRC2:USER_SGPR: 6
; COMPUTE_PGM_RSRC2:TRAP_HANDLER: 0
; COMPUTE_PGM_RSRC2:TGID_X_EN: 1
; COMPUTE_PGM_RSRC2:TGID_Y_EN: 0
; COMPUTE_PGM_RSRC2:TGID_Z_EN: 0
; COMPUTE_PGM_RSRC2:TIDIG_COMP_CNT: 0
	.section	.text._ZN7rocprim17ROCPRIM_400000_NS6detail17trampoline_kernelINS0_14default_configENS1_25partition_config_selectorILNS1_17partition_subalgoE5ElNS0_10empty_typeEbEEZZNS1_14partition_implILS5_5ELb0ES3_mN6hipcub16HIPCUB_304000_NS21CountingInputIteratorIllEEPS6_NSA_22TransformInputIteratorIb7NonZeroIdEPdlEENS0_5tupleIJPlS6_EEENSJ_IJSD_SD_EEES6_SK_JS6_EEE10hipError_tPvRmT3_T4_T5_T6_T7_T9_mT8_P12ihipStream_tbDpT10_ENKUlT_T0_E_clISt17integral_constantIbLb0EES15_IbLb1EEEEDaS11_S12_EUlS11_E_NS1_11comp_targetILNS1_3genE9ELNS1_11target_archE1100ELNS1_3gpuE3ELNS1_3repE0EEENS1_30default_config_static_selectorELNS0_4arch9wavefront6targetE1EEEvT1_,"axG",@progbits,_ZN7rocprim17ROCPRIM_400000_NS6detail17trampoline_kernelINS0_14default_configENS1_25partition_config_selectorILNS1_17partition_subalgoE5ElNS0_10empty_typeEbEEZZNS1_14partition_implILS5_5ELb0ES3_mN6hipcub16HIPCUB_304000_NS21CountingInputIteratorIllEEPS6_NSA_22TransformInputIteratorIb7NonZeroIdEPdlEENS0_5tupleIJPlS6_EEENSJ_IJSD_SD_EEES6_SK_JS6_EEE10hipError_tPvRmT3_T4_T5_T6_T7_T9_mT8_P12ihipStream_tbDpT10_ENKUlT_T0_E_clISt17integral_constantIbLb0EES15_IbLb1EEEEDaS11_S12_EUlS11_E_NS1_11comp_targetILNS1_3genE9ELNS1_11target_archE1100ELNS1_3gpuE3ELNS1_3repE0EEENS1_30default_config_static_selectorELNS0_4arch9wavefront6targetE1EEEvT1_,comdat
	.protected	_ZN7rocprim17ROCPRIM_400000_NS6detail17trampoline_kernelINS0_14default_configENS1_25partition_config_selectorILNS1_17partition_subalgoE5ElNS0_10empty_typeEbEEZZNS1_14partition_implILS5_5ELb0ES3_mN6hipcub16HIPCUB_304000_NS21CountingInputIteratorIllEEPS6_NSA_22TransformInputIteratorIb7NonZeroIdEPdlEENS0_5tupleIJPlS6_EEENSJ_IJSD_SD_EEES6_SK_JS6_EEE10hipError_tPvRmT3_T4_T5_T6_T7_T9_mT8_P12ihipStream_tbDpT10_ENKUlT_T0_E_clISt17integral_constantIbLb0EES15_IbLb1EEEEDaS11_S12_EUlS11_E_NS1_11comp_targetILNS1_3genE9ELNS1_11target_archE1100ELNS1_3gpuE3ELNS1_3repE0EEENS1_30default_config_static_selectorELNS0_4arch9wavefront6targetE1EEEvT1_ ; -- Begin function _ZN7rocprim17ROCPRIM_400000_NS6detail17trampoline_kernelINS0_14default_configENS1_25partition_config_selectorILNS1_17partition_subalgoE5ElNS0_10empty_typeEbEEZZNS1_14partition_implILS5_5ELb0ES3_mN6hipcub16HIPCUB_304000_NS21CountingInputIteratorIllEEPS6_NSA_22TransformInputIteratorIb7NonZeroIdEPdlEENS0_5tupleIJPlS6_EEENSJ_IJSD_SD_EEES6_SK_JS6_EEE10hipError_tPvRmT3_T4_T5_T6_T7_T9_mT8_P12ihipStream_tbDpT10_ENKUlT_T0_E_clISt17integral_constantIbLb0EES15_IbLb1EEEEDaS11_S12_EUlS11_E_NS1_11comp_targetILNS1_3genE9ELNS1_11target_archE1100ELNS1_3gpuE3ELNS1_3repE0EEENS1_30default_config_static_selectorELNS0_4arch9wavefront6targetE1EEEvT1_
	.globl	_ZN7rocprim17ROCPRIM_400000_NS6detail17trampoline_kernelINS0_14default_configENS1_25partition_config_selectorILNS1_17partition_subalgoE5ElNS0_10empty_typeEbEEZZNS1_14partition_implILS5_5ELb0ES3_mN6hipcub16HIPCUB_304000_NS21CountingInputIteratorIllEEPS6_NSA_22TransformInputIteratorIb7NonZeroIdEPdlEENS0_5tupleIJPlS6_EEENSJ_IJSD_SD_EEES6_SK_JS6_EEE10hipError_tPvRmT3_T4_T5_T6_T7_T9_mT8_P12ihipStream_tbDpT10_ENKUlT_T0_E_clISt17integral_constantIbLb0EES15_IbLb1EEEEDaS11_S12_EUlS11_E_NS1_11comp_targetILNS1_3genE9ELNS1_11target_archE1100ELNS1_3gpuE3ELNS1_3repE0EEENS1_30default_config_static_selectorELNS0_4arch9wavefront6targetE1EEEvT1_
	.p2align	8
	.type	_ZN7rocprim17ROCPRIM_400000_NS6detail17trampoline_kernelINS0_14default_configENS1_25partition_config_selectorILNS1_17partition_subalgoE5ElNS0_10empty_typeEbEEZZNS1_14partition_implILS5_5ELb0ES3_mN6hipcub16HIPCUB_304000_NS21CountingInputIteratorIllEEPS6_NSA_22TransformInputIteratorIb7NonZeroIdEPdlEENS0_5tupleIJPlS6_EEENSJ_IJSD_SD_EEES6_SK_JS6_EEE10hipError_tPvRmT3_T4_T5_T6_T7_T9_mT8_P12ihipStream_tbDpT10_ENKUlT_T0_E_clISt17integral_constantIbLb0EES15_IbLb1EEEEDaS11_S12_EUlS11_E_NS1_11comp_targetILNS1_3genE9ELNS1_11target_archE1100ELNS1_3gpuE3ELNS1_3repE0EEENS1_30default_config_static_selectorELNS0_4arch9wavefront6targetE1EEEvT1_,@function
_ZN7rocprim17ROCPRIM_400000_NS6detail17trampoline_kernelINS0_14default_configENS1_25partition_config_selectorILNS1_17partition_subalgoE5ElNS0_10empty_typeEbEEZZNS1_14partition_implILS5_5ELb0ES3_mN6hipcub16HIPCUB_304000_NS21CountingInputIteratorIllEEPS6_NSA_22TransformInputIteratorIb7NonZeroIdEPdlEENS0_5tupleIJPlS6_EEENSJ_IJSD_SD_EEES6_SK_JS6_EEE10hipError_tPvRmT3_T4_T5_T6_T7_T9_mT8_P12ihipStream_tbDpT10_ENKUlT_T0_E_clISt17integral_constantIbLb0EES15_IbLb1EEEEDaS11_S12_EUlS11_E_NS1_11comp_targetILNS1_3genE9ELNS1_11target_archE1100ELNS1_3gpuE3ELNS1_3repE0EEENS1_30default_config_static_selectorELNS0_4arch9wavefront6targetE1EEEvT1_: ; @_ZN7rocprim17ROCPRIM_400000_NS6detail17trampoline_kernelINS0_14default_configENS1_25partition_config_selectorILNS1_17partition_subalgoE5ElNS0_10empty_typeEbEEZZNS1_14partition_implILS5_5ELb0ES3_mN6hipcub16HIPCUB_304000_NS21CountingInputIteratorIllEEPS6_NSA_22TransformInputIteratorIb7NonZeroIdEPdlEENS0_5tupleIJPlS6_EEENSJ_IJSD_SD_EEES6_SK_JS6_EEE10hipError_tPvRmT3_T4_T5_T6_T7_T9_mT8_P12ihipStream_tbDpT10_ENKUlT_T0_E_clISt17integral_constantIbLb0EES15_IbLb1EEEEDaS11_S12_EUlS11_E_NS1_11comp_targetILNS1_3genE9ELNS1_11target_archE1100ELNS1_3gpuE3ELNS1_3repE0EEENS1_30default_config_static_selectorELNS0_4arch9wavefront6targetE1EEEvT1_
; %bb.0:
	.section	.rodata,"a",@progbits
	.p2align	6, 0x0
	.amdhsa_kernel _ZN7rocprim17ROCPRIM_400000_NS6detail17trampoline_kernelINS0_14default_configENS1_25partition_config_selectorILNS1_17partition_subalgoE5ElNS0_10empty_typeEbEEZZNS1_14partition_implILS5_5ELb0ES3_mN6hipcub16HIPCUB_304000_NS21CountingInputIteratorIllEEPS6_NSA_22TransformInputIteratorIb7NonZeroIdEPdlEENS0_5tupleIJPlS6_EEENSJ_IJSD_SD_EEES6_SK_JS6_EEE10hipError_tPvRmT3_T4_T5_T6_T7_T9_mT8_P12ihipStream_tbDpT10_ENKUlT_T0_E_clISt17integral_constantIbLb0EES15_IbLb1EEEEDaS11_S12_EUlS11_E_NS1_11comp_targetILNS1_3genE9ELNS1_11target_archE1100ELNS1_3gpuE3ELNS1_3repE0EEENS1_30default_config_static_selectorELNS0_4arch9wavefront6targetE1EEEvT1_
		.amdhsa_group_segment_fixed_size 0
		.amdhsa_private_segment_fixed_size 0
		.amdhsa_kernarg_size 136
		.amdhsa_user_sgpr_count 6
		.amdhsa_user_sgpr_private_segment_buffer 1
		.amdhsa_user_sgpr_dispatch_ptr 0
		.amdhsa_user_sgpr_queue_ptr 0
		.amdhsa_user_sgpr_kernarg_segment_ptr 1
		.amdhsa_user_sgpr_dispatch_id 0
		.amdhsa_user_sgpr_flat_scratch_init 0
		.amdhsa_user_sgpr_private_segment_size 0
		.amdhsa_uses_dynamic_stack 0
		.amdhsa_system_sgpr_private_segment_wavefront_offset 0
		.amdhsa_system_sgpr_workgroup_id_x 1
		.amdhsa_system_sgpr_workgroup_id_y 0
		.amdhsa_system_sgpr_workgroup_id_z 0
		.amdhsa_system_sgpr_workgroup_info 0
		.amdhsa_system_vgpr_workitem_id 0
		.amdhsa_next_free_vgpr 1
		.amdhsa_next_free_sgpr 0
		.amdhsa_reserve_vcc 0
		.amdhsa_reserve_flat_scratch 0
		.amdhsa_float_round_mode_32 0
		.amdhsa_float_round_mode_16_64 0
		.amdhsa_float_denorm_mode_32 3
		.amdhsa_float_denorm_mode_16_64 3
		.amdhsa_dx10_clamp 1
		.amdhsa_ieee_mode 1
		.amdhsa_fp16_overflow 0
		.amdhsa_exception_fp_ieee_invalid_op 0
		.amdhsa_exception_fp_denorm_src 0
		.amdhsa_exception_fp_ieee_div_zero 0
		.amdhsa_exception_fp_ieee_overflow 0
		.amdhsa_exception_fp_ieee_underflow 0
		.amdhsa_exception_fp_ieee_inexact 0
		.amdhsa_exception_int_div_zero 0
	.end_amdhsa_kernel
	.section	.text._ZN7rocprim17ROCPRIM_400000_NS6detail17trampoline_kernelINS0_14default_configENS1_25partition_config_selectorILNS1_17partition_subalgoE5ElNS0_10empty_typeEbEEZZNS1_14partition_implILS5_5ELb0ES3_mN6hipcub16HIPCUB_304000_NS21CountingInputIteratorIllEEPS6_NSA_22TransformInputIteratorIb7NonZeroIdEPdlEENS0_5tupleIJPlS6_EEENSJ_IJSD_SD_EEES6_SK_JS6_EEE10hipError_tPvRmT3_T4_T5_T6_T7_T9_mT8_P12ihipStream_tbDpT10_ENKUlT_T0_E_clISt17integral_constantIbLb0EES15_IbLb1EEEEDaS11_S12_EUlS11_E_NS1_11comp_targetILNS1_3genE9ELNS1_11target_archE1100ELNS1_3gpuE3ELNS1_3repE0EEENS1_30default_config_static_selectorELNS0_4arch9wavefront6targetE1EEEvT1_,"axG",@progbits,_ZN7rocprim17ROCPRIM_400000_NS6detail17trampoline_kernelINS0_14default_configENS1_25partition_config_selectorILNS1_17partition_subalgoE5ElNS0_10empty_typeEbEEZZNS1_14partition_implILS5_5ELb0ES3_mN6hipcub16HIPCUB_304000_NS21CountingInputIteratorIllEEPS6_NSA_22TransformInputIteratorIb7NonZeroIdEPdlEENS0_5tupleIJPlS6_EEENSJ_IJSD_SD_EEES6_SK_JS6_EEE10hipError_tPvRmT3_T4_T5_T6_T7_T9_mT8_P12ihipStream_tbDpT10_ENKUlT_T0_E_clISt17integral_constantIbLb0EES15_IbLb1EEEEDaS11_S12_EUlS11_E_NS1_11comp_targetILNS1_3genE9ELNS1_11target_archE1100ELNS1_3gpuE3ELNS1_3repE0EEENS1_30default_config_static_selectorELNS0_4arch9wavefront6targetE1EEEvT1_,comdat
.Lfunc_end351:
	.size	_ZN7rocprim17ROCPRIM_400000_NS6detail17trampoline_kernelINS0_14default_configENS1_25partition_config_selectorILNS1_17partition_subalgoE5ElNS0_10empty_typeEbEEZZNS1_14partition_implILS5_5ELb0ES3_mN6hipcub16HIPCUB_304000_NS21CountingInputIteratorIllEEPS6_NSA_22TransformInputIteratorIb7NonZeroIdEPdlEENS0_5tupleIJPlS6_EEENSJ_IJSD_SD_EEES6_SK_JS6_EEE10hipError_tPvRmT3_T4_T5_T6_T7_T9_mT8_P12ihipStream_tbDpT10_ENKUlT_T0_E_clISt17integral_constantIbLb0EES15_IbLb1EEEEDaS11_S12_EUlS11_E_NS1_11comp_targetILNS1_3genE9ELNS1_11target_archE1100ELNS1_3gpuE3ELNS1_3repE0EEENS1_30default_config_static_selectorELNS0_4arch9wavefront6targetE1EEEvT1_, .Lfunc_end351-_ZN7rocprim17ROCPRIM_400000_NS6detail17trampoline_kernelINS0_14default_configENS1_25partition_config_selectorILNS1_17partition_subalgoE5ElNS0_10empty_typeEbEEZZNS1_14partition_implILS5_5ELb0ES3_mN6hipcub16HIPCUB_304000_NS21CountingInputIteratorIllEEPS6_NSA_22TransformInputIteratorIb7NonZeroIdEPdlEENS0_5tupleIJPlS6_EEENSJ_IJSD_SD_EEES6_SK_JS6_EEE10hipError_tPvRmT3_T4_T5_T6_T7_T9_mT8_P12ihipStream_tbDpT10_ENKUlT_T0_E_clISt17integral_constantIbLb0EES15_IbLb1EEEEDaS11_S12_EUlS11_E_NS1_11comp_targetILNS1_3genE9ELNS1_11target_archE1100ELNS1_3gpuE3ELNS1_3repE0EEENS1_30default_config_static_selectorELNS0_4arch9wavefront6targetE1EEEvT1_
                                        ; -- End function
	.set _ZN7rocprim17ROCPRIM_400000_NS6detail17trampoline_kernelINS0_14default_configENS1_25partition_config_selectorILNS1_17partition_subalgoE5ElNS0_10empty_typeEbEEZZNS1_14partition_implILS5_5ELb0ES3_mN6hipcub16HIPCUB_304000_NS21CountingInputIteratorIllEEPS6_NSA_22TransformInputIteratorIb7NonZeroIdEPdlEENS0_5tupleIJPlS6_EEENSJ_IJSD_SD_EEES6_SK_JS6_EEE10hipError_tPvRmT3_T4_T5_T6_T7_T9_mT8_P12ihipStream_tbDpT10_ENKUlT_T0_E_clISt17integral_constantIbLb0EES15_IbLb1EEEEDaS11_S12_EUlS11_E_NS1_11comp_targetILNS1_3genE9ELNS1_11target_archE1100ELNS1_3gpuE3ELNS1_3repE0EEENS1_30default_config_static_selectorELNS0_4arch9wavefront6targetE1EEEvT1_.num_vgpr, 0
	.set _ZN7rocprim17ROCPRIM_400000_NS6detail17trampoline_kernelINS0_14default_configENS1_25partition_config_selectorILNS1_17partition_subalgoE5ElNS0_10empty_typeEbEEZZNS1_14partition_implILS5_5ELb0ES3_mN6hipcub16HIPCUB_304000_NS21CountingInputIteratorIllEEPS6_NSA_22TransformInputIteratorIb7NonZeroIdEPdlEENS0_5tupleIJPlS6_EEENSJ_IJSD_SD_EEES6_SK_JS6_EEE10hipError_tPvRmT3_T4_T5_T6_T7_T9_mT8_P12ihipStream_tbDpT10_ENKUlT_T0_E_clISt17integral_constantIbLb0EES15_IbLb1EEEEDaS11_S12_EUlS11_E_NS1_11comp_targetILNS1_3genE9ELNS1_11target_archE1100ELNS1_3gpuE3ELNS1_3repE0EEENS1_30default_config_static_selectorELNS0_4arch9wavefront6targetE1EEEvT1_.num_agpr, 0
	.set _ZN7rocprim17ROCPRIM_400000_NS6detail17trampoline_kernelINS0_14default_configENS1_25partition_config_selectorILNS1_17partition_subalgoE5ElNS0_10empty_typeEbEEZZNS1_14partition_implILS5_5ELb0ES3_mN6hipcub16HIPCUB_304000_NS21CountingInputIteratorIllEEPS6_NSA_22TransformInputIteratorIb7NonZeroIdEPdlEENS0_5tupleIJPlS6_EEENSJ_IJSD_SD_EEES6_SK_JS6_EEE10hipError_tPvRmT3_T4_T5_T6_T7_T9_mT8_P12ihipStream_tbDpT10_ENKUlT_T0_E_clISt17integral_constantIbLb0EES15_IbLb1EEEEDaS11_S12_EUlS11_E_NS1_11comp_targetILNS1_3genE9ELNS1_11target_archE1100ELNS1_3gpuE3ELNS1_3repE0EEENS1_30default_config_static_selectorELNS0_4arch9wavefront6targetE1EEEvT1_.numbered_sgpr, 0
	.set _ZN7rocprim17ROCPRIM_400000_NS6detail17trampoline_kernelINS0_14default_configENS1_25partition_config_selectorILNS1_17partition_subalgoE5ElNS0_10empty_typeEbEEZZNS1_14partition_implILS5_5ELb0ES3_mN6hipcub16HIPCUB_304000_NS21CountingInputIteratorIllEEPS6_NSA_22TransformInputIteratorIb7NonZeroIdEPdlEENS0_5tupleIJPlS6_EEENSJ_IJSD_SD_EEES6_SK_JS6_EEE10hipError_tPvRmT3_T4_T5_T6_T7_T9_mT8_P12ihipStream_tbDpT10_ENKUlT_T0_E_clISt17integral_constantIbLb0EES15_IbLb1EEEEDaS11_S12_EUlS11_E_NS1_11comp_targetILNS1_3genE9ELNS1_11target_archE1100ELNS1_3gpuE3ELNS1_3repE0EEENS1_30default_config_static_selectorELNS0_4arch9wavefront6targetE1EEEvT1_.num_named_barrier, 0
	.set _ZN7rocprim17ROCPRIM_400000_NS6detail17trampoline_kernelINS0_14default_configENS1_25partition_config_selectorILNS1_17partition_subalgoE5ElNS0_10empty_typeEbEEZZNS1_14partition_implILS5_5ELb0ES3_mN6hipcub16HIPCUB_304000_NS21CountingInputIteratorIllEEPS6_NSA_22TransformInputIteratorIb7NonZeroIdEPdlEENS0_5tupleIJPlS6_EEENSJ_IJSD_SD_EEES6_SK_JS6_EEE10hipError_tPvRmT3_T4_T5_T6_T7_T9_mT8_P12ihipStream_tbDpT10_ENKUlT_T0_E_clISt17integral_constantIbLb0EES15_IbLb1EEEEDaS11_S12_EUlS11_E_NS1_11comp_targetILNS1_3genE9ELNS1_11target_archE1100ELNS1_3gpuE3ELNS1_3repE0EEENS1_30default_config_static_selectorELNS0_4arch9wavefront6targetE1EEEvT1_.private_seg_size, 0
	.set _ZN7rocprim17ROCPRIM_400000_NS6detail17trampoline_kernelINS0_14default_configENS1_25partition_config_selectorILNS1_17partition_subalgoE5ElNS0_10empty_typeEbEEZZNS1_14partition_implILS5_5ELb0ES3_mN6hipcub16HIPCUB_304000_NS21CountingInputIteratorIllEEPS6_NSA_22TransformInputIteratorIb7NonZeroIdEPdlEENS0_5tupleIJPlS6_EEENSJ_IJSD_SD_EEES6_SK_JS6_EEE10hipError_tPvRmT3_T4_T5_T6_T7_T9_mT8_P12ihipStream_tbDpT10_ENKUlT_T0_E_clISt17integral_constantIbLb0EES15_IbLb1EEEEDaS11_S12_EUlS11_E_NS1_11comp_targetILNS1_3genE9ELNS1_11target_archE1100ELNS1_3gpuE3ELNS1_3repE0EEENS1_30default_config_static_selectorELNS0_4arch9wavefront6targetE1EEEvT1_.uses_vcc, 0
	.set _ZN7rocprim17ROCPRIM_400000_NS6detail17trampoline_kernelINS0_14default_configENS1_25partition_config_selectorILNS1_17partition_subalgoE5ElNS0_10empty_typeEbEEZZNS1_14partition_implILS5_5ELb0ES3_mN6hipcub16HIPCUB_304000_NS21CountingInputIteratorIllEEPS6_NSA_22TransformInputIteratorIb7NonZeroIdEPdlEENS0_5tupleIJPlS6_EEENSJ_IJSD_SD_EEES6_SK_JS6_EEE10hipError_tPvRmT3_T4_T5_T6_T7_T9_mT8_P12ihipStream_tbDpT10_ENKUlT_T0_E_clISt17integral_constantIbLb0EES15_IbLb1EEEEDaS11_S12_EUlS11_E_NS1_11comp_targetILNS1_3genE9ELNS1_11target_archE1100ELNS1_3gpuE3ELNS1_3repE0EEENS1_30default_config_static_selectorELNS0_4arch9wavefront6targetE1EEEvT1_.uses_flat_scratch, 0
	.set _ZN7rocprim17ROCPRIM_400000_NS6detail17trampoline_kernelINS0_14default_configENS1_25partition_config_selectorILNS1_17partition_subalgoE5ElNS0_10empty_typeEbEEZZNS1_14partition_implILS5_5ELb0ES3_mN6hipcub16HIPCUB_304000_NS21CountingInputIteratorIllEEPS6_NSA_22TransformInputIteratorIb7NonZeroIdEPdlEENS0_5tupleIJPlS6_EEENSJ_IJSD_SD_EEES6_SK_JS6_EEE10hipError_tPvRmT3_T4_T5_T6_T7_T9_mT8_P12ihipStream_tbDpT10_ENKUlT_T0_E_clISt17integral_constantIbLb0EES15_IbLb1EEEEDaS11_S12_EUlS11_E_NS1_11comp_targetILNS1_3genE9ELNS1_11target_archE1100ELNS1_3gpuE3ELNS1_3repE0EEENS1_30default_config_static_selectorELNS0_4arch9wavefront6targetE1EEEvT1_.has_dyn_sized_stack, 0
	.set _ZN7rocprim17ROCPRIM_400000_NS6detail17trampoline_kernelINS0_14default_configENS1_25partition_config_selectorILNS1_17partition_subalgoE5ElNS0_10empty_typeEbEEZZNS1_14partition_implILS5_5ELb0ES3_mN6hipcub16HIPCUB_304000_NS21CountingInputIteratorIllEEPS6_NSA_22TransformInputIteratorIb7NonZeroIdEPdlEENS0_5tupleIJPlS6_EEENSJ_IJSD_SD_EEES6_SK_JS6_EEE10hipError_tPvRmT3_T4_T5_T6_T7_T9_mT8_P12ihipStream_tbDpT10_ENKUlT_T0_E_clISt17integral_constantIbLb0EES15_IbLb1EEEEDaS11_S12_EUlS11_E_NS1_11comp_targetILNS1_3genE9ELNS1_11target_archE1100ELNS1_3gpuE3ELNS1_3repE0EEENS1_30default_config_static_selectorELNS0_4arch9wavefront6targetE1EEEvT1_.has_recursion, 0
	.set _ZN7rocprim17ROCPRIM_400000_NS6detail17trampoline_kernelINS0_14default_configENS1_25partition_config_selectorILNS1_17partition_subalgoE5ElNS0_10empty_typeEbEEZZNS1_14partition_implILS5_5ELb0ES3_mN6hipcub16HIPCUB_304000_NS21CountingInputIteratorIllEEPS6_NSA_22TransformInputIteratorIb7NonZeroIdEPdlEENS0_5tupleIJPlS6_EEENSJ_IJSD_SD_EEES6_SK_JS6_EEE10hipError_tPvRmT3_T4_T5_T6_T7_T9_mT8_P12ihipStream_tbDpT10_ENKUlT_T0_E_clISt17integral_constantIbLb0EES15_IbLb1EEEEDaS11_S12_EUlS11_E_NS1_11comp_targetILNS1_3genE9ELNS1_11target_archE1100ELNS1_3gpuE3ELNS1_3repE0EEENS1_30default_config_static_selectorELNS0_4arch9wavefront6targetE1EEEvT1_.has_indirect_call, 0
	.section	.AMDGPU.csdata,"",@progbits
; Kernel info:
; codeLenInByte = 0
; TotalNumSgprs: 4
; NumVgprs: 0
; ScratchSize: 0
; MemoryBound: 0
; FloatMode: 240
; IeeeMode: 1
; LDSByteSize: 0 bytes/workgroup (compile time only)
; SGPRBlocks: 0
; VGPRBlocks: 0
; NumSGPRsForWavesPerEU: 4
; NumVGPRsForWavesPerEU: 1
; Occupancy: 10
; WaveLimiterHint : 0
; COMPUTE_PGM_RSRC2:SCRATCH_EN: 0
; COMPUTE_PGM_RSRC2:USER_SGPR: 6
; COMPUTE_PGM_RSRC2:TRAP_HANDLER: 0
; COMPUTE_PGM_RSRC2:TGID_X_EN: 1
; COMPUTE_PGM_RSRC2:TGID_Y_EN: 0
; COMPUTE_PGM_RSRC2:TGID_Z_EN: 0
; COMPUTE_PGM_RSRC2:TIDIG_COMP_CNT: 0
	.section	.text._ZN7rocprim17ROCPRIM_400000_NS6detail17trampoline_kernelINS0_14default_configENS1_25partition_config_selectorILNS1_17partition_subalgoE5ElNS0_10empty_typeEbEEZZNS1_14partition_implILS5_5ELb0ES3_mN6hipcub16HIPCUB_304000_NS21CountingInputIteratorIllEEPS6_NSA_22TransformInputIteratorIb7NonZeroIdEPdlEENS0_5tupleIJPlS6_EEENSJ_IJSD_SD_EEES6_SK_JS6_EEE10hipError_tPvRmT3_T4_T5_T6_T7_T9_mT8_P12ihipStream_tbDpT10_ENKUlT_T0_E_clISt17integral_constantIbLb0EES15_IbLb1EEEEDaS11_S12_EUlS11_E_NS1_11comp_targetILNS1_3genE8ELNS1_11target_archE1030ELNS1_3gpuE2ELNS1_3repE0EEENS1_30default_config_static_selectorELNS0_4arch9wavefront6targetE1EEEvT1_,"axG",@progbits,_ZN7rocprim17ROCPRIM_400000_NS6detail17trampoline_kernelINS0_14default_configENS1_25partition_config_selectorILNS1_17partition_subalgoE5ElNS0_10empty_typeEbEEZZNS1_14partition_implILS5_5ELb0ES3_mN6hipcub16HIPCUB_304000_NS21CountingInputIteratorIllEEPS6_NSA_22TransformInputIteratorIb7NonZeroIdEPdlEENS0_5tupleIJPlS6_EEENSJ_IJSD_SD_EEES6_SK_JS6_EEE10hipError_tPvRmT3_T4_T5_T6_T7_T9_mT8_P12ihipStream_tbDpT10_ENKUlT_T0_E_clISt17integral_constantIbLb0EES15_IbLb1EEEEDaS11_S12_EUlS11_E_NS1_11comp_targetILNS1_3genE8ELNS1_11target_archE1030ELNS1_3gpuE2ELNS1_3repE0EEENS1_30default_config_static_selectorELNS0_4arch9wavefront6targetE1EEEvT1_,comdat
	.protected	_ZN7rocprim17ROCPRIM_400000_NS6detail17trampoline_kernelINS0_14default_configENS1_25partition_config_selectorILNS1_17partition_subalgoE5ElNS0_10empty_typeEbEEZZNS1_14partition_implILS5_5ELb0ES3_mN6hipcub16HIPCUB_304000_NS21CountingInputIteratorIllEEPS6_NSA_22TransformInputIteratorIb7NonZeroIdEPdlEENS0_5tupleIJPlS6_EEENSJ_IJSD_SD_EEES6_SK_JS6_EEE10hipError_tPvRmT3_T4_T5_T6_T7_T9_mT8_P12ihipStream_tbDpT10_ENKUlT_T0_E_clISt17integral_constantIbLb0EES15_IbLb1EEEEDaS11_S12_EUlS11_E_NS1_11comp_targetILNS1_3genE8ELNS1_11target_archE1030ELNS1_3gpuE2ELNS1_3repE0EEENS1_30default_config_static_selectorELNS0_4arch9wavefront6targetE1EEEvT1_ ; -- Begin function _ZN7rocprim17ROCPRIM_400000_NS6detail17trampoline_kernelINS0_14default_configENS1_25partition_config_selectorILNS1_17partition_subalgoE5ElNS0_10empty_typeEbEEZZNS1_14partition_implILS5_5ELb0ES3_mN6hipcub16HIPCUB_304000_NS21CountingInputIteratorIllEEPS6_NSA_22TransformInputIteratorIb7NonZeroIdEPdlEENS0_5tupleIJPlS6_EEENSJ_IJSD_SD_EEES6_SK_JS6_EEE10hipError_tPvRmT3_T4_T5_T6_T7_T9_mT8_P12ihipStream_tbDpT10_ENKUlT_T0_E_clISt17integral_constantIbLb0EES15_IbLb1EEEEDaS11_S12_EUlS11_E_NS1_11comp_targetILNS1_3genE8ELNS1_11target_archE1030ELNS1_3gpuE2ELNS1_3repE0EEENS1_30default_config_static_selectorELNS0_4arch9wavefront6targetE1EEEvT1_
	.globl	_ZN7rocprim17ROCPRIM_400000_NS6detail17trampoline_kernelINS0_14default_configENS1_25partition_config_selectorILNS1_17partition_subalgoE5ElNS0_10empty_typeEbEEZZNS1_14partition_implILS5_5ELb0ES3_mN6hipcub16HIPCUB_304000_NS21CountingInputIteratorIllEEPS6_NSA_22TransformInputIteratorIb7NonZeroIdEPdlEENS0_5tupleIJPlS6_EEENSJ_IJSD_SD_EEES6_SK_JS6_EEE10hipError_tPvRmT3_T4_T5_T6_T7_T9_mT8_P12ihipStream_tbDpT10_ENKUlT_T0_E_clISt17integral_constantIbLb0EES15_IbLb1EEEEDaS11_S12_EUlS11_E_NS1_11comp_targetILNS1_3genE8ELNS1_11target_archE1030ELNS1_3gpuE2ELNS1_3repE0EEENS1_30default_config_static_selectorELNS0_4arch9wavefront6targetE1EEEvT1_
	.p2align	8
	.type	_ZN7rocprim17ROCPRIM_400000_NS6detail17trampoline_kernelINS0_14default_configENS1_25partition_config_selectorILNS1_17partition_subalgoE5ElNS0_10empty_typeEbEEZZNS1_14partition_implILS5_5ELb0ES3_mN6hipcub16HIPCUB_304000_NS21CountingInputIteratorIllEEPS6_NSA_22TransformInputIteratorIb7NonZeroIdEPdlEENS0_5tupleIJPlS6_EEENSJ_IJSD_SD_EEES6_SK_JS6_EEE10hipError_tPvRmT3_T4_T5_T6_T7_T9_mT8_P12ihipStream_tbDpT10_ENKUlT_T0_E_clISt17integral_constantIbLb0EES15_IbLb1EEEEDaS11_S12_EUlS11_E_NS1_11comp_targetILNS1_3genE8ELNS1_11target_archE1030ELNS1_3gpuE2ELNS1_3repE0EEENS1_30default_config_static_selectorELNS0_4arch9wavefront6targetE1EEEvT1_,@function
_ZN7rocprim17ROCPRIM_400000_NS6detail17trampoline_kernelINS0_14default_configENS1_25partition_config_selectorILNS1_17partition_subalgoE5ElNS0_10empty_typeEbEEZZNS1_14partition_implILS5_5ELb0ES3_mN6hipcub16HIPCUB_304000_NS21CountingInputIteratorIllEEPS6_NSA_22TransformInputIteratorIb7NonZeroIdEPdlEENS0_5tupleIJPlS6_EEENSJ_IJSD_SD_EEES6_SK_JS6_EEE10hipError_tPvRmT3_T4_T5_T6_T7_T9_mT8_P12ihipStream_tbDpT10_ENKUlT_T0_E_clISt17integral_constantIbLb0EES15_IbLb1EEEEDaS11_S12_EUlS11_E_NS1_11comp_targetILNS1_3genE8ELNS1_11target_archE1030ELNS1_3gpuE2ELNS1_3repE0EEENS1_30default_config_static_selectorELNS0_4arch9wavefront6targetE1EEEvT1_: ; @_ZN7rocprim17ROCPRIM_400000_NS6detail17trampoline_kernelINS0_14default_configENS1_25partition_config_selectorILNS1_17partition_subalgoE5ElNS0_10empty_typeEbEEZZNS1_14partition_implILS5_5ELb0ES3_mN6hipcub16HIPCUB_304000_NS21CountingInputIteratorIllEEPS6_NSA_22TransformInputIteratorIb7NonZeroIdEPdlEENS0_5tupleIJPlS6_EEENSJ_IJSD_SD_EEES6_SK_JS6_EEE10hipError_tPvRmT3_T4_T5_T6_T7_T9_mT8_P12ihipStream_tbDpT10_ENKUlT_T0_E_clISt17integral_constantIbLb0EES15_IbLb1EEEEDaS11_S12_EUlS11_E_NS1_11comp_targetILNS1_3genE8ELNS1_11target_archE1030ELNS1_3gpuE2ELNS1_3repE0EEENS1_30default_config_static_selectorELNS0_4arch9wavefront6targetE1EEEvT1_
; %bb.0:
	.section	.rodata,"a",@progbits
	.p2align	6, 0x0
	.amdhsa_kernel _ZN7rocprim17ROCPRIM_400000_NS6detail17trampoline_kernelINS0_14default_configENS1_25partition_config_selectorILNS1_17partition_subalgoE5ElNS0_10empty_typeEbEEZZNS1_14partition_implILS5_5ELb0ES3_mN6hipcub16HIPCUB_304000_NS21CountingInputIteratorIllEEPS6_NSA_22TransformInputIteratorIb7NonZeroIdEPdlEENS0_5tupleIJPlS6_EEENSJ_IJSD_SD_EEES6_SK_JS6_EEE10hipError_tPvRmT3_T4_T5_T6_T7_T9_mT8_P12ihipStream_tbDpT10_ENKUlT_T0_E_clISt17integral_constantIbLb0EES15_IbLb1EEEEDaS11_S12_EUlS11_E_NS1_11comp_targetILNS1_3genE8ELNS1_11target_archE1030ELNS1_3gpuE2ELNS1_3repE0EEENS1_30default_config_static_selectorELNS0_4arch9wavefront6targetE1EEEvT1_
		.amdhsa_group_segment_fixed_size 0
		.amdhsa_private_segment_fixed_size 0
		.amdhsa_kernarg_size 136
		.amdhsa_user_sgpr_count 6
		.amdhsa_user_sgpr_private_segment_buffer 1
		.amdhsa_user_sgpr_dispatch_ptr 0
		.amdhsa_user_sgpr_queue_ptr 0
		.amdhsa_user_sgpr_kernarg_segment_ptr 1
		.amdhsa_user_sgpr_dispatch_id 0
		.amdhsa_user_sgpr_flat_scratch_init 0
		.amdhsa_user_sgpr_private_segment_size 0
		.amdhsa_uses_dynamic_stack 0
		.amdhsa_system_sgpr_private_segment_wavefront_offset 0
		.amdhsa_system_sgpr_workgroup_id_x 1
		.amdhsa_system_sgpr_workgroup_id_y 0
		.amdhsa_system_sgpr_workgroup_id_z 0
		.amdhsa_system_sgpr_workgroup_info 0
		.amdhsa_system_vgpr_workitem_id 0
		.amdhsa_next_free_vgpr 1
		.amdhsa_next_free_sgpr 0
		.amdhsa_reserve_vcc 0
		.amdhsa_reserve_flat_scratch 0
		.amdhsa_float_round_mode_32 0
		.amdhsa_float_round_mode_16_64 0
		.amdhsa_float_denorm_mode_32 3
		.amdhsa_float_denorm_mode_16_64 3
		.amdhsa_dx10_clamp 1
		.amdhsa_ieee_mode 1
		.amdhsa_fp16_overflow 0
		.amdhsa_exception_fp_ieee_invalid_op 0
		.amdhsa_exception_fp_denorm_src 0
		.amdhsa_exception_fp_ieee_div_zero 0
		.amdhsa_exception_fp_ieee_overflow 0
		.amdhsa_exception_fp_ieee_underflow 0
		.amdhsa_exception_fp_ieee_inexact 0
		.amdhsa_exception_int_div_zero 0
	.end_amdhsa_kernel
	.section	.text._ZN7rocprim17ROCPRIM_400000_NS6detail17trampoline_kernelINS0_14default_configENS1_25partition_config_selectorILNS1_17partition_subalgoE5ElNS0_10empty_typeEbEEZZNS1_14partition_implILS5_5ELb0ES3_mN6hipcub16HIPCUB_304000_NS21CountingInputIteratorIllEEPS6_NSA_22TransformInputIteratorIb7NonZeroIdEPdlEENS0_5tupleIJPlS6_EEENSJ_IJSD_SD_EEES6_SK_JS6_EEE10hipError_tPvRmT3_T4_T5_T6_T7_T9_mT8_P12ihipStream_tbDpT10_ENKUlT_T0_E_clISt17integral_constantIbLb0EES15_IbLb1EEEEDaS11_S12_EUlS11_E_NS1_11comp_targetILNS1_3genE8ELNS1_11target_archE1030ELNS1_3gpuE2ELNS1_3repE0EEENS1_30default_config_static_selectorELNS0_4arch9wavefront6targetE1EEEvT1_,"axG",@progbits,_ZN7rocprim17ROCPRIM_400000_NS6detail17trampoline_kernelINS0_14default_configENS1_25partition_config_selectorILNS1_17partition_subalgoE5ElNS0_10empty_typeEbEEZZNS1_14partition_implILS5_5ELb0ES3_mN6hipcub16HIPCUB_304000_NS21CountingInputIteratorIllEEPS6_NSA_22TransformInputIteratorIb7NonZeroIdEPdlEENS0_5tupleIJPlS6_EEENSJ_IJSD_SD_EEES6_SK_JS6_EEE10hipError_tPvRmT3_T4_T5_T6_T7_T9_mT8_P12ihipStream_tbDpT10_ENKUlT_T0_E_clISt17integral_constantIbLb0EES15_IbLb1EEEEDaS11_S12_EUlS11_E_NS1_11comp_targetILNS1_3genE8ELNS1_11target_archE1030ELNS1_3gpuE2ELNS1_3repE0EEENS1_30default_config_static_selectorELNS0_4arch9wavefront6targetE1EEEvT1_,comdat
.Lfunc_end352:
	.size	_ZN7rocprim17ROCPRIM_400000_NS6detail17trampoline_kernelINS0_14default_configENS1_25partition_config_selectorILNS1_17partition_subalgoE5ElNS0_10empty_typeEbEEZZNS1_14partition_implILS5_5ELb0ES3_mN6hipcub16HIPCUB_304000_NS21CountingInputIteratorIllEEPS6_NSA_22TransformInputIteratorIb7NonZeroIdEPdlEENS0_5tupleIJPlS6_EEENSJ_IJSD_SD_EEES6_SK_JS6_EEE10hipError_tPvRmT3_T4_T5_T6_T7_T9_mT8_P12ihipStream_tbDpT10_ENKUlT_T0_E_clISt17integral_constantIbLb0EES15_IbLb1EEEEDaS11_S12_EUlS11_E_NS1_11comp_targetILNS1_3genE8ELNS1_11target_archE1030ELNS1_3gpuE2ELNS1_3repE0EEENS1_30default_config_static_selectorELNS0_4arch9wavefront6targetE1EEEvT1_, .Lfunc_end352-_ZN7rocprim17ROCPRIM_400000_NS6detail17trampoline_kernelINS0_14default_configENS1_25partition_config_selectorILNS1_17partition_subalgoE5ElNS0_10empty_typeEbEEZZNS1_14partition_implILS5_5ELb0ES3_mN6hipcub16HIPCUB_304000_NS21CountingInputIteratorIllEEPS6_NSA_22TransformInputIteratorIb7NonZeroIdEPdlEENS0_5tupleIJPlS6_EEENSJ_IJSD_SD_EEES6_SK_JS6_EEE10hipError_tPvRmT3_T4_T5_T6_T7_T9_mT8_P12ihipStream_tbDpT10_ENKUlT_T0_E_clISt17integral_constantIbLb0EES15_IbLb1EEEEDaS11_S12_EUlS11_E_NS1_11comp_targetILNS1_3genE8ELNS1_11target_archE1030ELNS1_3gpuE2ELNS1_3repE0EEENS1_30default_config_static_selectorELNS0_4arch9wavefront6targetE1EEEvT1_
                                        ; -- End function
	.set _ZN7rocprim17ROCPRIM_400000_NS6detail17trampoline_kernelINS0_14default_configENS1_25partition_config_selectorILNS1_17partition_subalgoE5ElNS0_10empty_typeEbEEZZNS1_14partition_implILS5_5ELb0ES3_mN6hipcub16HIPCUB_304000_NS21CountingInputIteratorIllEEPS6_NSA_22TransformInputIteratorIb7NonZeroIdEPdlEENS0_5tupleIJPlS6_EEENSJ_IJSD_SD_EEES6_SK_JS6_EEE10hipError_tPvRmT3_T4_T5_T6_T7_T9_mT8_P12ihipStream_tbDpT10_ENKUlT_T0_E_clISt17integral_constantIbLb0EES15_IbLb1EEEEDaS11_S12_EUlS11_E_NS1_11comp_targetILNS1_3genE8ELNS1_11target_archE1030ELNS1_3gpuE2ELNS1_3repE0EEENS1_30default_config_static_selectorELNS0_4arch9wavefront6targetE1EEEvT1_.num_vgpr, 0
	.set _ZN7rocprim17ROCPRIM_400000_NS6detail17trampoline_kernelINS0_14default_configENS1_25partition_config_selectorILNS1_17partition_subalgoE5ElNS0_10empty_typeEbEEZZNS1_14partition_implILS5_5ELb0ES3_mN6hipcub16HIPCUB_304000_NS21CountingInputIteratorIllEEPS6_NSA_22TransformInputIteratorIb7NonZeroIdEPdlEENS0_5tupleIJPlS6_EEENSJ_IJSD_SD_EEES6_SK_JS6_EEE10hipError_tPvRmT3_T4_T5_T6_T7_T9_mT8_P12ihipStream_tbDpT10_ENKUlT_T0_E_clISt17integral_constantIbLb0EES15_IbLb1EEEEDaS11_S12_EUlS11_E_NS1_11comp_targetILNS1_3genE8ELNS1_11target_archE1030ELNS1_3gpuE2ELNS1_3repE0EEENS1_30default_config_static_selectorELNS0_4arch9wavefront6targetE1EEEvT1_.num_agpr, 0
	.set _ZN7rocprim17ROCPRIM_400000_NS6detail17trampoline_kernelINS0_14default_configENS1_25partition_config_selectorILNS1_17partition_subalgoE5ElNS0_10empty_typeEbEEZZNS1_14partition_implILS5_5ELb0ES3_mN6hipcub16HIPCUB_304000_NS21CountingInputIteratorIllEEPS6_NSA_22TransformInputIteratorIb7NonZeroIdEPdlEENS0_5tupleIJPlS6_EEENSJ_IJSD_SD_EEES6_SK_JS6_EEE10hipError_tPvRmT3_T4_T5_T6_T7_T9_mT8_P12ihipStream_tbDpT10_ENKUlT_T0_E_clISt17integral_constantIbLb0EES15_IbLb1EEEEDaS11_S12_EUlS11_E_NS1_11comp_targetILNS1_3genE8ELNS1_11target_archE1030ELNS1_3gpuE2ELNS1_3repE0EEENS1_30default_config_static_selectorELNS0_4arch9wavefront6targetE1EEEvT1_.numbered_sgpr, 0
	.set _ZN7rocprim17ROCPRIM_400000_NS6detail17trampoline_kernelINS0_14default_configENS1_25partition_config_selectorILNS1_17partition_subalgoE5ElNS0_10empty_typeEbEEZZNS1_14partition_implILS5_5ELb0ES3_mN6hipcub16HIPCUB_304000_NS21CountingInputIteratorIllEEPS6_NSA_22TransformInputIteratorIb7NonZeroIdEPdlEENS0_5tupleIJPlS6_EEENSJ_IJSD_SD_EEES6_SK_JS6_EEE10hipError_tPvRmT3_T4_T5_T6_T7_T9_mT8_P12ihipStream_tbDpT10_ENKUlT_T0_E_clISt17integral_constantIbLb0EES15_IbLb1EEEEDaS11_S12_EUlS11_E_NS1_11comp_targetILNS1_3genE8ELNS1_11target_archE1030ELNS1_3gpuE2ELNS1_3repE0EEENS1_30default_config_static_selectorELNS0_4arch9wavefront6targetE1EEEvT1_.num_named_barrier, 0
	.set _ZN7rocprim17ROCPRIM_400000_NS6detail17trampoline_kernelINS0_14default_configENS1_25partition_config_selectorILNS1_17partition_subalgoE5ElNS0_10empty_typeEbEEZZNS1_14partition_implILS5_5ELb0ES3_mN6hipcub16HIPCUB_304000_NS21CountingInputIteratorIllEEPS6_NSA_22TransformInputIteratorIb7NonZeroIdEPdlEENS0_5tupleIJPlS6_EEENSJ_IJSD_SD_EEES6_SK_JS6_EEE10hipError_tPvRmT3_T4_T5_T6_T7_T9_mT8_P12ihipStream_tbDpT10_ENKUlT_T0_E_clISt17integral_constantIbLb0EES15_IbLb1EEEEDaS11_S12_EUlS11_E_NS1_11comp_targetILNS1_3genE8ELNS1_11target_archE1030ELNS1_3gpuE2ELNS1_3repE0EEENS1_30default_config_static_selectorELNS0_4arch9wavefront6targetE1EEEvT1_.private_seg_size, 0
	.set _ZN7rocprim17ROCPRIM_400000_NS6detail17trampoline_kernelINS0_14default_configENS1_25partition_config_selectorILNS1_17partition_subalgoE5ElNS0_10empty_typeEbEEZZNS1_14partition_implILS5_5ELb0ES3_mN6hipcub16HIPCUB_304000_NS21CountingInputIteratorIllEEPS6_NSA_22TransformInputIteratorIb7NonZeroIdEPdlEENS0_5tupleIJPlS6_EEENSJ_IJSD_SD_EEES6_SK_JS6_EEE10hipError_tPvRmT3_T4_T5_T6_T7_T9_mT8_P12ihipStream_tbDpT10_ENKUlT_T0_E_clISt17integral_constantIbLb0EES15_IbLb1EEEEDaS11_S12_EUlS11_E_NS1_11comp_targetILNS1_3genE8ELNS1_11target_archE1030ELNS1_3gpuE2ELNS1_3repE0EEENS1_30default_config_static_selectorELNS0_4arch9wavefront6targetE1EEEvT1_.uses_vcc, 0
	.set _ZN7rocprim17ROCPRIM_400000_NS6detail17trampoline_kernelINS0_14default_configENS1_25partition_config_selectorILNS1_17partition_subalgoE5ElNS0_10empty_typeEbEEZZNS1_14partition_implILS5_5ELb0ES3_mN6hipcub16HIPCUB_304000_NS21CountingInputIteratorIllEEPS6_NSA_22TransformInputIteratorIb7NonZeroIdEPdlEENS0_5tupleIJPlS6_EEENSJ_IJSD_SD_EEES6_SK_JS6_EEE10hipError_tPvRmT3_T4_T5_T6_T7_T9_mT8_P12ihipStream_tbDpT10_ENKUlT_T0_E_clISt17integral_constantIbLb0EES15_IbLb1EEEEDaS11_S12_EUlS11_E_NS1_11comp_targetILNS1_3genE8ELNS1_11target_archE1030ELNS1_3gpuE2ELNS1_3repE0EEENS1_30default_config_static_selectorELNS0_4arch9wavefront6targetE1EEEvT1_.uses_flat_scratch, 0
	.set _ZN7rocprim17ROCPRIM_400000_NS6detail17trampoline_kernelINS0_14default_configENS1_25partition_config_selectorILNS1_17partition_subalgoE5ElNS0_10empty_typeEbEEZZNS1_14partition_implILS5_5ELb0ES3_mN6hipcub16HIPCUB_304000_NS21CountingInputIteratorIllEEPS6_NSA_22TransformInputIteratorIb7NonZeroIdEPdlEENS0_5tupleIJPlS6_EEENSJ_IJSD_SD_EEES6_SK_JS6_EEE10hipError_tPvRmT3_T4_T5_T6_T7_T9_mT8_P12ihipStream_tbDpT10_ENKUlT_T0_E_clISt17integral_constantIbLb0EES15_IbLb1EEEEDaS11_S12_EUlS11_E_NS1_11comp_targetILNS1_3genE8ELNS1_11target_archE1030ELNS1_3gpuE2ELNS1_3repE0EEENS1_30default_config_static_selectorELNS0_4arch9wavefront6targetE1EEEvT1_.has_dyn_sized_stack, 0
	.set _ZN7rocprim17ROCPRIM_400000_NS6detail17trampoline_kernelINS0_14default_configENS1_25partition_config_selectorILNS1_17partition_subalgoE5ElNS0_10empty_typeEbEEZZNS1_14partition_implILS5_5ELb0ES3_mN6hipcub16HIPCUB_304000_NS21CountingInputIteratorIllEEPS6_NSA_22TransformInputIteratorIb7NonZeroIdEPdlEENS0_5tupleIJPlS6_EEENSJ_IJSD_SD_EEES6_SK_JS6_EEE10hipError_tPvRmT3_T4_T5_T6_T7_T9_mT8_P12ihipStream_tbDpT10_ENKUlT_T0_E_clISt17integral_constantIbLb0EES15_IbLb1EEEEDaS11_S12_EUlS11_E_NS1_11comp_targetILNS1_3genE8ELNS1_11target_archE1030ELNS1_3gpuE2ELNS1_3repE0EEENS1_30default_config_static_selectorELNS0_4arch9wavefront6targetE1EEEvT1_.has_recursion, 0
	.set _ZN7rocprim17ROCPRIM_400000_NS6detail17trampoline_kernelINS0_14default_configENS1_25partition_config_selectorILNS1_17partition_subalgoE5ElNS0_10empty_typeEbEEZZNS1_14partition_implILS5_5ELb0ES3_mN6hipcub16HIPCUB_304000_NS21CountingInputIteratorIllEEPS6_NSA_22TransformInputIteratorIb7NonZeroIdEPdlEENS0_5tupleIJPlS6_EEENSJ_IJSD_SD_EEES6_SK_JS6_EEE10hipError_tPvRmT3_T4_T5_T6_T7_T9_mT8_P12ihipStream_tbDpT10_ENKUlT_T0_E_clISt17integral_constantIbLb0EES15_IbLb1EEEEDaS11_S12_EUlS11_E_NS1_11comp_targetILNS1_3genE8ELNS1_11target_archE1030ELNS1_3gpuE2ELNS1_3repE0EEENS1_30default_config_static_selectorELNS0_4arch9wavefront6targetE1EEEvT1_.has_indirect_call, 0
	.section	.AMDGPU.csdata,"",@progbits
; Kernel info:
; codeLenInByte = 0
; TotalNumSgprs: 4
; NumVgprs: 0
; ScratchSize: 0
; MemoryBound: 0
; FloatMode: 240
; IeeeMode: 1
; LDSByteSize: 0 bytes/workgroup (compile time only)
; SGPRBlocks: 0
; VGPRBlocks: 0
; NumSGPRsForWavesPerEU: 4
; NumVGPRsForWavesPerEU: 1
; Occupancy: 10
; WaveLimiterHint : 0
; COMPUTE_PGM_RSRC2:SCRATCH_EN: 0
; COMPUTE_PGM_RSRC2:USER_SGPR: 6
; COMPUTE_PGM_RSRC2:TRAP_HANDLER: 0
; COMPUTE_PGM_RSRC2:TGID_X_EN: 1
; COMPUTE_PGM_RSRC2:TGID_Y_EN: 0
; COMPUTE_PGM_RSRC2:TGID_Z_EN: 0
; COMPUTE_PGM_RSRC2:TIDIG_COMP_CNT: 0
	.section	.AMDGPU.gpr_maximums,"",@progbits
	.set amdgpu.max_num_vgpr, 0
	.set amdgpu.max_num_agpr, 0
	.set amdgpu.max_num_sgpr, 0
	.section	.AMDGPU.csdata,"",@progbits
	.type	__hip_cuid_ac868be9420d94a5,@object ; @__hip_cuid_ac868be9420d94a5
	.section	.bss,"aw",@nobits
	.globl	__hip_cuid_ac868be9420d94a5
__hip_cuid_ac868be9420d94a5:
	.byte	0                               ; 0x0
	.size	__hip_cuid_ac868be9420d94a5, 1

	.ident	"AMD clang version 22.0.0git (https://github.com/RadeonOpenCompute/llvm-project roc-7.2.4 26084 f58b06dce1f9c15707c5f808fd002e18c2accf7e)"
	.section	".note.GNU-stack","",@progbits
	.addrsig
	.addrsig_sym __hip_cuid_ac868be9420d94a5
	.amdgpu_metadata
---
amdhsa.kernels:
  - .args:
      - .offset:         0
        .size:           64
        .value_kind:     by_value
    .group_segment_fixed_size: 0
    .kernarg_segment_align: 8
    .kernarg_segment_size: 64
    .language:       OpenCL C
    .language_version:
      - 2
      - 0
    .max_flat_workgroup_size: 256
    .name:           _ZN7rocprim17ROCPRIM_400000_NS6detail17trampoline_kernelINS0_14default_configENS1_22reduce_config_selectorIlEEZNS1_11reduce_implILb1ES3_PlS7_lN6hipcub16HIPCUB_304000_NS6detail34convert_binary_result_type_wrapperINS9_3SumENS9_22TransformInputIteratorIb7NonZeroIaEPalEElEEEE10hipError_tPvRmT1_T2_T3_mT4_P12ihipStream_tbEUlT_E0_NS1_11comp_targetILNS1_3genE0ELNS1_11target_archE4294967295ELNS1_3gpuE0ELNS1_3repE0EEENS1_30default_config_static_selectorELNS0_4arch9wavefront6targetE1EEEvSM_
    .private_segment_fixed_size: 0
    .sgpr_count:     4
    .sgpr_spill_count: 0
    .symbol:         _ZN7rocprim17ROCPRIM_400000_NS6detail17trampoline_kernelINS0_14default_configENS1_22reduce_config_selectorIlEEZNS1_11reduce_implILb1ES3_PlS7_lN6hipcub16HIPCUB_304000_NS6detail34convert_binary_result_type_wrapperINS9_3SumENS9_22TransformInputIteratorIb7NonZeroIaEPalEElEEEE10hipError_tPvRmT1_T2_T3_mT4_P12ihipStream_tbEUlT_E0_NS1_11comp_targetILNS1_3genE0ELNS1_11target_archE4294967295ELNS1_3gpuE0ELNS1_3repE0EEENS1_30default_config_static_selectorELNS0_4arch9wavefront6targetE1EEEvSM_.kd
    .uniform_work_group_size: 1
    .uses_dynamic_stack: false
    .vgpr_count:     0
    .vgpr_spill_count: 0
    .wavefront_size: 64
  - .args:
      - .offset:         0
        .size:           64
        .value_kind:     by_value
    .group_segment_fixed_size: 0
    .kernarg_segment_align: 8
    .kernarg_segment_size: 64
    .language:       OpenCL C
    .language_version:
      - 2
      - 0
    .max_flat_workgroup_size: 256
    .name:           _ZN7rocprim17ROCPRIM_400000_NS6detail17trampoline_kernelINS0_14default_configENS1_22reduce_config_selectorIlEEZNS1_11reduce_implILb1ES3_PlS7_lN6hipcub16HIPCUB_304000_NS6detail34convert_binary_result_type_wrapperINS9_3SumENS9_22TransformInputIteratorIb7NonZeroIaEPalEElEEEE10hipError_tPvRmT1_T2_T3_mT4_P12ihipStream_tbEUlT_E0_NS1_11comp_targetILNS1_3genE5ELNS1_11target_archE942ELNS1_3gpuE9ELNS1_3repE0EEENS1_30default_config_static_selectorELNS0_4arch9wavefront6targetE1EEEvSM_
    .private_segment_fixed_size: 0
    .sgpr_count:     4
    .sgpr_spill_count: 0
    .symbol:         _ZN7rocprim17ROCPRIM_400000_NS6detail17trampoline_kernelINS0_14default_configENS1_22reduce_config_selectorIlEEZNS1_11reduce_implILb1ES3_PlS7_lN6hipcub16HIPCUB_304000_NS6detail34convert_binary_result_type_wrapperINS9_3SumENS9_22TransformInputIteratorIb7NonZeroIaEPalEElEEEE10hipError_tPvRmT1_T2_T3_mT4_P12ihipStream_tbEUlT_E0_NS1_11comp_targetILNS1_3genE5ELNS1_11target_archE942ELNS1_3gpuE9ELNS1_3repE0EEENS1_30default_config_static_selectorELNS0_4arch9wavefront6targetE1EEEvSM_.kd
    .uniform_work_group_size: 1
    .uses_dynamic_stack: false
    .vgpr_count:     0
    .vgpr_spill_count: 0
    .wavefront_size: 64
  - .args:
      - .offset:         0
        .size:           64
        .value_kind:     by_value
    .group_segment_fixed_size: 0
    .kernarg_segment_align: 8
    .kernarg_segment_size: 64
    .language:       OpenCL C
    .language_version:
      - 2
      - 0
    .max_flat_workgroup_size: 256
    .name:           _ZN7rocprim17ROCPRIM_400000_NS6detail17trampoline_kernelINS0_14default_configENS1_22reduce_config_selectorIlEEZNS1_11reduce_implILb1ES3_PlS7_lN6hipcub16HIPCUB_304000_NS6detail34convert_binary_result_type_wrapperINS9_3SumENS9_22TransformInputIteratorIb7NonZeroIaEPalEElEEEE10hipError_tPvRmT1_T2_T3_mT4_P12ihipStream_tbEUlT_E0_NS1_11comp_targetILNS1_3genE4ELNS1_11target_archE910ELNS1_3gpuE8ELNS1_3repE0EEENS1_30default_config_static_selectorELNS0_4arch9wavefront6targetE1EEEvSM_
    .private_segment_fixed_size: 0
    .sgpr_count:     4
    .sgpr_spill_count: 0
    .symbol:         _ZN7rocprim17ROCPRIM_400000_NS6detail17trampoline_kernelINS0_14default_configENS1_22reduce_config_selectorIlEEZNS1_11reduce_implILb1ES3_PlS7_lN6hipcub16HIPCUB_304000_NS6detail34convert_binary_result_type_wrapperINS9_3SumENS9_22TransformInputIteratorIb7NonZeroIaEPalEElEEEE10hipError_tPvRmT1_T2_T3_mT4_P12ihipStream_tbEUlT_E0_NS1_11comp_targetILNS1_3genE4ELNS1_11target_archE910ELNS1_3gpuE8ELNS1_3repE0EEENS1_30default_config_static_selectorELNS0_4arch9wavefront6targetE1EEEvSM_.kd
    .uniform_work_group_size: 1
    .uses_dynamic_stack: false
    .vgpr_count:     0
    .vgpr_spill_count: 0
    .wavefront_size: 64
  - .args:
      - .offset:         0
        .size:           64
        .value_kind:     by_value
    .group_segment_fixed_size: 0
    .kernarg_segment_align: 8
    .kernarg_segment_size: 64
    .language:       OpenCL C
    .language_version:
      - 2
      - 0
    .max_flat_workgroup_size: 256
    .name:           _ZN7rocprim17ROCPRIM_400000_NS6detail17trampoline_kernelINS0_14default_configENS1_22reduce_config_selectorIlEEZNS1_11reduce_implILb1ES3_PlS7_lN6hipcub16HIPCUB_304000_NS6detail34convert_binary_result_type_wrapperINS9_3SumENS9_22TransformInputIteratorIb7NonZeroIaEPalEElEEEE10hipError_tPvRmT1_T2_T3_mT4_P12ihipStream_tbEUlT_E0_NS1_11comp_targetILNS1_3genE3ELNS1_11target_archE908ELNS1_3gpuE7ELNS1_3repE0EEENS1_30default_config_static_selectorELNS0_4arch9wavefront6targetE1EEEvSM_
    .private_segment_fixed_size: 0
    .sgpr_count:     4
    .sgpr_spill_count: 0
    .symbol:         _ZN7rocprim17ROCPRIM_400000_NS6detail17trampoline_kernelINS0_14default_configENS1_22reduce_config_selectorIlEEZNS1_11reduce_implILb1ES3_PlS7_lN6hipcub16HIPCUB_304000_NS6detail34convert_binary_result_type_wrapperINS9_3SumENS9_22TransformInputIteratorIb7NonZeroIaEPalEElEEEE10hipError_tPvRmT1_T2_T3_mT4_P12ihipStream_tbEUlT_E0_NS1_11comp_targetILNS1_3genE3ELNS1_11target_archE908ELNS1_3gpuE7ELNS1_3repE0EEENS1_30default_config_static_selectorELNS0_4arch9wavefront6targetE1EEEvSM_.kd
    .uniform_work_group_size: 1
    .uses_dynamic_stack: false
    .vgpr_count:     0
    .vgpr_spill_count: 0
    .wavefront_size: 64
  - .args:
      - .offset:         0
        .size:           64
        .value_kind:     by_value
    .group_segment_fixed_size: 64
    .kernarg_segment_align: 8
    .kernarg_segment_size: 64
    .language:       OpenCL C
    .language_version:
      - 2
      - 0
    .max_flat_workgroup_size: 256
    .name:           _ZN7rocprim17ROCPRIM_400000_NS6detail17trampoline_kernelINS0_14default_configENS1_22reduce_config_selectorIlEEZNS1_11reduce_implILb1ES3_PlS7_lN6hipcub16HIPCUB_304000_NS6detail34convert_binary_result_type_wrapperINS9_3SumENS9_22TransformInputIteratorIb7NonZeroIaEPalEElEEEE10hipError_tPvRmT1_T2_T3_mT4_P12ihipStream_tbEUlT_E0_NS1_11comp_targetILNS1_3genE2ELNS1_11target_archE906ELNS1_3gpuE6ELNS1_3repE0EEENS1_30default_config_static_selectorELNS0_4arch9wavefront6targetE1EEEvSM_
    .private_segment_fixed_size: 0
    .sgpr_count:     24
    .sgpr_spill_count: 0
    .symbol:         _ZN7rocprim17ROCPRIM_400000_NS6detail17trampoline_kernelINS0_14default_configENS1_22reduce_config_selectorIlEEZNS1_11reduce_implILb1ES3_PlS7_lN6hipcub16HIPCUB_304000_NS6detail34convert_binary_result_type_wrapperINS9_3SumENS9_22TransformInputIteratorIb7NonZeroIaEPalEElEEEE10hipError_tPvRmT1_T2_T3_mT4_P12ihipStream_tbEUlT_E0_NS1_11comp_targetILNS1_3genE2ELNS1_11target_archE906ELNS1_3gpuE6ELNS1_3repE0EEENS1_30default_config_static_selectorELNS0_4arch9wavefront6targetE1EEEvSM_.kd
    .uniform_work_group_size: 1
    .uses_dynamic_stack: false
    .vgpr_count:     11
    .vgpr_spill_count: 0
    .wavefront_size: 64
  - .args:
      - .offset:         0
        .size:           64
        .value_kind:     by_value
    .group_segment_fixed_size: 0
    .kernarg_segment_align: 8
    .kernarg_segment_size: 64
    .language:       OpenCL C
    .language_version:
      - 2
      - 0
    .max_flat_workgroup_size: 256
    .name:           _ZN7rocprim17ROCPRIM_400000_NS6detail17trampoline_kernelINS0_14default_configENS1_22reduce_config_selectorIlEEZNS1_11reduce_implILb1ES3_PlS7_lN6hipcub16HIPCUB_304000_NS6detail34convert_binary_result_type_wrapperINS9_3SumENS9_22TransformInputIteratorIb7NonZeroIaEPalEElEEEE10hipError_tPvRmT1_T2_T3_mT4_P12ihipStream_tbEUlT_E0_NS1_11comp_targetILNS1_3genE10ELNS1_11target_archE1201ELNS1_3gpuE5ELNS1_3repE0EEENS1_30default_config_static_selectorELNS0_4arch9wavefront6targetE1EEEvSM_
    .private_segment_fixed_size: 0
    .sgpr_count:     4
    .sgpr_spill_count: 0
    .symbol:         _ZN7rocprim17ROCPRIM_400000_NS6detail17trampoline_kernelINS0_14default_configENS1_22reduce_config_selectorIlEEZNS1_11reduce_implILb1ES3_PlS7_lN6hipcub16HIPCUB_304000_NS6detail34convert_binary_result_type_wrapperINS9_3SumENS9_22TransformInputIteratorIb7NonZeroIaEPalEElEEEE10hipError_tPvRmT1_T2_T3_mT4_P12ihipStream_tbEUlT_E0_NS1_11comp_targetILNS1_3genE10ELNS1_11target_archE1201ELNS1_3gpuE5ELNS1_3repE0EEENS1_30default_config_static_selectorELNS0_4arch9wavefront6targetE1EEEvSM_.kd
    .uniform_work_group_size: 1
    .uses_dynamic_stack: false
    .vgpr_count:     0
    .vgpr_spill_count: 0
    .wavefront_size: 64
  - .args:
      - .offset:         0
        .size:           64
        .value_kind:     by_value
    .group_segment_fixed_size: 0
    .kernarg_segment_align: 8
    .kernarg_segment_size: 64
    .language:       OpenCL C
    .language_version:
      - 2
      - 0
    .max_flat_workgroup_size: 256
    .name:           _ZN7rocprim17ROCPRIM_400000_NS6detail17trampoline_kernelINS0_14default_configENS1_22reduce_config_selectorIlEEZNS1_11reduce_implILb1ES3_PlS7_lN6hipcub16HIPCUB_304000_NS6detail34convert_binary_result_type_wrapperINS9_3SumENS9_22TransformInputIteratorIb7NonZeroIaEPalEElEEEE10hipError_tPvRmT1_T2_T3_mT4_P12ihipStream_tbEUlT_E0_NS1_11comp_targetILNS1_3genE10ELNS1_11target_archE1200ELNS1_3gpuE4ELNS1_3repE0EEENS1_30default_config_static_selectorELNS0_4arch9wavefront6targetE1EEEvSM_
    .private_segment_fixed_size: 0
    .sgpr_count:     4
    .sgpr_spill_count: 0
    .symbol:         _ZN7rocprim17ROCPRIM_400000_NS6detail17trampoline_kernelINS0_14default_configENS1_22reduce_config_selectorIlEEZNS1_11reduce_implILb1ES3_PlS7_lN6hipcub16HIPCUB_304000_NS6detail34convert_binary_result_type_wrapperINS9_3SumENS9_22TransformInputIteratorIb7NonZeroIaEPalEElEEEE10hipError_tPvRmT1_T2_T3_mT4_P12ihipStream_tbEUlT_E0_NS1_11comp_targetILNS1_3genE10ELNS1_11target_archE1200ELNS1_3gpuE4ELNS1_3repE0EEENS1_30default_config_static_selectorELNS0_4arch9wavefront6targetE1EEEvSM_.kd
    .uniform_work_group_size: 1
    .uses_dynamic_stack: false
    .vgpr_count:     0
    .vgpr_spill_count: 0
    .wavefront_size: 64
  - .args:
      - .offset:         0
        .size:           64
        .value_kind:     by_value
    .group_segment_fixed_size: 0
    .kernarg_segment_align: 8
    .kernarg_segment_size: 64
    .language:       OpenCL C
    .language_version:
      - 2
      - 0
    .max_flat_workgroup_size: 256
    .name:           _ZN7rocprim17ROCPRIM_400000_NS6detail17trampoline_kernelINS0_14default_configENS1_22reduce_config_selectorIlEEZNS1_11reduce_implILb1ES3_PlS7_lN6hipcub16HIPCUB_304000_NS6detail34convert_binary_result_type_wrapperINS9_3SumENS9_22TransformInputIteratorIb7NonZeroIaEPalEElEEEE10hipError_tPvRmT1_T2_T3_mT4_P12ihipStream_tbEUlT_E0_NS1_11comp_targetILNS1_3genE9ELNS1_11target_archE1100ELNS1_3gpuE3ELNS1_3repE0EEENS1_30default_config_static_selectorELNS0_4arch9wavefront6targetE1EEEvSM_
    .private_segment_fixed_size: 0
    .sgpr_count:     4
    .sgpr_spill_count: 0
    .symbol:         _ZN7rocprim17ROCPRIM_400000_NS6detail17trampoline_kernelINS0_14default_configENS1_22reduce_config_selectorIlEEZNS1_11reduce_implILb1ES3_PlS7_lN6hipcub16HIPCUB_304000_NS6detail34convert_binary_result_type_wrapperINS9_3SumENS9_22TransformInputIteratorIb7NonZeroIaEPalEElEEEE10hipError_tPvRmT1_T2_T3_mT4_P12ihipStream_tbEUlT_E0_NS1_11comp_targetILNS1_3genE9ELNS1_11target_archE1100ELNS1_3gpuE3ELNS1_3repE0EEENS1_30default_config_static_selectorELNS0_4arch9wavefront6targetE1EEEvSM_.kd
    .uniform_work_group_size: 1
    .uses_dynamic_stack: false
    .vgpr_count:     0
    .vgpr_spill_count: 0
    .wavefront_size: 64
  - .args:
      - .offset:         0
        .size:           64
        .value_kind:     by_value
    .group_segment_fixed_size: 0
    .kernarg_segment_align: 8
    .kernarg_segment_size: 64
    .language:       OpenCL C
    .language_version:
      - 2
      - 0
    .max_flat_workgroup_size: 256
    .name:           _ZN7rocprim17ROCPRIM_400000_NS6detail17trampoline_kernelINS0_14default_configENS1_22reduce_config_selectorIlEEZNS1_11reduce_implILb1ES3_PlS7_lN6hipcub16HIPCUB_304000_NS6detail34convert_binary_result_type_wrapperINS9_3SumENS9_22TransformInputIteratorIb7NonZeroIaEPalEElEEEE10hipError_tPvRmT1_T2_T3_mT4_P12ihipStream_tbEUlT_E0_NS1_11comp_targetILNS1_3genE8ELNS1_11target_archE1030ELNS1_3gpuE2ELNS1_3repE0EEENS1_30default_config_static_selectorELNS0_4arch9wavefront6targetE1EEEvSM_
    .private_segment_fixed_size: 0
    .sgpr_count:     4
    .sgpr_spill_count: 0
    .symbol:         _ZN7rocprim17ROCPRIM_400000_NS6detail17trampoline_kernelINS0_14default_configENS1_22reduce_config_selectorIlEEZNS1_11reduce_implILb1ES3_PlS7_lN6hipcub16HIPCUB_304000_NS6detail34convert_binary_result_type_wrapperINS9_3SumENS9_22TransformInputIteratorIb7NonZeroIaEPalEElEEEE10hipError_tPvRmT1_T2_T3_mT4_P12ihipStream_tbEUlT_E0_NS1_11comp_targetILNS1_3genE8ELNS1_11target_archE1030ELNS1_3gpuE2ELNS1_3repE0EEENS1_30default_config_static_selectorELNS0_4arch9wavefront6targetE1EEEvSM_.kd
    .uniform_work_group_size: 1
    .uses_dynamic_stack: false
    .vgpr_count:     0
    .vgpr_spill_count: 0
    .wavefront_size: 64
  - .args:
      - .offset:         0
        .size:           48
        .value_kind:     by_value
    .group_segment_fixed_size: 0
    .kernarg_segment_align: 8
    .kernarg_segment_size: 48
    .language:       OpenCL C
    .language_version:
      - 2
      - 0
    .max_flat_workgroup_size: 256
    .name:           _ZN7rocprim17ROCPRIM_400000_NS6detail17trampoline_kernelINS0_14default_configENS1_22reduce_config_selectorIlEEZNS1_11reduce_implILb1ES3_PlS7_lN6hipcub16HIPCUB_304000_NS6detail34convert_binary_result_type_wrapperINS9_3SumENS9_22TransformInputIteratorIb7NonZeroIaEPalEElEEEE10hipError_tPvRmT1_T2_T3_mT4_P12ihipStream_tbEUlT_E1_NS1_11comp_targetILNS1_3genE0ELNS1_11target_archE4294967295ELNS1_3gpuE0ELNS1_3repE0EEENS1_30default_config_static_selectorELNS0_4arch9wavefront6targetE1EEEvSM_
    .private_segment_fixed_size: 0
    .sgpr_count:     4
    .sgpr_spill_count: 0
    .symbol:         _ZN7rocprim17ROCPRIM_400000_NS6detail17trampoline_kernelINS0_14default_configENS1_22reduce_config_selectorIlEEZNS1_11reduce_implILb1ES3_PlS7_lN6hipcub16HIPCUB_304000_NS6detail34convert_binary_result_type_wrapperINS9_3SumENS9_22TransformInputIteratorIb7NonZeroIaEPalEElEEEE10hipError_tPvRmT1_T2_T3_mT4_P12ihipStream_tbEUlT_E1_NS1_11comp_targetILNS1_3genE0ELNS1_11target_archE4294967295ELNS1_3gpuE0ELNS1_3repE0EEENS1_30default_config_static_selectorELNS0_4arch9wavefront6targetE1EEEvSM_.kd
    .uniform_work_group_size: 1
    .uses_dynamic_stack: false
    .vgpr_count:     0
    .vgpr_spill_count: 0
    .wavefront_size: 64
  - .args:
      - .offset:         0
        .size:           48
        .value_kind:     by_value
    .group_segment_fixed_size: 0
    .kernarg_segment_align: 8
    .kernarg_segment_size: 48
    .language:       OpenCL C
    .language_version:
      - 2
      - 0
    .max_flat_workgroup_size: 256
    .name:           _ZN7rocprim17ROCPRIM_400000_NS6detail17trampoline_kernelINS0_14default_configENS1_22reduce_config_selectorIlEEZNS1_11reduce_implILb1ES3_PlS7_lN6hipcub16HIPCUB_304000_NS6detail34convert_binary_result_type_wrapperINS9_3SumENS9_22TransformInputIteratorIb7NonZeroIaEPalEElEEEE10hipError_tPvRmT1_T2_T3_mT4_P12ihipStream_tbEUlT_E1_NS1_11comp_targetILNS1_3genE5ELNS1_11target_archE942ELNS1_3gpuE9ELNS1_3repE0EEENS1_30default_config_static_selectorELNS0_4arch9wavefront6targetE1EEEvSM_
    .private_segment_fixed_size: 0
    .sgpr_count:     4
    .sgpr_spill_count: 0
    .symbol:         _ZN7rocprim17ROCPRIM_400000_NS6detail17trampoline_kernelINS0_14default_configENS1_22reduce_config_selectorIlEEZNS1_11reduce_implILb1ES3_PlS7_lN6hipcub16HIPCUB_304000_NS6detail34convert_binary_result_type_wrapperINS9_3SumENS9_22TransformInputIteratorIb7NonZeroIaEPalEElEEEE10hipError_tPvRmT1_T2_T3_mT4_P12ihipStream_tbEUlT_E1_NS1_11comp_targetILNS1_3genE5ELNS1_11target_archE942ELNS1_3gpuE9ELNS1_3repE0EEENS1_30default_config_static_selectorELNS0_4arch9wavefront6targetE1EEEvSM_.kd
    .uniform_work_group_size: 1
    .uses_dynamic_stack: false
    .vgpr_count:     0
    .vgpr_spill_count: 0
    .wavefront_size: 64
  - .args:
      - .offset:         0
        .size:           48
        .value_kind:     by_value
    .group_segment_fixed_size: 0
    .kernarg_segment_align: 8
    .kernarg_segment_size: 48
    .language:       OpenCL C
    .language_version:
      - 2
      - 0
    .max_flat_workgroup_size: 256
    .name:           _ZN7rocprim17ROCPRIM_400000_NS6detail17trampoline_kernelINS0_14default_configENS1_22reduce_config_selectorIlEEZNS1_11reduce_implILb1ES3_PlS7_lN6hipcub16HIPCUB_304000_NS6detail34convert_binary_result_type_wrapperINS9_3SumENS9_22TransformInputIteratorIb7NonZeroIaEPalEElEEEE10hipError_tPvRmT1_T2_T3_mT4_P12ihipStream_tbEUlT_E1_NS1_11comp_targetILNS1_3genE4ELNS1_11target_archE910ELNS1_3gpuE8ELNS1_3repE0EEENS1_30default_config_static_selectorELNS0_4arch9wavefront6targetE1EEEvSM_
    .private_segment_fixed_size: 0
    .sgpr_count:     4
    .sgpr_spill_count: 0
    .symbol:         _ZN7rocprim17ROCPRIM_400000_NS6detail17trampoline_kernelINS0_14default_configENS1_22reduce_config_selectorIlEEZNS1_11reduce_implILb1ES3_PlS7_lN6hipcub16HIPCUB_304000_NS6detail34convert_binary_result_type_wrapperINS9_3SumENS9_22TransformInputIteratorIb7NonZeroIaEPalEElEEEE10hipError_tPvRmT1_T2_T3_mT4_P12ihipStream_tbEUlT_E1_NS1_11comp_targetILNS1_3genE4ELNS1_11target_archE910ELNS1_3gpuE8ELNS1_3repE0EEENS1_30default_config_static_selectorELNS0_4arch9wavefront6targetE1EEEvSM_.kd
    .uniform_work_group_size: 1
    .uses_dynamic_stack: false
    .vgpr_count:     0
    .vgpr_spill_count: 0
    .wavefront_size: 64
  - .args:
      - .offset:         0
        .size:           48
        .value_kind:     by_value
    .group_segment_fixed_size: 0
    .kernarg_segment_align: 8
    .kernarg_segment_size: 48
    .language:       OpenCL C
    .language_version:
      - 2
      - 0
    .max_flat_workgroup_size: 256
    .name:           _ZN7rocprim17ROCPRIM_400000_NS6detail17trampoline_kernelINS0_14default_configENS1_22reduce_config_selectorIlEEZNS1_11reduce_implILb1ES3_PlS7_lN6hipcub16HIPCUB_304000_NS6detail34convert_binary_result_type_wrapperINS9_3SumENS9_22TransformInputIteratorIb7NonZeroIaEPalEElEEEE10hipError_tPvRmT1_T2_T3_mT4_P12ihipStream_tbEUlT_E1_NS1_11comp_targetILNS1_3genE3ELNS1_11target_archE908ELNS1_3gpuE7ELNS1_3repE0EEENS1_30default_config_static_selectorELNS0_4arch9wavefront6targetE1EEEvSM_
    .private_segment_fixed_size: 0
    .sgpr_count:     4
    .sgpr_spill_count: 0
    .symbol:         _ZN7rocprim17ROCPRIM_400000_NS6detail17trampoline_kernelINS0_14default_configENS1_22reduce_config_selectorIlEEZNS1_11reduce_implILb1ES3_PlS7_lN6hipcub16HIPCUB_304000_NS6detail34convert_binary_result_type_wrapperINS9_3SumENS9_22TransformInputIteratorIb7NonZeroIaEPalEElEEEE10hipError_tPvRmT1_T2_T3_mT4_P12ihipStream_tbEUlT_E1_NS1_11comp_targetILNS1_3genE3ELNS1_11target_archE908ELNS1_3gpuE7ELNS1_3repE0EEENS1_30default_config_static_selectorELNS0_4arch9wavefront6targetE1EEEvSM_.kd
    .uniform_work_group_size: 1
    .uses_dynamic_stack: false
    .vgpr_count:     0
    .vgpr_spill_count: 0
    .wavefront_size: 64
  - .args:
      - .offset:         0
        .size:           48
        .value_kind:     by_value
    .group_segment_fixed_size: 192
    .kernarg_segment_align: 8
    .kernarg_segment_size: 48
    .language:       OpenCL C
    .language_version:
      - 2
      - 0
    .max_flat_workgroup_size: 256
    .name:           _ZN7rocprim17ROCPRIM_400000_NS6detail17trampoline_kernelINS0_14default_configENS1_22reduce_config_selectorIlEEZNS1_11reduce_implILb1ES3_PlS7_lN6hipcub16HIPCUB_304000_NS6detail34convert_binary_result_type_wrapperINS9_3SumENS9_22TransformInputIteratorIb7NonZeroIaEPalEElEEEE10hipError_tPvRmT1_T2_T3_mT4_P12ihipStream_tbEUlT_E1_NS1_11comp_targetILNS1_3genE2ELNS1_11target_archE906ELNS1_3gpuE6ELNS1_3repE0EEENS1_30default_config_static_selectorELNS0_4arch9wavefront6targetE1EEEvSM_
    .private_segment_fixed_size: 0
    .sgpr_count:     32
    .sgpr_spill_count: 0
    .symbol:         _ZN7rocprim17ROCPRIM_400000_NS6detail17trampoline_kernelINS0_14default_configENS1_22reduce_config_selectorIlEEZNS1_11reduce_implILb1ES3_PlS7_lN6hipcub16HIPCUB_304000_NS6detail34convert_binary_result_type_wrapperINS9_3SumENS9_22TransformInputIteratorIb7NonZeroIaEPalEElEEEE10hipError_tPvRmT1_T2_T3_mT4_P12ihipStream_tbEUlT_E1_NS1_11comp_targetILNS1_3genE2ELNS1_11target_archE906ELNS1_3gpuE6ELNS1_3repE0EEENS1_30default_config_static_selectorELNS0_4arch9wavefront6targetE1EEEvSM_.kd
    .uniform_work_group_size: 1
    .uses_dynamic_stack: false
    .vgpr_count:     34
    .vgpr_spill_count: 0
    .wavefront_size: 64
  - .args:
      - .offset:         0
        .size:           48
        .value_kind:     by_value
    .group_segment_fixed_size: 0
    .kernarg_segment_align: 8
    .kernarg_segment_size: 48
    .language:       OpenCL C
    .language_version:
      - 2
      - 0
    .max_flat_workgroup_size: 256
    .name:           _ZN7rocprim17ROCPRIM_400000_NS6detail17trampoline_kernelINS0_14default_configENS1_22reduce_config_selectorIlEEZNS1_11reduce_implILb1ES3_PlS7_lN6hipcub16HIPCUB_304000_NS6detail34convert_binary_result_type_wrapperINS9_3SumENS9_22TransformInputIteratorIb7NonZeroIaEPalEElEEEE10hipError_tPvRmT1_T2_T3_mT4_P12ihipStream_tbEUlT_E1_NS1_11comp_targetILNS1_3genE10ELNS1_11target_archE1201ELNS1_3gpuE5ELNS1_3repE0EEENS1_30default_config_static_selectorELNS0_4arch9wavefront6targetE1EEEvSM_
    .private_segment_fixed_size: 0
    .sgpr_count:     4
    .sgpr_spill_count: 0
    .symbol:         _ZN7rocprim17ROCPRIM_400000_NS6detail17trampoline_kernelINS0_14default_configENS1_22reduce_config_selectorIlEEZNS1_11reduce_implILb1ES3_PlS7_lN6hipcub16HIPCUB_304000_NS6detail34convert_binary_result_type_wrapperINS9_3SumENS9_22TransformInputIteratorIb7NonZeroIaEPalEElEEEE10hipError_tPvRmT1_T2_T3_mT4_P12ihipStream_tbEUlT_E1_NS1_11comp_targetILNS1_3genE10ELNS1_11target_archE1201ELNS1_3gpuE5ELNS1_3repE0EEENS1_30default_config_static_selectorELNS0_4arch9wavefront6targetE1EEEvSM_.kd
    .uniform_work_group_size: 1
    .uses_dynamic_stack: false
    .vgpr_count:     0
    .vgpr_spill_count: 0
    .wavefront_size: 64
  - .args:
      - .offset:         0
        .size:           48
        .value_kind:     by_value
    .group_segment_fixed_size: 0
    .kernarg_segment_align: 8
    .kernarg_segment_size: 48
    .language:       OpenCL C
    .language_version:
      - 2
      - 0
    .max_flat_workgroup_size: 256
    .name:           _ZN7rocprim17ROCPRIM_400000_NS6detail17trampoline_kernelINS0_14default_configENS1_22reduce_config_selectorIlEEZNS1_11reduce_implILb1ES3_PlS7_lN6hipcub16HIPCUB_304000_NS6detail34convert_binary_result_type_wrapperINS9_3SumENS9_22TransformInputIteratorIb7NonZeroIaEPalEElEEEE10hipError_tPvRmT1_T2_T3_mT4_P12ihipStream_tbEUlT_E1_NS1_11comp_targetILNS1_3genE10ELNS1_11target_archE1200ELNS1_3gpuE4ELNS1_3repE0EEENS1_30default_config_static_selectorELNS0_4arch9wavefront6targetE1EEEvSM_
    .private_segment_fixed_size: 0
    .sgpr_count:     4
    .sgpr_spill_count: 0
    .symbol:         _ZN7rocprim17ROCPRIM_400000_NS6detail17trampoline_kernelINS0_14default_configENS1_22reduce_config_selectorIlEEZNS1_11reduce_implILb1ES3_PlS7_lN6hipcub16HIPCUB_304000_NS6detail34convert_binary_result_type_wrapperINS9_3SumENS9_22TransformInputIteratorIb7NonZeroIaEPalEElEEEE10hipError_tPvRmT1_T2_T3_mT4_P12ihipStream_tbEUlT_E1_NS1_11comp_targetILNS1_3genE10ELNS1_11target_archE1200ELNS1_3gpuE4ELNS1_3repE0EEENS1_30default_config_static_selectorELNS0_4arch9wavefront6targetE1EEEvSM_.kd
    .uniform_work_group_size: 1
    .uses_dynamic_stack: false
    .vgpr_count:     0
    .vgpr_spill_count: 0
    .wavefront_size: 64
  - .args:
      - .offset:         0
        .size:           48
        .value_kind:     by_value
    .group_segment_fixed_size: 0
    .kernarg_segment_align: 8
    .kernarg_segment_size: 48
    .language:       OpenCL C
    .language_version:
      - 2
      - 0
    .max_flat_workgroup_size: 256
    .name:           _ZN7rocprim17ROCPRIM_400000_NS6detail17trampoline_kernelINS0_14default_configENS1_22reduce_config_selectorIlEEZNS1_11reduce_implILb1ES3_PlS7_lN6hipcub16HIPCUB_304000_NS6detail34convert_binary_result_type_wrapperINS9_3SumENS9_22TransformInputIteratorIb7NonZeroIaEPalEElEEEE10hipError_tPvRmT1_T2_T3_mT4_P12ihipStream_tbEUlT_E1_NS1_11comp_targetILNS1_3genE9ELNS1_11target_archE1100ELNS1_3gpuE3ELNS1_3repE0EEENS1_30default_config_static_selectorELNS0_4arch9wavefront6targetE1EEEvSM_
    .private_segment_fixed_size: 0
    .sgpr_count:     4
    .sgpr_spill_count: 0
    .symbol:         _ZN7rocprim17ROCPRIM_400000_NS6detail17trampoline_kernelINS0_14default_configENS1_22reduce_config_selectorIlEEZNS1_11reduce_implILb1ES3_PlS7_lN6hipcub16HIPCUB_304000_NS6detail34convert_binary_result_type_wrapperINS9_3SumENS9_22TransformInputIteratorIb7NonZeroIaEPalEElEEEE10hipError_tPvRmT1_T2_T3_mT4_P12ihipStream_tbEUlT_E1_NS1_11comp_targetILNS1_3genE9ELNS1_11target_archE1100ELNS1_3gpuE3ELNS1_3repE0EEENS1_30default_config_static_selectorELNS0_4arch9wavefront6targetE1EEEvSM_.kd
    .uniform_work_group_size: 1
    .uses_dynamic_stack: false
    .vgpr_count:     0
    .vgpr_spill_count: 0
    .wavefront_size: 64
  - .args:
      - .offset:         0
        .size:           48
        .value_kind:     by_value
    .group_segment_fixed_size: 0
    .kernarg_segment_align: 8
    .kernarg_segment_size: 48
    .language:       OpenCL C
    .language_version:
      - 2
      - 0
    .max_flat_workgroup_size: 256
    .name:           _ZN7rocprim17ROCPRIM_400000_NS6detail17trampoline_kernelINS0_14default_configENS1_22reduce_config_selectorIlEEZNS1_11reduce_implILb1ES3_PlS7_lN6hipcub16HIPCUB_304000_NS6detail34convert_binary_result_type_wrapperINS9_3SumENS9_22TransformInputIteratorIb7NonZeroIaEPalEElEEEE10hipError_tPvRmT1_T2_T3_mT4_P12ihipStream_tbEUlT_E1_NS1_11comp_targetILNS1_3genE8ELNS1_11target_archE1030ELNS1_3gpuE2ELNS1_3repE0EEENS1_30default_config_static_selectorELNS0_4arch9wavefront6targetE1EEEvSM_
    .private_segment_fixed_size: 0
    .sgpr_count:     4
    .sgpr_spill_count: 0
    .symbol:         _ZN7rocprim17ROCPRIM_400000_NS6detail17trampoline_kernelINS0_14default_configENS1_22reduce_config_selectorIlEEZNS1_11reduce_implILb1ES3_PlS7_lN6hipcub16HIPCUB_304000_NS6detail34convert_binary_result_type_wrapperINS9_3SumENS9_22TransformInputIteratorIb7NonZeroIaEPalEElEEEE10hipError_tPvRmT1_T2_T3_mT4_P12ihipStream_tbEUlT_E1_NS1_11comp_targetILNS1_3genE8ELNS1_11target_archE1030ELNS1_3gpuE2ELNS1_3repE0EEENS1_30default_config_static_selectorELNS0_4arch9wavefront6targetE1EEEvSM_.kd
    .uniform_work_group_size: 1
    .uses_dynamic_stack: false
    .vgpr_count:     0
    .vgpr_spill_count: 0
    .wavefront_size: 64
  - .args:
      - .offset:         0
        .size:           72
        .value_kind:     by_value
    .group_segment_fixed_size: 0
    .kernarg_segment_align: 8
    .kernarg_segment_size: 72
    .language:       OpenCL C
    .language_version:
      - 2
      - 0
    .max_flat_workgroup_size: 256
    .name:           _ZN7rocprim17ROCPRIM_400000_NS6detail17trampoline_kernelINS0_14default_configENS1_22reduce_config_selectorIbEEZNS1_11reduce_implILb1ES3_N6hipcub16HIPCUB_304000_NS22TransformInputIteratorIb7NonZeroIaEPalEEPllNS8_6detail34convert_binary_result_type_wrapperINS8_3SumESD_lEEEE10hipError_tPvRmT1_T2_T3_mT4_P12ihipStream_tbEUlT_E0_NS1_11comp_targetILNS1_3genE0ELNS1_11target_archE4294967295ELNS1_3gpuE0ELNS1_3repE0EEENS1_30default_config_static_selectorELNS0_4arch9wavefront6targetE1EEEvSM_
    .private_segment_fixed_size: 0
    .sgpr_count:     4
    .sgpr_spill_count: 0
    .symbol:         _ZN7rocprim17ROCPRIM_400000_NS6detail17trampoline_kernelINS0_14default_configENS1_22reduce_config_selectorIbEEZNS1_11reduce_implILb1ES3_N6hipcub16HIPCUB_304000_NS22TransformInputIteratorIb7NonZeroIaEPalEEPllNS8_6detail34convert_binary_result_type_wrapperINS8_3SumESD_lEEEE10hipError_tPvRmT1_T2_T3_mT4_P12ihipStream_tbEUlT_E0_NS1_11comp_targetILNS1_3genE0ELNS1_11target_archE4294967295ELNS1_3gpuE0ELNS1_3repE0EEENS1_30default_config_static_selectorELNS0_4arch9wavefront6targetE1EEEvSM_.kd
    .uniform_work_group_size: 1
    .uses_dynamic_stack: false
    .vgpr_count:     0
    .vgpr_spill_count: 0
    .wavefront_size: 64
  - .args:
      - .offset:         0
        .size:           72
        .value_kind:     by_value
    .group_segment_fixed_size: 0
    .kernarg_segment_align: 8
    .kernarg_segment_size: 72
    .language:       OpenCL C
    .language_version:
      - 2
      - 0
    .max_flat_workgroup_size: 256
    .name:           _ZN7rocprim17ROCPRIM_400000_NS6detail17trampoline_kernelINS0_14default_configENS1_22reduce_config_selectorIbEEZNS1_11reduce_implILb1ES3_N6hipcub16HIPCUB_304000_NS22TransformInputIteratorIb7NonZeroIaEPalEEPllNS8_6detail34convert_binary_result_type_wrapperINS8_3SumESD_lEEEE10hipError_tPvRmT1_T2_T3_mT4_P12ihipStream_tbEUlT_E0_NS1_11comp_targetILNS1_3genE5ELNS1_11target_archE942ELNS1_3gpuE9ELNS1_3repE0EEENS1_30default_config_static_selectorELNS0_4arch9wavefront6targetE1EEEvSM_
    .private_segment_fixed_size: 0
    .sgpr_count:     4
    .sgpr_spill_count: 0
    .symbol:         _ZN7rocprim17ROCPRIM_400000_NS6detail17trampoline_kernelINS0_14default_configENS1_22reduce_config_selectorIbEEZNS1_11reduce_implILb1ES3_N6hipcub16HIPCUB_304000_NS22TransformInputIteratorIb7NonZeroIaEPalEEPllNS8_6detail34convert_binary_result_type_wrapperINS8_3SumESD_lEEEE10hipError_tPvRmT1_T2_T3_mT4_P12ihipStream_tbEUlT_E0_NS1_11comp_targetILNS1_3genE5ELNS1_11target_archE942ELNS1_3gpuE9ELNS1_3repE0EEENS1_30default_config_static_selectorELNS0_4arch9wavefront6targetE1EEEvSM_.kd
    .uniform_work_group_size: 1
    .uses_dynamic_stack: false
    .vgpr_count:     0
    .vgpr_spill_count: 0
    .wavefront_size: 64
  - .args:
      - .offset:         0
        .size:           72
        .value_kind:     by_value
    .group_segment_fixed_size: 0
    .kernarg_segment_align: 8
    .kernarg_segment_size: 72
    .language:       OpenCL C
    .language_version:
      - 2
      - 0
    .max_flat_workgroup_size: 128
    .name:           _ZN7rocprim17ROCPRIM_400000_NS6detail17trampoline_kernelINS0_14default_configENS1_22reduce_config_selectorIbEEZNS1_11reduce_implILb1ES3_N6hipcub16HIPCUB_304000_NS22TransformInputIteratorIb7NonZeroIaEPalEEPllNS8_6detail34convert_binary_result_type_wrapperINS8_3SumESD_lEEEE10hipError_tPvRmT1_T2_T3_mT4_P12ihipStream_tbEUlT_E0_NS1_11comp_targetILNS1_3genE4ELNS1_11target_archE910ELNS1_3gpuE8ELNS1_3repE0EEENS1_30default_config_static_selectorELNS0_4arch9wavefront6targetE1EEEvSM_
    .private_segment_fixed_size: 0
    .sgpr_count:     4
    .sgpr_spill_count: 0
    .symbol:         _ZN7rocprim17ROCPRIM_400000_NS6detail17trampoline_kernelINS0_14default_configENS1_22reduce_config_selectorIbEEZNS1_11reduce_implILb1ES3_N6hipcub16HIPCUB_304000_NS22TransformInputIteratorIb7NonZeroIaEPalEEPllNS8_6detail34convert_binary_result_type_wrapperINS8_3SumESD_lEEEE10hipError_tPvRmT1_T2_T3_mT4_P12ihipStream_tbEUlT_E0_NS1_11comp_targetILNS1_3genE4ELNS1_11target_archE910ELNS1_3gpuE8ELNS1_3repE0EEENS1_30default_config_static_selectorELNS0_4arch9wavefront6targetE1EEEvSM_.kd
    .uniform_work_group_size: 1
    .uses_dynamic_stack: false
    .vgpr_count:     0
    .vgpr_spill_count: 0
    .wavefront_size: 64
  - .args:
      - .offset:         0
        .size:           72
        .value_kind:     by_value
    .group_segment_fixed_size: 0
    .kernarg_segment_align: 8
    .kernarg_segment_size: 72
    .language:       OpenCL C
    .language_version:
      - 2
      - 0
    .max_flat_workgroup_size: 256
    .name:           _ZN7rocprim17ROCPRIM_400000_NS6detail17trampoline_kernelINS0_14default_configENS1_22reduce_config_selectorIbEEZNS1_11reduce_implILb1ES3_N6hipcub16HIPCUB_304000_NS22TransformInputIteratorIb7NonZeroIaEPalEEPllNS8_6detail34convert_binary_result_type_wrapperINS8_3SumESD_lEEEE10hipError_tPvRmT1_T2_T3_mT4_P12ihipStream_tbEUlT_E0_NS1_11comp_targetILNS1_3genE3ELNS1_11target_archE908ELNS1_3gpuE7ELNS1_3repE0EEENS1_30default_config_static_selectorELNS0_4arch9wavefront6targetE1EEEvSM_
    .private_segment_fixed_size: 0
    .sgpr_count:     4
    .sgpr_spill_count: 0
    .symbol:         _ZN7rocprim17ROCPRIM_400000_NS6detail17trampoline_kernelINS0_14default_configENS1_22reduce_config_selectorIbEEZNS1_11reduce_implILb1ES3_N6hipcub16HIPCUB_304000_NS22TransformInputIteratorIb7NonZeroIaEPalEEPllNS8_6detail34convert_binary_result_type_wrapperINS8_3SumESD_lEEEE10hipError_tPvRmT1_T2_T3_mT4_P12ihipStream_tbEUlT_E0_NS1_11comp_targetILNS1_3genE3ELNS1_11target_archE908ELNS1_3gpuE7ELNS1_3repE0EEENS1_30default_config_static_selectorELNS0_4arch9wavefront6targetE1EEEvSM_.kd
    .uniform_work_group_size: 1
    .uses_dynamic_stack: false
    .vgpr_count:     0
    .vgpr_spill_count: 0
    .wavefront_size: 64
  - .args:
      - .offset:         0
        .size:           72
        .value_kind:     by_value
    .group_segment_fixed_size: 32
    .kernarg_segment_align: 8
    .kernarg_segment_size: 72
    .language:       OpenCL C
    .language_version:
      - 2
      - 0
    .max_flat_workgroup_size: 128
    .name:           _ZN7rocprim17ROCPRIM_400000_NS6detail17trampoline_kernelINS0_14default_configENS1_22reduce_config_selectorIbEEZNS1_11reduce_implILb1ES3_N6hipcub16HIPCUB_304000_NS22TransformInputIteratorIb7NonZeroIaEPalEEPllNS8_6detail34convert_binary_result_type_wrapperINS8_3SumESD_lEEEE10hipError_tPvRmT1_T2_T3_mT4_P12ihipStream_tbEUlT_E0_NS1_11comp_targetILNS1_3genE2ELNS1_11target_archE906ELNS1_3gpuE6ELNS1_3repE0EEENS1_30default_config_static_selectorELNS0_4arch9wavefront6targetE1EEEvSM_
    .private_segment_fixed_size: 0
    .sgpr_count:     22
    .sgpr_spill_count: 0
    .symbol:         _ZN7rocprim17ROCPRIM_400000_NS6detail17trampoline_kernelINS0_14default_configENS1_22reduce_config_selectorIbEEZNS1_11reduce_implILb1ES3_N6hipcub16HIPCUB_304000_NS22TransformInputIteratorIb7NonZeroIaEPalEEPllNS8_6detail34convert_binary_result_type_wrapperINS8_3SumESD_lEEEE10hipError_tPvRmT1_T2_T3_mT4_P12ihipStream_tbEUlT_E0_NS1_11comp_targetILNS1_3genE2ELNS1_11target_archE906ELNS1_3gpuE6ELNS1_3repE0EEENS1_30default_config_static_selectorELNS0_4arch9wavefront6targetE1EEEvSM_.kd
    .uniform_work_group_size: 1
    .uses_dynamic_stack: false
    .vgpr_count:     35
    .vgpr_spill_count: 0
    .wavefront_size: 64
  - .args:
      - .offset:         0
        .size:           72
        .value_kind:     by_value
    .group_segment_fixed_size: 0
    .kernarg_segment_align: 8
    .kernarg_segment_size: 72
    .language:       OpenCL C
    .language_version:
      - 2
      - 0
    .max_flat_workgroup_size: 256
    .name:           _ZN7rocprim17ROCPRIM_400000_NS6detail17trampoline_kernelINS0_14default_configENS1_22reduce_config_selectorIbEEZNS1_11reduce_implILb1ES3_N6hipcub16HIPCUB_304000_NS22TransformInputIteratorIb7NonZeroIaEPalEEPllNS8_6detail34convert_binary_result_type_wrapperINS8_3SumESD_lEEEE10hipError_tPvRmT1_T2_T3_mT4_P12ihipStream_tbEUlT_E0_NS1_11comp_targetILNS1_3genE10ELNS1_11target_archE1201ELNS1_3gpuE5ELNS1_3repE0EEENS1_30default_config_static_selectorELNS0_4arch9wavefront6targetE1EEEvSM_
    .private_segment_fixed_size: 0
    .sgpr_count:     4
    .sgpr_spill_count: 0
    .symbol:         _ZN7rocprim17ROCPRIM_400000_NS6detail17trampoline_kernelINS0_14default_configENS1_22reduce_config_selectorIbEEZNS1_11reduce_implILb1ES3_N6hipcub16HIPCUB_304000_NS22TransformInputIteratorIb7NonZeroIaEPalEEPllNS8_6detail34convert_binary_result_type_wrapperINS8_3SumESD_lEEEE10hipError_tPvRmT1_T2_T3_mT4_P12ihipStream_tbEUlT_E0_NS1_11comp_targetILNS1_3genE10ELNS1_11target_archE1201ELNS1_3gpuE5ELNS1_3repE0EEENS1_30default_config_static_selectorELNS0_4arch9wavefront6targetE1EEEvSM_.kd
    .uniform_work_group_size: 1
    .uses_dynamic_stack: false
    .vgpr_count:     0
    .vgpr_spill_count: 0
    .wavefront_size: 64
  - .args:
      - .offset:         0
        .size:           72
        .value_kind:     by_value
    .group_segment_fixed_size: 0
    .kernarg_segment_align: 8
    .kernarg_segment_size: 72
    .language:       OpenCL C
    .language_version:
      - 2
      - 0
    .max_flat_workgroup_size: 256
    .name:           _ZN7rocprim17ROCPRIM_400000_NS6detail17trampoline_kernelINS0_14default_configENS1_22reduce_config_selectorIbEEZNS1_11reduce_implILb1ES3_N6hipcub16HIPCUB_304000_NS22TransformInputIteratorIb7NonZeroIaEPalEEPllNS8_6detail34convert_binary_result_type_wrapperINS8_3SumESD_lEEEE10hipError_tPvRmT1_T2_T3_mT4_P12ihipStream_tbEUlT_E0_NS1_11comp_targetILNS1_3genE10ELNS1_11target_archE1200ELNS1_3gpuE4ELNS1_3repE0EEENS1_30default_config_static_selectorELNS0_4arch9wavefront6targetE1EEEvSM_
    .private_segment_fixed_size: 0
    .sgpr_count:     4
    .sgpr_spill_count: 0
    .symbol:         _ZN7rocprim17ROCPRIM_400000_NS6detail17trampoline_kernelINS0_14default_configENS1_22reduce_config_selectorIbEEZNS1_11reduce_implILb1ES3_N6hipcub16HIPCUB_304000_NS22TransformInputIteratorIb7NonZeroIaEPalEEPllNS8_6detail34convert_binary_result_type_wrapperINS8_3SumESD_lEEEE10hipError_tPvRmT1_T2_T3_mT4_P12ihipStream_tbEUlT_E0_NS1_11comp_targetILNS1_3genE10ELNS1_11target_archE1200ELNS1_3gpuE4ELNS1_3repE0EEENS1_30default_config_static_selectorELNS0_4arch9wavefront6targetE1EEEvSM_.kd
    .uniform_work_group_size: 1
    .uses_dynamic_stack: false
    .vgpr_count:     0
    .vgpr_spill_count: 0
    .wavefront_size: 64
  - .args:
      - .offset:         0
        .size:           72
        .value_kind:     by_value
    .group_segment_fixed_size: 0
    .kernarg_segment_align: 8
    .kernarg_segment_size: 72
    .language:       OpenCL C
    .language_version:
      - 2
      - 0
    .max_flat_workgroup_size: 128
    .name:           _ZN7rocprim17ROCPRIM_400000_NS6detail17trampoline_kernelINS0_14default_configENS1_22reduce_config_selectorIbEEZNS1_11reduce_implILb1ES3_N6hipcub16HIPCUB_304000_NS22TransformInputIteratorIb7NonZeroIaEPalEEPllNS8_6detail34convert_binary_result_type_wrapperINS8_3SumESD_lEEEE10hipError_tPvRmT1_T2_T3_mT4_P12ihipStream_tbEUlT_E0_NS1_11comp_targetILNS1_3genE9ELNS1_11target_archE1100ELNS1_3gpuE3ELNS1_3repE0EEENS1_30default_config_static_selectorELNS0_4arch9wavefront6targetE1EEEvSM_
    .private_segment_fixed_size: 0
    .sgpr_count:     4
    .sgpr_spill_count: 0
    .symbol:         _ZN7rocprim17ROCPRIM_400000_NS6detail17trampoline_kernelINS0_14default_configENS1_22reduce_config_selectorIbEEZNS1_11reduce_implILb1ES3_N6hipcub16HIPCUB_304000_NS22TransformInputIteratorIb7NonZeroIaEPalEEPllNS8_6detail34convert_binary_result_type_wrapperINS8_3SumESD_lEEEE10hipError_tPvRmT1_T2_T3_mT4_P12ihipStream_tbEUlT_E0_NS1_11comp_targetILNS1_3genE9ELNS1_11target_archE1100ELNS1_3gpuE3ELNS1_3repE0EEENS1_30default_config_static_selectorELNS0_4arch9wavefront6targetE1EEEvSM_.kd
    .uniform_work_group_size: 1
    .uses_dynamic_stack: false
    .vgpr_count:     0
    .vgpr_spill_count: 0
    .wavefront_size: 64
  - .args:
      - .offset:         0
        .size:           72
        .value_kind:     by_value
    .group_segment_fixed_size: 0
    .kernarg_segment_align: 8
    .kernarg_segment_size: 72
    .language:       OpenCL C
    .language_version:
      - 2
      - 0
    .max_flat_workgroup_size: 256
    .name:           _ZN7rocprim17ROCPRIM_400000_NS6detail17trampoline_kernelINS0_14default_configENS1_22reduce_config_selectorIbEEZNS1_11reduce_implILb1ES3_N6hipcub16HIPCUB_304000_NS22TransformInputIteratorIb7NonZeroIaEPalEEPllNS8_6detail34convert_binary_result_type_wrapperINS8_3SumESD_lEEEE10hipError_tPvRmT1_T2_T3_mT4_P12ihipStream_tbEUlT_E0_NS1_11comp_targetILNS1_3genE8ELNS1_11target_archE1030ELNS1_3gpuE2ELNS1_3repE0EEENS1_30default_config_static_selectorELNS0_4arch9wavefront6targetE1EEEvSM_
    .private_segment_fixed_size: 0
    .sgpr_count:     4
    .sgpr_spill_count: 0
    .symbol:         _ZN7rocprim17ROCPRIM_400000_NS6detail17trampoline_kernelINS0_14default_configENS1_22reduce_config_selectorIbEEZNS1_11reduce_implILb1ES3_N6hipcub16HIPCUB_304000_NS22TransformInputIteratorIb7NonZeroIaEPalEEPllNS8_6detail34convert_binary_result_type_wrapperINS8_3SumESD_lEEEE10hipError_tPvRmT1_T2_T3_mT4_P12ihipStream_tbEUlT_E0_NS1_11comp_targetILNS1_3genE8ELNS1_11target_archE1030ELNS1_3gpuE2ELNS1_3repE0EEENS1_30default_config_static_selectorELNS0_4arch9wavefront6targetE1EEEvSM_.kd
    .uniform_work_group_size: 1
    .uses_dynamic_stack: false
    .vgpr_count:     0
    .vgpr_spill_count: 0
    .wavefront_size: 64
  - .args:
      - .offset:         0
        .size:           56
        .value_kind:     by_value
    .group_segment_fixed_size: 0
    .kernarg_segment_align: 8
    .kernarg_segment_size: 56
    .language:       OpenCL C
    .language_version:
      - 2
      - 0
    .max_flat_workgroup_size: 256
    .name:           _ZN7rocprim17ROCPRIM_400000_NS6detail17trampoline_kernelINS0_14default_configENS1_22reduce_config_selectorIbEEZNS1_11reduce_implILb1ES3_N6hipcub16HIPCUB_304000_NS22TransformInputIteratorIb7NonZeroIaEPalEEPllNS8_6detail34convert_binary_result_type_wrapperINS8_3SumESD_lEEEE10hipError_tPvRmT1_T2_T3_mT4_P12ihipStream_tbEUlT_E1_NS1_11comp_targetILNS1_3genE0ELNS1_11target_archE4294967295ELNS1_3gpuE0ELNS1_3repE0EEENS1_30default_config_static_selectorELNS0_4arch9wavefront6targetE1EEEvSM_
    .private_segment_fixed_size: 0
    .sgpr_count:     4
    .sgpr_spill_count: 0
    .symbol:         _ZN7rocprim17ROCPRIM_400000_NS6detail17trampoline_kernelINS0_14default_configENS1_22reduce_config_selectorIbEEZNS1_11reduce_implILb1ES3_N6hipcub16HIPCUB_304000_NS22TransformInputIteratorIb7NonZeroIaEPalEEPllNS8_6detail34convert_binary_result_type_wrapperINS8_3SumESD_lEEEE10hipError_tPvRmT1_T2_T3_mT4_P12ihipStream_tbEUlT_E1_NS1_11comp_targetILNS1_3genE0ELNS1_11target_archE4294967295ELNS1_3gpuE0ELNS1_3repE0EEENS1_30default_config_static_selectorELNS0_4arch9wavefront6targetE1EEEvSM_.kd
    .uniform_work_group_size: 1
    .uses_dynamic_stack: false
    .vgpr_count:     0
    .vgpr_spill_count: 0
    .wavefront_size: 64
  - .args:
      - .offset:         0
        .size:           56
        .value_kind:     by_value
    .group_segment_fixed_size: 0
    .kernarg_segment_align: 8
    .kernarg_segment_size: 56
    .language:       OpenCL C
    .language_version:
      - 2
      - 0
    .max_flat_workgroup_size: 256
    .name:           _ZN7rocprim17ROCPRIM_400000_NS6detail17trampoline_kernelINS0_14default_configENS1_22reduce_config_selectorIbEEZNS1_11reduce_implILb1ES3_N6hipcub16HIPCUB_304000_NS22TransformInputIteratorIb7NonZeroIaEPalEEPllNS8_6detail34convert_binary_result_type_wrapperINS8_3SumESD_lEEEE10hipError_tPvRmT1_T2_T3_mT4_P12ihipStream_tbEUlT_E1_NS1_11comp_targetILNS1_3genE5ELNS1_11target_archE942ELNS1_3gpuE9ELNS1_3repE0EEENS1_30default_config_static_selectorELNS0_4arch9wavefront6targetE1EEEvSM_
    .private_segment_fixed_size: 0
    .sgpr_count:     4
    .sgpr_spill_count: 0
    .symbol:         _ZN7rocprim17ROCPRIM_400000_NS6detail17trampoline_kernelINS0_14default_configENS1_22reduce_config_selectorIbEEZNS1_11reduce_implILb1ES3_N6hipcub16HIPCUB_304000_NS22TransformInputIteratorIb7NonZeroIaEPalEEPllNS8_6detail34convert_binary_result_type_wrapperINS8_3SumESD_lEEEE10hipError_tPvRmT1_T2_T3_mT4_P12ihipStream_tbEUlT_E1_NS1_11comp_targetILNS1_3genE5ELNS1_11target_archE942ELNS1_3gpuE9ELNS1_3repE0EEENS1_30default_config_static_selectorELNS0_4arch9wavefront6targetE1EEEvSM_.kd
    .uniform_work_group_size: 1
    .uses_dynamic_stack: false
    .vgpr_count:     0
    .vgpr_spill_count: 0
    .wavefront_size: 64
  - .args:
      - .offset:         0
        .size:           56
        .value_kind:     by_value
    .group_segment_fixed_size: 0
    .kernarg_segment_align: 8
    .kernarg_segment_size: 56
    .language:       OpenCL C
    .language_version:
      - 2
      - 0
    .max_flat_workgroup_size: 128
    .name:           _ZN7rocprim17ROCPRIM_400000_NS6detail17trampoline_kernelINS0_14default_configENS1_22reduce_config_selectorIbEEZNS1_11reduce_implILb1ES3_N6hipcub16HIPCUB_304000_NS22TransformInputIteratorIb7NonZeroIaEPalEEPllNS8_6detail34convert_binary_result_type_wrapperINS8_3SumESD_lEEEE10hipError_tPvRmT1_T2_T3_mT4_P12ihipStream_tbEUlT_E1_NS1_11comp_targetILNS1_3genE4ELNS1_11target_archE910ELNS1_3gpuE8ELNS1_3repE0EEENS1_30default_config_static_selectorELNS0_4arch9wavefront6targetE1EEEvSM_
    .private_segment_fixed_size: 0
    .sgpr_count:     4
    .sgpr_spill_count: 0
    .symbol:         _ZN7rocprim17ROCPRIM_400000_NS6detail17trampoline_kernelINS0_14default_configENS1_22reduce_config_selectorIbEEZNS1_11reduce_implILb1ES3_N6hipcub16HIPCUB_304000_NS22TransformInputIteratorIb7NonZeroIaEPalEEPllNS8_6detail34convert_binary_result_type_wrapperINS8_3SumESD_lEEEE10hipError_tPvRmT1_T2_T3_mT4_P12ihipStream_tbEUlT_E1_NS1_11comp_targetILNS1_3genE4ELNS1_11target_archE910ELNS1_3gpuE8ELNS1_3repE0EEENS1_30default_config_static_selectorELNS0_4arch9wavefront6targetE1EEEvSM_.kd
    .uniform_work_group_size: 1
    .uses_dynamic_stack: false
    .vgpr_count:     0
    .vgpr_spill_count: 0
    .wavefront_size: 64
  - .args:
      - .offset:         0
        .size:           56
        .value_kind:     by_value
    .group_segment_fixed_size: 0
    .kernarg_segment_align: 8
    .kernarg_segment_size: 56
    .language:       OpenCL C
    .language_version:
      - 2
      - 0
    .max_flat_workgroup_size: 256
    .name:           _ZN7rocprim17ROCPRIM_400000_NS6detail17trampoline_kernelINS0_14default_configENS1_22reduce_config_selectorIbEEZNS1_11reduce_implILb1ES3_N6hipcub16HIPCUB_304000_NS22TransformInputIteratorIb7NonZeroIaEPalEEPllNS8_6detail34convert_binary_result_type_wrapperINS8_3SumESD_lEEEE10hipError_tPvRmT1_T2_T3_mT4_P12ihipStream_tbEUlT_E1_NS1_11comp_targetILNS1_3genE3ELNS1_11target_archE908ELNS1_3gpuE7ELNS1_3repE0EEENS1_30default_config_static_selectorELNS0_4arch9wavefront6targetE1EEEvSM_
    .private_segment_fixed_size: 0
    .sgpr_count:     4
    .sgpr_spill_count: 0
    .symbol:         _ZN7rocprim17ROCPRIM_400000_NS6detail17trampoline_kernelINS0_14default_configENS1_22reduce_config_selectorIbEEZNS1_11reduce_implILb1ES3_N6hipcub16HIPCUB_304000_NS22TransformInputIteratorIb7NonZeroIaEPalEEPllNS8_6detail34convert_binary_result_type_wrapperINS8_3SumESD_lEEEE10hipError_tPvRmT1_T2_T3_mT4_P12ihipStream_tbEUlT_E1_NS1_11comp_targetILNS1_3genE3ELNS1_11target_archE908ELNS1_3gpuE7ELNS1_3repE0EEENS1_30default_config_static_selectorELNS0_4arch9wavefront6targetE1EEEvSM_.kd
    .uniform_work_group_size: 1
    .uses_dynamic_stack: false
    .vgpr_count:     0
    .vgpr_spill_count: 0
    .wavefront_size: 64
  - .args:
      - .offset:         0
        .size:           56
        .value_kind:     by_value
    .group_segment_fixed_size: 144
    .kernarg_segment_align: 8
    .kernarg_segment_size: 56
    .language:       OpenCL C
    .language_version:
      - 2
      - 0
    .max_flat_workgroup_size: 128
    .name:           _ZN7rocprim17ROCPRIM_400000_NS6detail17trampoline_kernelINS0_14default_configENS1_22reduce_config_selectorIbEEZNS1_11reduce_implILb1ES3_N6hipcub16HIPCUB_304000_NS22TransformInputIteratorIb7NonZeroIaEPalEEPllNS8_6detail34convert_binary_result_type_wrapperINS8_3SumESD_lEEEE10hipError_tPvRmT1_T2_T3_mT4_P12ihipStream_tbEUlT_E1_NS1_11comp_targetILNS1_3genE2ELNS1_11target_archE906ELNS1_3gpuE6ELNS1_3repE0EEENS1_30default_config_static_selectorELNS0_4arch9wavefront6targetE1EEEvSM_
    .private_segment_fixed_size: 20
    .sgpr_count:     44
    .sgpr_spill_count: 0
    .symbol:         _ZN7rocprim17ROCPRIM_400000_NS6detail17trampoline_kernelINS0_14default_configENS1_22reduce_config_selectorIbEEZNS1_11reduce_implILb1ES3_N6hipcub16HIPCUB_304000_NS22TransformInputIteratorIb7NonZeroIaEPalEEPllNS8_6detail34convert_binary_result_type_wrapperINS8_3SumESD_lEEEE10hipError_tPvRmT1_T2_T3_mT4_P12ihipStream_tbEUlT_E1_NS1_11comp_targetILNS1_3genE2ELNS1_11target_archE906ELNS1_3gpuE6ELNS1_3repE0EEENS1_30default_config_static_selectorELNS0_4arch9wavefront6targetE1EEEvSM_.kd
    .uniform_work_group_size: 1
    .uses_dynamic_stack: false
    .vgpr_count:     256
    .vgpr_spill_count: 6
    .wavefront_size: 64
  - .args:
      - .offset:         0
        .size:           56
        .value_kind:     by_value
    .group_segment_fixed_size: 0
    .kernarg_segment_align: 8
    .kernarg_segment_size: 56
    .language:       OpenCL C
    .language_version:
      - 2
      - 0
    .max_flat_workgroup_size: 256
    .name:           _ZN7rocprim17ROCPRIM_400000_NS6detail17trampoline_kernelINS0_14default_configENS1_22reduce_config_selectorIbEEZNS1_11reduce_implILb1ES3_N6hipcub16HIPCUB_304000_NS22TransformInputIteratorIb7NonZeroIaEPalEEPllNS8_6detail34convert_binary_result_type_wrapperINS8_3SumESD_lEEEE10hipError_tPvRmT1_T2_T3_mT4_P12ihipStream_tbEUlT_E1_NS1_11comp_targetILNS1_3genE10ELNS1_11target_archE1201ELNS1_3gpuE5ELNS1_3repE0EEENS1_30default_config_static_selectorELNS0_4arch9wavefront6targetE1EEEvSM_
    .private_segment_fixed_size: 0
    .sgpr_count:     4
    .sgpr_spill_count: 0
    .symbol:         _ZN7rocprim17ROCPRIM_400000_NS6detail17trampoline_kernelINS0_14default_configENS1_22reduce_config_selectorIbEEZNS1_11reduce_implILb1ES3_N6hipcub16HIPCUB_304000_NS22TransformInputIteratorIb7NonZeroIaEPalEEPllNS8_6detail34convert_binary_result_type_wrapperINS8_3SumESD_lEEEE10hipError_tPvRmT1_T2_T3_mT4_P12ihipStream_tbEUlT_E1_NS1_11comp_targetILNS1_3genE10ELNS1_11target_archE1201ELNS1_3gpuE5ELNS1_3repE0EEENS1_30default_config_static_selectorELNS0_4arch9wavefront6targetE1EEEvSM_.kd
    .uniform_work_group_size: 1
    .uses_dynamic_stack: false
    .vgpr_count:     0
    .vgpr_spill_count: 0
    .wavefront_size: 64
  - .args:
      - .offset:         0
        .size:           56
        .value_kind:     by_value
    .group_segment_fixed_size: 0
    .kernarg_segment_align: 8
    .kernarg_segment_size: 56
    .language:       OpenCL C
    .language_version:
      - 2
      - 0
    .max_flat_workgroup_size: 256
    .name:           _ZN7rocprim17ROCPRIM_400000_NS6detail17trampoline_kernelINS0_14default_configENS1_22reduce_config_selectorIbEEZNS1_11reduce_implILb1ES3_N6hipcub16HIPCUB_304000_NS22TransformInputIteratorIb7NonZeroIaEPalEEPllNS8_6detail34convert_binary_result_type_wrapperINS8_3SumESD_lEEEE10hipError_tPvRmT1_T2_T3_mT4_P12ihipStream_tbEUlT_E1_NS1_11comp_targetILNS1_3genE10ELNS1_11target_archE1200ELNS1_3gpuE4ELNS1_3repE0EEENS1_30default_config_static_selectorELNS0_4arch9wavefront6targetE1EEEvSM_
    .private_segment_fixed_size: 0
    .sgpr_count:     4
    .sgpr_spill_count: 0
    .symbol:         _ZN7rocprim17ROCPRIM_400000_NS6detail17trampoline_kernelINS0_14default_configENS1_22reduce_config_selectorIbEEZNS1_11reduce_implILb1ES3_N6hipcub16HIPCUB_304000_NS22TransformInputIteratorIb7NonZeroIaEPalEEPllNS8_6detail34convert_binary_result_type_wrapperINS8_3SumESD_lEEEE10hipError_tPvRmT1_T2_T3_mT4_P12ihipStream_tbEUlT_E1_NS1_11comp_targetILNS1_3genE10ELNS1_11target_archE1200ELNS1_3gpuE4ELNS1_3repE0EEENS1_30default_config_static_selectorELNS0_4arch9wavefront6targetE1EEEvSM_.kd
    .uniform_work_group_size: 1
    .uses_dynamic_stack: false
    .vgpr_count:     0
    .vgpr_spill_count: 0
    .wavefront_size: 64
  - .args:
      - .offset:         0
        .size:           56
        .value_kind:     by_value
    .group_segment_fixed_size: 0
    .kernarg_segment_align: 8
    .kernarg_segment_size: 56
    .language:       OpenCL C
    .language_version:
      - 2
      - 0
    .max_flat_workgroup_size: 128
    .name:           _ZN7rocprim17ROCPRIM_400000_NS6detail17trampoline_kernelINS0_14default_configENS1_22reduce_config_selectorIbEEZNS1_11reduce_implILb1ES3_N6hipcub16HIPCUB_304000_NS22TransformInputIteratorIb7NonZeroIaEPalEEPllNS8_6detail34convert_binary_result_type_wrapperINS8_3SumESD_lEEEE10hipError_tPvRmT1_T2_T3_mT4_P12ihipStream_tbEUlT_E1_NS1_11comp_targetILNS1_3genE9ELNS1_11target_archE1100ELNS1_3gpuE3ELNS1_3repE0EEENS1_30default_config_static_selectorELNS0_4arch9wavefront6targetE1EEEvSM_
    .private_segment_fixed_size: 0
    .sgpr_count:     4
    .sgpr_spill_count: 0
    .symbol:         _ZN7rocprim17ROCPRIM_400000_NS6detail17trampoline_kernelINS0_14default_configENS1_22reduce_config_selectorIbEEZNS1_11reduce_implILb1ES3_N6hipcub16HIPCUB_304000_NS22TransformInputIteratorIb7NonZeroIaEPalEEPllNS8_6detail34convert_binary_result_type_wrapperINS8_3SumESD_lEEEE10hipError_tPvRmT1_T2_T3_mT4_P12ihipStream_tbEUlT_E1_NS1_11comp_targetILNS1_3genE9ELNS1_11target_archE1100ELNS1_3gpuE3ELNS1_3repE0EEENS1_30default_config_static_selectorELNS0_4arch9wavefront6targetE1EEEvSM_.kd
    .uniform_work_group_size: 1
    .uses_dynamic_stack: false
    .vgpr_count:     0
    .vgpr_spill_count: 0
    .wavefront_size: 64
  - .args:
      - .offset:         0
        .size:           56
        .value_kind:     by_value
    .group_segment_fixed_size: 0
    .kernarg_segment_align: 8
    .kernarg_segment_size: 56
    .language:       OpenCL C
    .language_version:
      - 2
      - 0
    .max_flat_workgroup_size: 256
    .name:           _ZN7rocprim17ROCPRIM_400000_NS6detail17trampoline_kernelINS0_14default_configENS1_22reduce_config_selectorIbEEZNS1_11reduce_implILb1ES3_N6hipcub16HIPCUB_304000_NS22TransformInputIteratorIb7NonZeroIaEPalEEPllNS8_6detail34convert_binary_result_type_wrapperINS8_3SumESD_lEEEE10hipError_tPvRmT1_T2_T3_mT4_P12ihipStream_tbEUlT_E1_NS1_11comp_targetILNS1_3genE8ELNS1_11target_archE1030ELNS1_3gpuE2ELNS1_3repE0EEENS1_30default_config_static_selectorELNS0_4arch9wavefront6targetE1EEEvSM_
    .private_segment_fixed_size: 0
    .sgpr_count:     4
    .sgpr_spill_count: 0
    .symbol:         _ZN7rocprim17ROCPRIM_400000_NS6detail17trampoline_kernelINS0_14default_configENS1_22reduce_config_selectorIbEEZNS1_11reduce_implILb1ES3_N6hipcub16HIPCUB_304000_NS22TransformInputIteratorIb7NonZeroIaEPalEEPllNS8_6detail34convert_binary_result_type_wrapperINS8_3SumESD_lEEEE10hipError_tPvRmT1_T2_T3_mT4_P12ihipStream_tbEUlT_E1_NS1_11comp_targetILNS1_3genE8ELNS1_11target_archE1030ELNS1_3gpuE2ELNS1_3repE0EEENS1_30default_config_static_selectorELNS0_4arch9wavefront6targetE1EEEvSM_.kd
    .uniform_work_group_size: 1
    .uses_dynamic_stack: false
    .vgpr_count:     0
    .vgpr_spill_count: 0
    .wavefront_size: 64
  - .args:
      - .address_space:  global
        .offset:         0
        .size:           8
        .value_kind:     global_buffer
      - .offset:         8
        .size:           4
        .value_kind:     by_value
      - .offset:         12
        .size:           1
        .value_kind:     by_value
      - .offset:         16
        .size:           4
        .value_kind:     by_value
      - .address_space:  global
        .offset:         24
        .size:           8
        .value_kind:     global_buffer
      - .offset:         32
        .size:           4
        .value_kind:     hidden_block_count_x
      - .offset:         36
        .size:           4
        .value_kind:     hidden_block_count_y
      - .offset:         40
        .size:           4
        .value_kind:     hidden_block_count_z
      - .offset:         44
        .size:           2
        .value_kind:     hidden_group_size_x
      - .offset:         46
        .size:           2
        .value_kind:     hidden_group_size_y
      - .offset:         48
        .size:           2
        .value_kind:     hidden_group_size_z
      - .offset:         50
        .size:           2
        .value_kind:     hidden_remainder_x
      - .offset:         52
        .size:           2
        .value_kind:     hidden_remainder_y
      - .offset:         54
        .size:           2
        .value_kind:     hidden_remainder_z
      - .offset:         72
        .size:           8
        .value_kind:     hidden_global_offset_x
      - .offset:         80
        .size:           8
        .value_kind:     hidden_global_offset_y
      - .offset:         88
        .size:           8
        .value_kind:     hidden_global_offset_z
      - .offset:         96
        .size:           2
        .value_kind:     hidden_grid_dims
    .group_segment_fixed_size: 0
    .kernarg_segment_align: 8
    .kernarg_segment_size: 288
    .language:       OpenCL C
    .language_version:
      - 2
      - 0
    .max_flat_workgroup_size: 256
    .name:           _ZN7rocprim17ROCPRIM_400000_NS6detail31init_lookback_scan_state_kernelINS1_19lookback_scan_stateImLb0ELb1EEENS1_16block_id_wrapperIjLb0EEEEEvT_jT0_jPNS7_10value_typeE
    .private_segment_fixed_size: 0
    .sgpr_count:     17
    .sgpr_spill_count: 0
    .symbol:         _ZN7rocprim17ROCPRIM_400000_NS6detail31init_lookback_scan_state_kernelINS1_19lookback_scan_stateImLb0ELb1EEENS1_16block_id_wrapperIjLb0EEEEEvT_jT0_jPNS7_10value_typeE.kd
    .uniform_work_group_size: 1
    .uses_dynamic_stack: false
    .vgpr_count:     8
    .vgpr_spill_count: 0
    .wavefront_size: 64
  - .args:
      - .offset:         0
        .size:           120
        .value_kind:     by_value
    .group_segment_fixed_size: 0
    .kernarg_segment_align: 8
    .kernarg_segment_size: 120
    .language:       OpenCL C
    .language_version:
      - 2
      - 0
    .max_flat_workgroup_size: 128
    .name:           _ZN7rocprim17ROCPRIM_400000_NS6detail17trampoline_kernelINS0_14default_configENS1_25partition_config_selectorILNS1_17partition_subalgoE5ElNS0_10empty_typeEbEEZZNS1_14partition_implILS5_5ELb0ES3_mN6hipcub16HIPCUB_304000_NS21CountingInputIteratorIllEEPS6_NSA_22TransformInputIteratorIb7NonZeroIaEPalEENS0_5tupleIJPlS6_EEENSJ_IJSD_SD_EEES6_SK_JS6_EEE10hipError_tPvRmT3_T4_T5_T6_T7_T9_mT8_P12ihipStream_tbDpT10_ENKUlT_T0_E_clISt17integral_constantIbLb0EES16_EEDaS11_S12_EUlS11_E_NS1_11comp_targetILNS1_3genE0ELNS1_11target_archE4294967295ELNS1_3gpuE0ELNS1_3repE0EEENS1_30default_config_static_selectorELNS0_4arch9wavefront6targetE1EEEvT1_
    .private_segment_fixed_size: 0
    .sgpr_count:     4
    .sgpr_spill_count: 0
    .symbol:         _ZN7rocprim17ROCPRIM_400000_NS6detail17trampoline_kernelINS0_14default_configENS1_25partition_config_selectorILNS1_17partition_subalgoE5ElNS0_10empty_typeEbEEZZNS1_14partition_implILS5_5ELb0ES3_mN6hipcub16HIPCUB_304000_NS21CountingInputIteratorIllEEPS6_NSA_22TransformInputIteratorIb7NonZeroIaEPalEENS0_5tupleIJPlS6_EEENSJ_IJSD_SD_EEES6_SK_JS6_EEE10hipError_tPvRmT3_T4_T5_T6_T7_T9_mT8_P12ihipStream_tbDpT10_ENKUlT_T0_E_clISt17integral_constantIbLb0EES16_EEDaS11_S12_EUlS11_E_NS1_11comp_targetILNS1_3genE0ELNS1_11target_archE4294967295ELNS1_3gpuE0ELNS1_3repE0EEENS1_30default_config_static_selectorELNS0_4arch9wavefront6targetE1EEEvT1_.kd
    .uniform_work_group_size: 1
    .uses_dynamic_stack: false
    .vgpr_count:     0
    .vgpr_spill_count: 0
    .wavefront_size: 64
  - .args:
      - .offset:         0
        .size:           120
        .value_kind:     by_value
    .group_segment_fixed_size: 0
    .kernarg_segment_align: 8
    .kernarg_segment_size: 120
    .language:       OpenCL C
    .language_version:
      - 2
      - 0
    .max_flat_workgroup_size: 512
    .name:           _ZN7rocprim17ROCPRIM_400000_NS6detail17trampoline_kernelINS0_14default_configENS1_25partition_config_selectorILNS1_17partition_subalgoE5ElNS0_10empty_typeEbEEZZNS1_14partition_implILS5_5ELb0ES3_mN6hipcub16HIPCUB_304000_NS21CountingInputIteratorIllEEPS6_NSA_22TransformInputIteratorIb7NonZeroIaEPalEENS0_5tupleIJPlS6_EEENSJ_IJSD_SD_EEES6_SK_JS6_EEE10hipError_tPvRmT3_T4_T5_T6_T7_T9_mT8_P12ihipStream_tbDpT10_ENKUlT_T0_E_clISt17integral_constantIbLb0EES16_EEDaS11_S12_EUlS11_E_NS1_11comp_targetILNS1_3genE5ELNS1_11target_archE942ELNS1_3gpuE9ELNS1_3repE0EEENS1_30default_config_static_selectorELNS0_4arch9wavefront6targetE1EEEvT1_
    .private_segment_fixed_size: 0
    .sgpr_count:     4
    .sgpr_spill_count: 0
    .symbol:         _ZN7rocprim17ROCPRIM_400000_NS6detail17trampoline_kernelINS0_14default_configENS1_25partition_config_selectorILNS1_17partition_subalgoE5ElNS0_10empty_typeEbEEZZNS1_14partition_implILS5_5ELb0ES3_mN6hipcub16HIPCUB_304000_NS21CountingInputIteratorIllEEPS6_NSA_22TransformInputIteratorIb7NonZeroIaEPalEENS0_5tupleIJPlS6_EEENSJ_IJSD_SD_EEES6_SK_JS6_EEE10hipError_tPvRmT3_T4_T5_T6_T7_T9_mT8_P12ihipStream_tbDpT10_ENKUlT_T0_E_clISt17integral_constantIbLb0EES16_EEDaS11_S12_EUlS11_E_NS1_11comp_targetILNS1_3genE5ELNS1_11target_archE942ELNS1_3gpuE9ELNS1_3repE0EEENS1_30default_config_static_selectorELNS0_4arch9wavefront6targetE1EEEvT1_.kd
    .uniform_work_group_size: 1
    .uses_dynamic_stack: false
    .vgpr_count:     0
    .vgpr_spill_count: 0
    .wavefront_size: 64
  - .args:
      - .offset:         0
        .size:           120
        .value_kind:     by_value
    .group_segment_fixed_size: 0
    .kernarg_segment_align: 8
    .kernarg_segment_size: 120
    .language:       OpenCL C
    .language_version:
      - 2
      - 0
    .max_flat_workgroup_size: 192
    .name:           _ZN7rocprim17ROCPRIM_400000_NS6detail17trampoline_kernelINS0_14default_configENS1_25partition_config_selectorILNS1_17partition_subalgoE5ElNS0_10empty_typeEbEEZZNS1_14partition_implILS5_5ELb0ES3_mN6hipcub16HIPCUB_304000_NS21CountingInputIteratorIllEEPS6_NSA_22TransformInputIteratorIb7NonZeroIaEPalEENS0_5tupleIJPlS6_EEENSJ_IJSD_SD_EEES6_SK_JS6_EEE10hipError_tPvRmT3_T4_T5_T6_T7_T9_mT8_P12ihipStream_tbDpT10_ENKUlT_T0_E_clISt17integral_constantIbLb0EES16_EEDaS11_S12_EUlS11_E_NS1_11comp_targetILNS1_3genE4ELNS1_11target_archE910ELNS1_3gpuE8ELNS1_3repE0EEENS1_30default_config_static_selectorELNS0_4arch9wavefront6targetE1EEEvT1_
    .private_segment_fixed_size: 0
    .sgpr_count:     4
    .sgpr_spill_count: 0
    .symbol:         _ZN7rocprim17ROCPRIM_400000_NS6detail17trampoline_kernelINS0_14default_configENS1_25partition_config_selectorILNS1_17partition_subalgoE5ElNS0_10empty_typeEbEEZZNS1_14partition_implILS5_5ELb0ES3_mN6hipcub16HIPCUB_304000_NS21CountingInputIteratorIllEEPS6_NSA_22TransformInputIteratorIb7NonZeroIaEPalEENS0_5tupleIJPlS6_EEENSJ_IJSD_SD_EEES6_SK_JS6_EEE10hipError_tPvRmT3_T4_T5_T6_T7_T9_mT8_P12ihipStream_tbDpT10_ENKUlT_T0_E_clISt17integral_constantIbLb0EES16_EEDaS11_S12_EUlS11_E_NS1_11comp_targetILNS1_3genE4ELNS1_11target_archE910ELNS1_3gpuE8ELNS1_3repE0EEENS1_30default_config_static_selectorELNS0_4arch9wavefront6targetE1EEEvT1_.kd
    .uniform_work_group_size: 1
    .uses_dynamic_stack: false
    .vgpr_count:     0
    .vgpr_spill_count: 0
    .wavefront_size: 64
  - .args:
      - .offset:         0
        .size:           120
        .value_kind:     by_value
    .group_segment_fixed_size: 0
    .kernarg_segment_align: 8
    .kernarg_segment_size: 120
    .language:       OpenCL C
    .language_version:
      - 2
      - 0
    .max_flat_workgroup_size: 128
    .name:           _ZN7rocprim17ROCPRIM_400000_NS6detail17trampoline_kernelINS0_14default_configENS1_25partition_config_selectorILNS1_17partition_subalgoE5ElNS0_10empty_typeEbEEZZNS1_14partition_implILS5_5ELb0ES3_mN6hipcub16HIPCUB_304000_NS21CountingInputIteratorIllEEPS6_NSA_22TransformInputIteratorIb7NonZeroIaEPalEENS0_5tupleIJPlS6_EEENSJ_IJSD_SD_EEES6_SK_JS6_EEE10hipError_tPvRmT3_T4_T5_T6_T7_T9_mT8_P12ihipStream_tbDpT10_ENKUlT_T0_E_clISt17integral_constantIbLb0EES16_EEDaS11_S12_EUlS11_E_NS1_11comp_targetILNS1_3genE3ELNS1_11target_archE908ELNS1_3gpuE7ELNS1_3repE0EEENS1_30default_config_static_selectorELNS0_4arch9wavefront6targetE1EEEvT1_
    .private_segment_fixed_size: 0
    .sgpr_count:     4
    .sgpr_spill_count: 0
    .symbol:         _ZN7rocprim17ROCPRIM_400000_NS6detail17trampoline_kernelINS0_14default_configENS1_25partition_config_selectorILNS1_17partition_subalgoE5ElNS0_10empty_typeEbEEZZNS1_14partition_implILS5_5ELb0ES3_mN6hipcub16HIPCUB_304000_NS21CountingInputIteratorIllEEPS6_NSA_22TransformInputIteratorIb7NonZeroIaEPalEENS0_5tupleIJPlS6_EEENSJ_IJSD_SD_EEES6_SK_JS6_EEE10hipError_tPvRmT3_T4_T5_T6_T7_T9_mT8_P12ihipStream_tbDpT10_ENKUlT_T0_E_clISt17integral_constantIbLb0EES16_EEDaS11_S12_EUlS11_E_NS1_11comp_targetILNS1_3genE3ELNS1_11target_archE908ELNS1_3gpuE7ELNS1_3repE0EEENS1_30default_config_static_selectorELNS0_4arch9wavefront6targetE1EEEvT1_.kd
    .uniform_work_group_size: 1
    .uses_dynamic_stack: false
    .vgpr_count:     0
    .vgpr_spill_count: 0
    .wavefront_size: 64
  - .args:
      - .offset:         0
        .size:           120
        .value_kind:     by_value
    .group_segment_fixed_size: 14352
    .kernarg_segment_align: 8
    .kernarg_segment_size: 120
    .language:       OpenCL C
    .language_version:
      - 2
      - 0
    .max_flat_workgroup_size: 256
    .name:           _ZN7rocprim17ROCPRIM_400000_NS6detail17trampoline_kernelINS0_14default_configENS1_25partition_config_selectorILNS1_17partition_subalgoE5ElNS0_10empty_typeEbEEZZNS1_14partition_implILS5_5ELb0ES3_mN6hipcub16HIPCUB_304000_NS21CountingInputIteratorIllEEPS6_NSA_22TransformInputIteratorIb7NonZeroIaEPalEENS0_5tupleIJPlS6_EEENSJ_IJSD_SD_EEES6_SK_JS6_EEE10hipError_tPvRmT3_T4_T5_T6_T7_T9_mT8_P12ihipStream_tbDpT10_ENKUlT_T0_E_clISt17integral_constantIbLb0EES16_EEDaS11_S12_EUlS11_E_NS1_11comp_targetILNS1_3genE2ELNS1_11target_archE906ELNS1_3gpuE6ELNS1_3repE0EEENS1_30default_config_static_selectorELNS0_4arch9wavefront6targetE1EEEvT1_
    .private_segment_fixed_size: 0
    .sgpr_count:     30
    .sgpr_spill_count: 0
    .symbol:         _ZN7rocprim17ROCPRIM_400000_NS6detail17trampoline_kernelINS0_14default_configENS1_25partition_config_selectorILNS1_17partition_subalgoE5ElNS0_10empty_typeEbEEZZNS1_14partition_implILS5_5ELb0ES3_mN6hipcub16HIPCUB_304000_NS21CountingInputIteratorIllEEPS6_NSA_22TransformInputIteratorIb7NonZeroIaEPalEENS0_5tupleIJPlS6_EEENSJ_IJSD_SD_EEES6_SK_JS6_EEE10hipError_tPvRmT3_T4_T5_T6_T7_T9_mT8_P12ihipStream_tbDpT10_ENKUlT_T0_E_clISt17integral_constantIbLb0EES16_EEDaS11_S12_EUlS11_E_NS1_11comp_targetILNS1_3genE2ELNS1_11target_archE906ELNS1_3gpuE6ELNS1_3repE0EEENS1_30default_config_static_selectorELNS0_4arch9wavefront6targetE1EEEvT1_.kd
    .uniform_work_group_size: 1
    .uses_dynamic_stack: false
    .vgpr_count:     59
    .vgpr_spill_count: 0
    .wavefront_size: 64
  - .args:
      - .offset:         0
        .size:           120
        .value_kind:     by_value
    .group_segment_fixed_size: 0
    .kernarg_segment_align: 8
    .kernarg_segment_size: 120
    .language:       OpenCL C
    .language_version:
      - 2
      - 0
    .max_flat_workgroup_size: 256
    .name:           _ZN7rocprim17ROCPRIM_400000_NS6detail17trampoline_kernelINS0_14default_configENS1_25partition_config_selectorILNS1_17partition_subalgoE5ElNS0_10empty_typeEbEEZZNS1_14partition_implILS5_5ELb0ES3_mN6hipcub16HIPCUB_304000_NS21CountingInputIteratorIllEEPS6_NSA_22TransformInputIteratorIb7NonZeroIaEPalEENS0_5tupleIJPlS6_EEENSJ_IJSD_SD_EEES6_SK_JS6_EEE10hipError_tPvRmT3_T4_T5_T6_T7_T9_mT8_P12ihipStream_tbDpT10_ENKUlT_T0_E_clISt17integral_constantIbLb0EES16_EEDaS11_S12_EUlS11_E_NS1_11comp_targetILNS1_3genE10ELNS1_11target_archE1200ELNS1_3gpuE4ELNS1_3repE0EEENS1_30default_config_static_selectorELNS0_4arch9wavefront6targetE1EEEvT1_
    .private_segment_fixed_size: 0
    .sgpr_count:     4
    .sgpr_spill_count: 0
    .symbol:         _ZN7rocprim17ROCPRIM_400000_NS6detail17trampoline_kernelINS0_14default_configENS1_25partition_config_selectorILNS1_17partition_subalgoE5ElNS0_10empty_typeEbEEZZNS1_14partition_implILS5_5ELb0ES3_mN6hipcub16HIPCUB_304000_NS21CountingInputIteratorIllEEPS6_NSA_22TransformInputIteratorIb7NonZeroIaEPalEENS0_5tupleIJPlS6_EEENSJ_IJSD_SD_EEES6_SK_JS6_EEE10hipError_tPvRmT3_T4_T5_T6_T7_T9_mT8_P12ihipStream_tbDpT10_ENKUlT_T0_E_clISt17integral_constantIbLb0EES16_EEDaS11_S12_EUlS11_E_NS1_11comp_targetILNS1_3genE10ELNS1_11target_archE1200ELNS1_3gpuE4ELNS1_3repE0EEENS1_30default_config_static_selectorELNS0_4arch9wavefront6targetE1EEEvT1_.kd
    .uniform_work_group_size: 1
    .uses_dynamic_stack: false
    .vgpr_count:     0
    .vgpr_spill_count: 0
    .wavefront_size: 64
  - .args:
      - .offset:         0
        .size:           120
        .value_kind:     by_value
    .group_segment_fixed_size: 0
    .kernarg_segment_align: 8
    .kernarg_segment_size: 120
    .language:       OpenCL C
    .language_version:
      - 2
      - 0
    .max_flat_workgroup_size: 128
    .name:           _ZN7rocprim17ROCPRIM_400000_NS6detail17trampoline_kernelINS0_14default_configENS1_25partition_config_selectorILNS1_17partition_subalgoE5ElNS0_10empty_typeEbEEZZNS1_14partition_implILS5_5ELb0ES3_mN6hipcub16HIPCUB_304000_NS21CountingInputIteratorIllEEPS6_NSA_22TransformInputIteratorIb7NonZeroIaEPalEENS0_5tupleIJPlS6_EEENSJ_IJSD_SD_EEES6_SK_JS6_EEE10hipError_tPvRmT3_T4_T5_T6_T7_T9_mT8_P12ihipStream_tbDpT10_ENKUlT_T0_E_clISt17integral_constantIbLb0EES16_EEDaS11_S12_EUlS11_E_NS1_11comp_targetILNS1_3genE9ELNS1_11target_archE1100ELNS1_3gpuE3ELNS1_3repE0EEENS1_30default_config_static_selectorELNS0_4arch9wavefront6targetE1EEEvT1_
    .private_segment_fixed_size: 0
    .sgpr_count:     4
    .sgpr_spill_count: 0
    .symbol:         _ZN7rocprim17ROCPRIM_400000_NS6detail17trampoline_kernelINS0_14default_configENS1_25partition_config_selectorILNS1_17partition_subalgoE5ElNS0_10empty_typeEbEEZZNS1_14partition_implILS5_5ELb0ES3_mN6hipcub16HIPCUB_304000_NS21CountingInputIteratorIllEEPS6_NSA_22TransformInputIteratorIb7NonZeroIaEPalEENS0_5tupleIJPlS6_EEENSJ_IJSD_SD_EEES6_SK_JS6_EEE10hipError_tPvRmT3_T4_T5_T6_T7_T9_mT8_P12ihipStream_tbDpT10_ENKUlT_T0_E_clISt17integral_constantIbLb0EES16_EEDaS11_S12_EUlS11_E_NS1_11comp_targetILNS1_3genE9ELNS1_11target_archE1100ELNS1_3gpuE3ELNS1_3repE0EEENS1_30default_config_static_selectorELNS0_4arch9wavefront6targetE1EEEvT1_.kd
    .uniform_work_group_size: 1
    .uses_dynamic_stack: false
    .vgpr_count:     0
    .vgpr_spill_count: 0
    .wavefront_size: 64
  - .args:
      - .offset:         0
        .size:           120
        .value_kind:     by_value
    .group_segment_fixed_size: 0
    .kernarg_segment_align: 8
    .kernarg_segment_size: 120
    .language:       OpenCL C
    .language_version:
      - 2
      - 0
    .max_flat_workgroup_size: 512
    .name:           _ZN7rocprim17ROCPRIM_400000_NS6detail17trampoline_kernelINS0_14default_configENS1_25partition_config_selectorILNS1_17partition_subalgoE5ElNS0_10empty_typeEbEEZZNS1_14partition_implILS5_5ELb0ES3_mN6hipcub16HIPCUB_304000_NS21CountingInputIteratorIllEEPS6_NSA_22TransformInputIteratorIb7NonZeroIaEPalEENS0_5tupleIJPlS6_EEENSJ_IJSD_SD_EEES6_SK_JS6_EEE10hipError_tPvRmT3_T4_T5_T6_T7_T9_mT8_P12ihipStream_tbDpT10_ENKUlT_T0_E_clISt17integral_constantIbLb0EES16_EEDaS11_S12_EUlS11_E_NS1_11comp_targetILNS1_3genE8ELNS1_11target_archE1030ELNS1_3gpuE2ELNS1_3repE0EEENS1_30default_config_static_selectorELNS0_4arch9wavefront6targetE1EEEvT1_
    .private_segment_fixed_size: 0
    .sgpr_count:     4
    .sgpr_spill_count: 0
    .symbol:         _ZN7rocprim17ROCPRIM_400000_NS6detail17trampoline_kernelINS0_14default_configENS1_25partition_config_selectorILNS1_17partition_subalgoE5ElNS0_10empty_typeEbEEZZNS1_14partition_implILS5_5ELb0ES3_mN6hipcub16HIPCUB_304000_NS21CountingInputIteratorIllEEPS6_NSA_22TransformInputIteratorIb7NonZeroIaEPalEENS0_5tupleIJPlS6_EEENSJ_IJSD_SD_EEES6_SK_JS6_EEE10hipError_tPvRmT3_T4_T5_T6_T7_T9_mT8_P12ihipStream_tbDpT10_ENKUlT_T0_E_clISt17integral_constantIbLb0EES16_EEDaS11_S12_EUlS11_E_NS1_11comp_targetILNS1_3genE8ELNS1_11target_archE1030ELNS1_3gpuE2ELNS1_3repE0EEENS1_30default_config_static_selectorELNS0_4arch9wavefront6targetE1EEEvT1_.kd
    .uniform_work_group_size: 1
    .uses_dynamic_stack: false
    .vgpr_count:     0
    .vgpr_spill_count: 0
    .wavefront_size: 64
  - .args:
      - .offset:         0
        .size:           40
        .value_kind:     by_value
    .group_segment_fixed_size: 0
    .kernarg_segment_align: 8
    .kernarg_segment_size: 40
    .language:       OpenCL C
    .language_version:
      - 2
      - 0
    .max_flat_workgroup_size: 128
    .name:           _ZN7rocprim17ROCPRIM_400000_NS6detail17trampoline_kernelINS0_14default_configENS1_25transform_config_selectorImLb1EEEZNS1_14transform_implILb1ES3_S5_PmPlNS0_8identityIvEEEE10hipError_tT2_T3_mT4_P12ihipStream_tbEUlT_E_NS1_11comp_targetILNS1_3genE0ELNS1_11target_archE4294967295ELNS1_3gpuE0ELNS1_3repE0EEENS1_30default_config_static_selectorELNS0_4arch9wavefront6targetE1EEEvT1_
    .private_segment_fixed_size: 0
    .sgpr_count:     4
    .sgpr_spill_count: 0
    .symbol:         _ZN7rocprim17ROCPRIM_400000_NS6detail17trampoline_kernelINS0_14default_configENS1_25transform_config_selectorImLb1EEEZNS1_14transform_implILb1ES3_S5_PmPlNS0_8identityIvEEEE10hipError_tT2_T3_mT4_P12ihipStream_tbEUlT_E_NS1_11comp_targetILNS1_3genE0ELNS1_11target_archE4294967295ELNS1_3gpuE0ELNS1_3repE0EEENS1_30default_config_static_selectorELNS0_4arch9wavefront6targetE1EEEvT1_.kd
    .uniform_work_group_size: 1
    .uses_dynamic_stack: false
    .vgpr_count:     0
    .vgpr_spill_count: 0
    .wavefront_size: 64
  - .args:
      - .offset:         0
        .size:           40
        .value_kind:     by_value
    .group_segment_fixed_size: 0
    .kernarg_segment_align: 8
    .kernarg_segment_size: 40
    .language:       OpenCL C
    .language_version:
      - 2
      - 0
    .max_flat_workgroup_size: 1024
    .name:           _ZN7rocprim17ROCPRIM_400000_NS6detail17trampoline_kernelINS0_14default_configENS1_25transform_config_selectorImLb1EEEZNS1_14transform_implILb1ES3_S5_PmPlNS0_8identityIvEEEE10hipError_tT2_T3_mT4_P12ihipStream_tbEUlT_E_NS1_11comp_targetILNS1_3genE10ELNS1_11target_archE1201ELNS1_3gpuE5ELNS1_3repE0EEENS1_30default_config_static_selectorELNS0_4arch9wavefront6targetE1EEEvT1_
    .private_segment_fixed_size: 0
    .sgpr_count:     4
    .sgpr_spill_count: 0
    .symbol:         _ZN7rocprim17ROCPRIM_400000_NS6detail17trampoline_kernelINS0_14default_configENS1_25transform_config_selectorImLb1EEEZNS1_14transform_implILb1ES3_S5_PmPlNS0_8identityIvEEEE10hipError_tT2_T3_mT4_P12ihipStream_tbEUlT_E_NS1_11comp_targetILNS1_3genE10ELNS1_11target_archE1201ELNS1_3gpuE5ELNS1_3repE0EEENS1_30default_config_static_selectorELNS0_4arch9wavefront6targetE1EEEvT1_.kd
    .uniform_work_group_size: 1
    .uses_dynamic_stack: false
    .vgpr_count:     0
    .vgpr_spill_count: 0
    .wavefront_size: 64
  - .args:
      - .offset:         0
        .size:           40
        .value_kind:     by_value
    .group_segment_fixed_size: 0
    .kernarg_segment_align: 8
    .kernarg_segment_size: 40
    .language:       OpenCL C
    .language_version:
      - 2
      - 0
    .max_flat_workgroup_size: 512
    .name:           _ZN7rocprim17ROCPRIM_400000_NS6detail17trampoline_kernelINS0_14default_configENS1_25transform_config_selectorImLb1EEEZNS1_14transform_implILb1ES3_S5_PmPlNS0_8identityIvEEEE10hipError_tT2_T3_mT4_P12ihipStream_tbEUlT_E_NS1_11comp_targetILNS1_3genE5ELNS1_11target_archE942ELNS1_3gpuE9ELNS1_3repE0EEENS1_30default_config_static_selectorELNS0_4arch9wavefront6targetE1EEEvT1_
    .private_segment_fixed_size: 0
    .sgpr_count:     4
    .sgpr_spill_count: 0
    .symbol:         _ZN7rocprim17ROCPRIM_400000_NS6detail17trampoline_kernelINS0_14default_configENS1_25transform_config_selectorImLb1EEEZNS1_14transform_implILb1ES3_S5_PmPlNS0_8identityIvEEEE10hipError_tT2_T3_mT4_P12ihipStream_tbEUlT_E_NS1_11comp_targetILNS1_3genE5ELNS1_11target_archE942ELNS1_3gpuE9ELNS1_3repE0EEENS1_30default_config_static_selectorELNS0_4arch9wavefront6targetE1EEEvT1_.kd
    .uniform_work_group_size: 1
    .uses_dynamic_stack: false
    .vgpr_count:     0
    .vgpr_spill_count: 0
    .wavefront_size: 64
  - .args:
      - .offset:         0
        .size:           40
        .value_kind:     by_value
    .group_segment_fixed_size: 0
    .kernarg_segment_align: 8
    .kernarg_segment_size: 40
    .language:       OpenCL C
    .language_version:
      - 2
      - 0
    .max_flat_workgroup_size: 1024
    .name:           _ZN7rocprim17ROCPRIM_400000_NS6detail17trampoline_kernelINS0_14default_configENS1_25transform_config_selectorImLb1EEEZNS1_14transform_implILb1ES3_S5_PmPlNS0_8identityIvEEEE10hipError_tT2_T3_mT4_P12ihipStream_tbEUlT_E_NS1_11comp_targetILNS1_3genE4ELNS1_11target_archE910ELNS1_3gpuE8ELNS1_3repE0EEENS1_30default_config_static_selectorELNS0_4arch9wavefront6targetE1EEEvT1_
    .private_segment_fixed_size: 0
    .sgpr_count:     4
    .sgpr_spill_count: 0
    .symbol:         _ZN7rocprim17ROCPRIM_400000_NS6detail17trampoline_kernelINS0_14default_configENS1_25transform_config_selectorImLb1EEEZNS1_14transform_implILb1ES3_S5_PmPlNS0_8identityIvEEEE10hipError_tT2_T3_mT4_P12ihipStream_tbEUlT_E_NS1_11comp_targetILNS1_3genE4ELNS1_11target_archE910ELNS1_3gpuE8ELNS1_3repE0EEENS1_30default_config_static_selectorELNS0_4arch9wavefront6targetE1EEEvT1_.kd
    .uniform_work_group_size: 1
    .uses_dynamic_stack: false
    .vgpr_count:     0
    .vgpr_spill_count: 0
    .wavefront_size: 64
  - .args:
      - .offset:         0
        .size:           40
        .value_kind:     by_value
    .group_segment_fixed_size: 0
    .kernarg_segment_align: 8
    .kernarg_segment_size: 40
    .language:       OpenCL C
    .language_version:
      - 2
      - 0
    .max_flat_workgroup_size: 128
    .name:           _ZN7rocprim17ROCPRIM_400000_NS6detail17trampoline_kernelINS0_14default_configENS1_25transform_config_selectorImLb1EEEZNS1_14transform_implILb1ES3_S5_PmPlNS0_8identityIvEEEE10hipError_tT2_T3_mT4_P12ihipStream_tbEUlT_E_NS1_11comp_targetILNS1_3genE3ELNS1_11target_archE908ELNS1_3gpuE7ELNS1_3repE0EEENS1_30default_config_static_selectorELNS0_4arch9wavefront6targetE1EEEvT1_
    .private_segment_fixed_size: 0
    .sgpr_count:     4
    .sgpr_spill_count: 0
    .symbol:         _ZN7rocprim17ROCPRIM_400000_NS6detail17trampoline_kernelINS0_14default_configENS1_25transform_config_selectorImLb1EEEZNS1_14transform_implILb1ES3_S5_PmPlNS0_8identityIvEEEE10hipError_tT2_T3_mT4_P12ihipStream_tbEUlT_E_NS1_11comp_targetILNS1_3genE3ELNS1_11target_archE908ELNS1_3gpuE7ELNS1_3repE0EEENS1_30default_config_static_selectorELNS0_4arch9wavefront6targetE1EEEvT1_.kd
    .uniform_work_group_size: 1
    .uses_dynamic_stack: false
    .vgpr_count:     0
    .vgpr_spill_count: 0
    .wavefront_size: 64
  - .args:
      - .offset:         0
        .size:           40
        .value_kind:     by_value
      - .offset:         40
        .size:           4
        .value_kind:     hidden_block_count_x
      - .offset:         44
        .size:           4
        .value_kind:     hidden_block_count_y
      - .offset:         48
        .size:           4
        .value_kind:     hidden_block_count_z
      - .offset:         52
        .size:           2
        .value_kind:     hidden_group_size_x
      - .offset:         54
        .size:           2
        .value_kind:     hidden_group_size_y
      - .offset:         56
        .size:           2
        .value_kind:     hidden_group_size_z
      - .offset:         58
        .size:           2
        .value_kind:     hidden_remainder_x
      - .offset:         60
        .size:           2
        .value_kind:     hidden_remainder_y
      - .offset:         62
        .size:           2
        .value_kind:     hidden_remainder_z
      - .offset:         80
        .size:           8
        .value_kind:     hidden_global_offset_x
      - .offset:         88
        .size:           8
        .value_kind:     hidden_global_offset_y
      - .offset:         96
        .size:           8
        .value_kind:     hidden_global_offset_z
      - .offset:         104
        .size:           2
        .value_kind:     hidden_grid_dims
    .group_segment_fixed_size: 0
    .kernarg_segment_align: 8
    .kernarg_segment_size: 296
    .language:       OpenCL C
    .language_version:
      - 2
      - 0
    .max_flat_workgroup_size: 512
    .name:           _ZN7rocprim17ROCPRIM_400000_NS6detail17trampoline_kernelINS0_14default_configENS1_25transform_config_selectorImLb1EEEZNS1_14transform_implILb1ES3_S5_PmPlNS0_8identityIvEEEE10hipError_tT2_T3_mT4_P12ihipStream_tbEUlT_E_NS1_11comp_targetILNS1_3genE2ELNS1_11target_archE906ELNS1_3gpuE6ELNS1_3repE0EEENS1_30default_config_static_selectorELNS0_4arch9wavefront6targetE1EEEvT1_
    .private_segment_fixed_size: 0
    .sgpr_count:     16
    .sgpr_spill_count: 0
    .symbol:         _ZN7rocprim17ROCPRIM_400000_NS6detail17trampoline_kernelINS0_14default_configENS1_25transform_config_selectorImLb1EEEZNS1_14transform_implILb1ES3_S5_PmPlNS0_8identityIvEEEE10hipError_tT2_T3_mT4_P12ihipStream_tbEUlT_E_NS1_11comp_targetILNS1_3genE2ELNS1_11target_archE906ELNS1_3gpuE6ELNS1_3repE0EEENS1_30default_config_static_selectorELNS0_4arch9wavefront6targetE1EEEvT1_.kd
    .uniform_work_group_size: 1
    .uses_dynamic_stack: false
    .vgpr_count:     3
    .vgpr_spill_count: 0
    .wavefront_size: 64
  - .args:
      - .offset:         0
        .size:           40
        .value_kind:     by_value
    .group_segment_fixed_size: 0
    .kernarg_segment_align: 8
    .kernarg_segment_size: 40
    .language:       OpenCL C
    .language_version:
      - 2
      - 0
    .max_flat_workgroup_size: 1024
    .name:           _ZN7rocprim17ROCPRIM_400000_NS6detail17trampoline_kernelINS0_14default_configENS1_25transform_config_selectorImLb1EEEZNS1_14transform_implILb1ES3_S5_PmPlNS0_8identityIvEEEE10hipError_tT2_T3_mT4_P12ihipStream_tbEUlT_E_NS1_11comp_targetILNS1_3genE9ELNS1_11target_archE1100ELNS1_3gpuE3ELNS1_3repE0EEENS1_30default_config_static_selectorELNS0_4arch9wavefront6targetE1EEEvT1_
    .private_segment_fixed_size: 0
    .sgpr_count:     4
    .sgpr_spill_count: 0
    .symbol:         _ZN7rocprim17ROCPRIM_400000_NS6detail17trampoline_kernelINS0_14default_configENS1_25transform_config_selectorImLb1EEEZNS1_14transform_implILb1ES3_S5_PmPlNS0_8identityIvEEEE10hipError_tT2_T3_mT4_P12ihipStream_tbEUlT_E_NS1_11comp_targetILNS1_3genE9ELNS1_11target_archE1100ELNS1_3gpuE3ELNS1_3repE0EEENS1_30default_config_static_selectorELNS0_4arch9wavefront6targetE1EEEvT1_.kd
    .uniform_work_group_size: 1
    .uses_dynamic_stack: false
    .vgpr_count:     0
    .vgpr_spill_count: 0
    .wavefront_size: 64
  - .args:
      - .offset:         0
        .size:           40
        .value_kind:     by_value
    .group_segment_fixed_size: 0
    .kernarg_segment_align: 8
    .kernarg_segment_size: 40
    .language:       OpenCL C
    .language_version:
      - 2
      - 0
    .max_flat_workgroup_size: 1024
    .name:           _ZN7rocprim17ROCPRIM_400000_NS6detail17trampoline_kernelINS0_14default_configENS1_25transform_config_selectorImLb1EEEZNS1_14transform_implILb1ES3_S5_PmPlNS0_8identityIvEEEE10hipError_tT2_T3_mT4_P12ihipStream_tbEUlT_E_NS1_11comp_targetILNS1_3genE8ELNS1_11target_archE1030ELNS1_3gpuE2ELNS1_3repE0EEENS1_30default_config_static_selectorELNS0_4arch9wavefront6targetE1EEEvT1_
    .private_segment_fixed_size: 0
    .sgpr_count:     4
    .sgpr_spill_count: 0
    .symbol:         _ZN7rocprim17ROCPRIM_400000_NS6detail17trampoline_kernelINS0_14default_configENS1_25transform_config_selectorImLb1EEEZNS1_14transform_implILb1ES3_S5_PmPlNS0_8identityIvEEEE10hipError_tT2_T3_mT4_P12ihipStream_tbEUlT_E_NS1_11comp_targetILNS1_3genE8ELNS1_11target_archE1030ELNS1_3gpuE2ELNS1_3repE0EEENS1_30default_config_static_selectorELNS0_4arch9wavefront6targetE1EEEvT1_.kd
    .uniform_work_group_size: 1
    .uses_dynamic_stack: false
    .vgpr_count:     0
    .vgpr_spill_count: 0
    .wavefront_size: 64
  - .args:
      - .address_space:  global
        .offset:         0
        .size:           8
        .value_kind:     global_buffer
      - .offset:         8
        .size:           4
        .value_kind:     by_value
      - .address_space:  global
        .offset:         16
        .size:           8
        .value_kind:     global_buffer
      - .offset:         24
        .size:           4
        .value_kind:     by_value
      - .address_space:  global
        .offset:         32
        .size:           8
        .value_kind:     global_buffer
      - .offset:         40
        .size:           4
        .value_kind:     hidden_block_count_x
      - .offset:         44
        .size:           4
        .value_kind:     hidden_block_count_y
      - .offset:         48
        .size:           4
        .value_kind:     hidden_block_count_z
      - .offset:         52
        .size:           2
        .value_kind:     hidden_group_size_x
      - .offset:         54
        .size:           2
        .value_kind:     hidden_group_size_y
      - .offset:         56
        .size:           2
        .value_kind:     hidden_group_size_z
      - .offset:         58
        .size:           2
        .value_kind:     hidden_remainder_x
      - .offset:         60
        .size:           2
        .value_kind:     hidden_remainder_y
      - .offset:         62
        .size:           2
        .value_kind:     hidden_remainder_z
      - .offset:         80
        .size:           8
        .value_kind:     hidden_global_offset_x
      - .offset:         88
        .size:           8
        .value_kind:     hidden_global_offset_y
      - .offset:         96
        .size:           8
        .value_kind:     hidden_global_offset_z
      - .offset:         104
        .size:           2
        .value_kind:     hidden_grid_dims
    .group_segment_fixed_size: 0
    .kernarg_segment_align: 8
    .kernarg_segment_size: 296
    .language:       OpenCL C
    .language_version:
      - 2
      - 0
    .max_flat_workgroup_size: 256
    .name:           _ZN7rocprim17ROCPRIM_400000_NS6detail31init_lookback_scan_state_kernelINS1_19lookback_scan_stateImLb1ELb1EEENS1_16block_id_wrapperIjLb1EEEEEvT_jT0_jPNS7_10value_typeE
    .private_segment_fixed_size: 0
    .sgpr_count:     20
    .sgpr_spill_count: 0
    .symbol:         _ZN7rocprim17ROCPRIM_400000_NS6detail31init_lookback_scan_state_kernelINS1_19lookback_scan_stateImLb1ELb1EEENS1_16block_id_wrapperIjLb1EEEEEvT_jT0_jPNS7_10value_typeE.kd
    .uniform_work_group_size: 1
    .uses_dynamic_stack: false
    .vgpr_count:     8
    .vgpr_spill_count: 0
    .wavefront_size: 64
  - .args:
      - .offset:         0
        .size:           136
        .value_kind:     by_value
    .group_segment_fixed_size: 0
    .kernarg_segment_align: 8
    .kernarg_segment_size: 136
    .language:       OpenCL C
    .language_version:
      - 2
      - 0
    .max_flat_workgroup_size: 128
    .name:           _ZN7rocprim17ROCPRIM_400000_NS6detail17trampoline_kernelINS0_14default_configENS1_25partition_config_selectorILNS1_17partition_subalgoE5ElNS0_10empty_typeEbEEZZNS1_14partition_implILS5_5ELb0ES3_mN6hipcub16HIPCUB_304000_NS21CountingInputIteratorIllEEPS6_NSA_22TransformInputIteratorIb7NonZeroIaEPalEENS0_5tupleIJPlS6_EEENSJ_IJSD_SD_EEES6_SK_JS6_EEE10hipError_tPvRmT3_T4_T5_T6_T7_T9_mT8_P12ihipStream_tbDpT10_ENKUlT_T0_E_clISt17integral_constantIbLb1EES16_EEDaS11_S12_EUlS11_E_NS1_11comp_targetILNS1_3genE0ELNS1_11target_archE4294967295ELNS1_3gpuE0ELNS1_3repE0EEENS1_30default_config_static_selectorELNS0_4arch9wavefront6targetE1EEEvT1_
    .private_segment_fixed_size: 0
    .sgpr_count:     4
    .sgpr_spill_count: 0
    .symbol:         _ZN7rocprim17ROCPRIM_400000_NS6detail17trampoline_kernelINS0_14default_configENS1_25partition_config_selectorILNS1_17partition_subalgoE5ElNS0_10empty_typeEbEEZZNS1_14partition_implILS5_5ELb0ES3_mN6hipcub16HIPCUB_304000_NS21CountingInputIteratorIllEEPS6_NSA_22TransformInputIteratorIb7NonZeroIaEPalEENS0_5tupleIJPlS6_EEENSJ_IJSD_SD_EEES6_SK_JS6_EEE10hipError_tPvRmT3_T4_T5_T6_T7_T9_mT8_P12ihipStream_tbDpT10_ENKUlT_T0_E_clISt17integral_constantIbLb1EES16_EEDaS11_S12_EUlS11_E_NS1_11comp_targetILNS1_3genE0ELNS1_11target_archE4294967295ELNS1_3gpuE0ELNS1_3repE0EEENS1_30default_config_static_selectorELNS0_4arch9wavefront6targetE1EEEvT1_.kd
    .uniform_work_group_size: 1
    .uses_dynamic_stack: false
    .vgpr_count:     0
    .vgpr_spill_count: 0
    .wavefront_size: 64
  - .args:
      - .offset:         0
        .size:           136
        .value_kind:     by_value
    .group_segment_fixed_size: 0
    .kernarg_segment_align: 8
    .kernarg_segment_size: 136
    .language:       OpenCL C
    .language_version:
      - 2
      - 0
    .max_flat_workgroup_size: 512
    .name:           _ZN7rocprim17ROCPRIM_400000_NS6detail17trampoline_kernelINS0_14default_configENS1_25partition_config_selectorILNS1_17partition_subalgoE5ElNS0_10empty_typeEbEEZZNS1_14partition_implILS5_5ELb0ES3_mN6hipcub16HIPCUB_304000_NS21CountingInputIteratorIllEEPS6_NSA_22TransformInputIteratorIb7NonZeroIaEPalEENS0_5tupleIJPlS6_EEENSJ_IJSD_SD_EEES6_SK_JS6_EEE10hipError_tPvRmT3_T4_T5_T6_T7_T9_mT8_P12ihipStream_tbDpT10_ENKUlT_T0_E_clISt17integral_constantIbLb1EES16_EEDaS11_S12_EUlS11_E_NS1_11comp_targetILNS1_3genE5ELNS1_11target_archE942ELNS1_3gpuE9ELNS1_3repE0EEENS1_30default_config_static_selectorELNS0_4arch9wavefront6targetE1EEEvT1_
    .private_segment_fixed_size: 0
    .sgpr_count:     4
    .sgpr_spill_count: 0
    .symbol:         _ZN7rocprim17ROCPRIM_400000_NS6detail17trampoline_kernelINS0_14default_configENS1_25partition_config_selectorILNS1_17partition_subalgoE5ElNS0_10empty_typeEbEEZZNS1_14partition_implILS5_5ELb0ES3_mN6hipcub16HIPCUB_304000_NS21CountingInputIteratorIllEEPS6_NSA_22TransformInputIteratorIb7NonZeroIaEPalEENS0_5tupleIJPlS6_EEENSJ_IJSD_SD_EEES6_SK_JS6_EEE10hipError_tPvRmT3_T4_T5_T6_T7_T9_mT8_P12ihipStream_tbDpT10_ENKUlT_T0_E_clISt17integral_constantIbLb1EES16_EEDaS11_S12_EUlS11_E_NS1_11comp_targetILNS1_3genE5ELNS1_11target_archE942ELNS1_3gpuE9ELNS1_3repE0EEENS1_30default_config_static_selectorELNS0_4arch9wavefront6targetE1EEEvT1_.kd
    .uniform_work_group_size: 1
    .uses_dynamic_stack: false
    .vgpr_count:     0
    .vgpr_spill_count: 0
    .wavefront_size: 64
  - .args:
      - .offset:         0
        .size:           136
        .value_kind:     by_value
    .group_segment_fixed_size: 0
    .kernarg_segment_align: 8
    .kernarg_segment_size: 136
    .language:       OpenCL C
    .language_version:
      - 2
      - 0
    .max_flat_workgroup_size: 192
    .name:           _ZN7rocprim17ROCPRIM_400000_NS6detail17trampoline_kernelINS0_14default_configENS1_25partition_config_selectorILNS1_17partition_subalgoE5ElNS0_10empty_typeEbEEZZNS1_14partition_implILS5_5ELb0ES3_mN6hipcub16HIPCUB_304000_NS21CountingInputIteratorIllEEPS6_NSA_22TransformInputIteratorIb7NonZeroIaEPalEENS0_5tupleIJPlS6_EEENSJ_IJSD_SD_EEES6_SK_JS6_EEE10hipError_tPvRmT3_T4_T5_T6_T7_T9_mT8_P12ihipStream_tbDpT10_ENKUlT_T0_E_clISt17integral_constantIbLb1EES16_EEDaS11_S12_EUlS11_E_NS1_11comp_targetILNS1_3genE4ELNS1_11target_archE910ELNS1_3gpuE8ELNS1_3repE0EEENS1_30default_config_static_selectorELNS0_4arch9wavefront6targetE1EEEvT1_
    .private_segment_fixed_size: 0
    .sgpr_count:     4
    .sgpr_spill_count: 0
    .symbol:         _ZN7rocprim17ROCPRIM_400000_NS6detail17trampoline_kernelINS0_14default_configENS1_25partition_config_selectorILNS1_17partition_subalgoE5ElNS0_10empty_typeEbEEZZNS1_14partition_implILS5_5ELb0ES3_mN6hipcub16HIPCUB_304000_NS21CountingInputIteratorIllEEPS6_NSA_22TransformInputIteratorIb7NonZeroIaEPalEENS0_5tupleIJPlS6_EEENSJ_IJSD_SD_EEES6_SK_JS6_EEE10hipError_tPvRmT3_T4_T5_T6_T7_T9_mT8_P12ihipStream_tbDpT10_ENKUlT_T0_E_clISt17integral_constantIbLb1EES16_EEDaS11_S12_EUlS11_E_NS1_11comp_targetILNS1_3genE4ELNS1_11target_archE910ELNS1_3gpuE8ELNS1_3repE0EEENS1_30default_config_static_selectorELNS0_4arch9wavefront6targetE1EEEvT1_.kd
    .uniform_work_group_size: 1
    .uses_dynamic_stack: false
    .vgpr_count:     0
    .vgpr_spill_count: 0
    .wavefront_size: 64
  - .args:
      - .offset:         0
        .size:           136
        .value_kind:     by_value
    .group_segment_fixed_size: 0
    .kernarg_segment_align: 8
    .kernarg_segment_size: 136
    .language:       OpenCL C
    .language_version:
      - 2
      - 0
    .max_flat_workgroup_size: 128
    .name:           _ZN7rocprim17ROCPRIM_400000_NS6detail17trampoline_kernelINS0_14default_configENS1_25partition_config_selectorILNS1_17partition_subalgoE5ElNS0_10empty_typeEbEEZZNS1_14partition_implILS5_5ELb0ES3_mN6hipcub16HIPCUB_304000_NS21CountingInputIteratorIllEEPS6_NSA_22TransformInputIteratorIb7NonZeroIaEPalEENS0_5tupleIJPlS6_EEENSJ_IJSD_SD_EEES6_SK_JS6_EEE10hipError_tPvRmT3_T4_T5_T6_T7_T9_mT8_P12ihipStream_tbDpT10_ENKUlT_T0_E_clISt17integral_constantIbLb1EES16_EEDaS11_S12_EUlS11_E_NS1_11comp_targetILNS1_3genE3ELNS1_11target_archE908ELNS1_3gpuE7ELNS1_3repE0EEENS1_30default_config_static_selectorELNS0_4arch9wavefront6targetE1EEEvT1_
    .private_segment_fixed_size: 0
    .sgpr_count:     4
    .sgpr_spill_count: 0
    .symbol:         _ZN7rocprim17ROCPRIM_400000_NS6detail17trampoline_kernelINS0_14default_configENS1_25partition_config_selectorILNS1_17partition_subalgoE5ElNS0_10empty_typeEbEEZZNS1_14partition_implILS5_5ELb0ES3_mN6hipcub16HIPCUB_304000_NS21CountingInputIteratorIllEEPS6_NSA_22TransformInputIteratorIb7NonZeroIaEPalEENS0_5tupleIJPlS6_EEENSJ_IJSD_SD_EEES6_SK_JS6_EEE10hipError_tPvRmT3_T4_T5_T6_T7_T9_mT8_P12ihipStream_tbDpT10_ENKUlT_T0_E_clISt17integral_constantIbLb1EES16_EEDaS11_S12_EUlS11_E_NS1_11comp_targetILNS1_3genE3ELNS1_11target_archE908ELNS1_3gpuE7ELNS1_3repE0EEENS1_30default_config_static_selectorELNS0_4arch9wavefront6targetE1EEEvT1_.kd
    .uniform_work_group_size: 1
    .uses_dynamic_stack: false
    .vgpr_count:     0
    .vgpr_spill_count: 0
    .wavefront_size: 64
  - .args:
      - .offset:         0
        .size:           136
        .value_kind:     by_value
    .group_segment_fixed_size: 0
    .kernarg_segment_align: 8
    .kernarg_segment_size: 136
    .language:       OpenCL C
    .language_version:
      - 2
      - 0
    .max_flat_workgroup_size: 256
    .name:           _ZN7rocprim17ROCPRIM_400000_NS6detail17trampoline_kernelINS0_14default_configENS1_25partition_config_selectorILNS1_17partition_subalgoE5ElNS0_10empty_typeEbEEZZNS1_14partition_implILS5_5ELb0ES3_mN6hipcub16HIPCUB_304000_NS21CountingInputIteratorIllEEPS6_NSA_22TransformInputIteratorIb7NonZeroIaEPalEENS0_5tupleIJPlS6_EEENSJ_IJSD_SD_EEES6_SK_JS6_EEE10hipError_tPvRmT3_T4_T5_T6_T7_T9_mT8_P12ihipStream_tbDpT10_ENKUlT_T0_E_clISt17integral_constantIbLb1EES16_EEDaS11_S12_EUlS11_E_NS1_11comp_targetILNS1_3genE2ELNS1_11target_archE906ELNS1_3gpuE6ELNS1_3repE0EEENS1_30default_config_static_selectorELNS0_4arch9wavefront6targetE1EEEvT1_
    .private_segment_fixed_size: 0
    .sgpr_count:     4
    .sgpr_spill_count: 0
    .symbol:         _ZN7rocprim17ROCPRIM_400000_NS6detail17trampoline_kernelINS0_14default_configENS1_25partition_config_selectorILNS1_17partition_subalgoE5ElNS0_10empty_typeEbEEZZNS1_14partition_implILS5_5ELb0ES3_mN6hipcub16HIPCUB_304000_NS21CountingInputIteratorIllEEPS6_NSA_22TransformInputIteratorIb7NonZeroIaEPalEENS0_5tupleIJPlS6_EEENSJ_IJSD_SD_EEES6_SK_JS6_EEE10hipError_tPvRmT3_T4_T5_T6_T7_T9_mT8_P12ihipStream_tbDpT10_ENKUlT_T0_E_clISt17integral_constantIbLb1EES16_EEDaS11_S12_EUlS11_E_NS1_11comp_targetILNS1_3genE2ELNS1_11target_archE906ELNS1_3gpuE6ELNS1_3repE0EEENS1_30default_config_static_selectorELNS0_4arch9wavefront6targetE1EEEvT1_.kd
    .uniform_work_group_size: 1
    .uses_dynamic_stack: false
    .vgpr_count:     0
    .vgpr_spill_count: 0
    .wavefront_size: 64
  - .args:
      - .offset:         0
        .size:           136
        .value_kind:     by_value
    .group_segment_fixed_size: 0
    .kernarg_segment_align: 8
    .kernarg_segment_size: 136
    .language:       OpenCL C
    .language_version:
      - 2
      - 0
    .max_flat_workgroup_size: 256
    .name:           _ZN7rocprim17ROCPRIM_400000_NS6detail17trampoline_kernelINS0_14default_configENS1_25partition_config_selectorILNS1_17partition_subalgoE5ElNS0_10empty_typeEbEEZZNS1_14partition_implILS5_5ELb0ES3_mN6hipcub16HIPCUB_304000_NS21CountingInputIteratorIllEEPS6_NSA_22TransformInputIteratorIb7NonZeroIaEPalEENS0_5tupleIJPlS6_EEENSJ_IJSD_SD_EEES6_SK_JS6_EEE10hipError_tPvRmT3_T4_T5_T6_T7_T9_mT8_P12ihipStream_tbDpT10_ENKUlT_T0_E_clISt17integral_constantIbLb1EES16_EEDaS11_S12_EUlS11_E_NS1_11comp_targetILNS1_3genE10ELNS1_11target_archE1200ELNS1_3gpuE4ELNS1_3repE0EEENS1_30default_config_static_selectorELNS0_4arch9wavefront6targetE1EEEvT1_
    .private_segment_fixed_size: 0
    .sgpr_count:     4
    .sgpr_spill_count: 0
    .symbol:         _ZN7rocprim17ROCPRIM_400000_NS6detail17trampoline_kernelINS0_14default_configENS1_25partition_config_selectorILNS1_17partition_subalgoE5ElNS0_10empty_typeEbEEZZNS1_14partition_implILS5_5ELb0ES3_mN6hipcub16HIPCUB_304000_NS21CountingInputIteratorIllEEPS6_NSA_22TransformInputIteratorIb7NonZeroIaEPalEENS0_5tupleIJPlS6_EEENSJ_IJSD_SD_EEES6_SK_JS6_EEE10hipError_tPvRmT3_T4_T5_T6_T7_T9_mT8_P12ihipStream_tbDpT10_ENKUlT_T0_E_clISt17integral_constantIbLb1EES16_EEDaS11_S12_EUlS11_E_NS1_11comp_targetILNS1_3genE10ELNS1_11target_archE1200ELNS1_3gpuE4ELNS1_3repE0EEENS1_30default_config_static_selectorELNS0_4arch9wavefront6targetE1EEEvT1_.kd
    .uniform_work_group_size: 1
    .uses_dynamic_stack: false
    .vgpr_count:     0
    .vgpr_spill_count: 0
    .wavefront_size: 64
  - .args:
      - .offset:         0
        .size:           136
        .value_kind:     by_value
    .group_segment_fixed_size: 0
    .kernarg_segment_align: 8
    .kernarg_segment_size: 136
    .language:       OpenCL C
    .language_version:
      - 2
      - 0
    .max_flat_workgroup_size: 128
    .name:           _ZN7rocprim17ROCPRIM_400000_NS6detail17trampoline_kernelINS0_14default_configENS1_25partition_config_selectorILNS1_17partition_subalgoE5ElNS0_10empty_typeEbEEZZNS1_14partition_implILS5_5ELb0ES3_mN6hipcub16HIPCUB_304000_NS21CountingInputIteratorIllEEPS6_NSA_22TransformInputIteratorIb7NonZeroIaEPalEENS0_5tupleIJPlS6_EEENSJ_IJSD_SD_EEES6_SK_JS6_EEE10hipError_tPvRmT3_T4_T5_T6_T7_T9_mT8_P12ihipStream_tbDpT10_ENKUlT_T0_E_clISt17integral_constantIbLb1EES16_EEDaS11_S12_EUlS11_E_NS1_11comp_targetILNS1_3genE9ELNS1_11target_archE1100ELNS1_3gpuE3ELNS1_3repE0EEENS1_30default_config_static_selectorELNS0_4arch9wavefront6targetE1EEEvT1_
    .private_segment_fixed_size: 0
    .sgpr_count:     4
    .sgpr_spill_count: 0
    .symbol:         _ZN7rocprim17ROCPRIM_400000_NS6detail17trampoline_kernelINS0_14default_configENS1_25partition_config_selectorILNS1_17partition_subalgoE5ElNS0_10empty_typeEbEEZZNS1_14partition_implILS5_5ELb0ES3_mN6hipcub16HIPCUB_304000_NS21CountingInputIteratorIllEEPS6_NSA_22TransformInputIteratorIb7NonZeroIaEPalEENS0_5tupleIJPlS6_EEENSJ_IJSD_SD_EEES6_SK_JS6_EEE10hipError_tPvRmT3_T4_T5_T6_T7_T9_mT8_P12ihipStream_tbDpT10_ENKUlT_T0_E_clISt17integral_constantIbLb1EES16_EEDaS11_S12_EUlS11_E_NS1_11comp_targetILNS1_3genE9ELNS1_11target_archE1100ELNS1_3gpuE3ELNS1_3repE0EEENS1_30default_config_static_selectorELNS0_4arch9wavefront6targetE1EEEvT1_.kd
    .uniform_work_group_size: 1
    .uses_dynamic_stack: false
    .vgpr_count:     0
    .vgpr_spill_count: 0
    .wavefront_size: 64
  - .args:
      - .offset:         0
        .size:           136
        .value_kind:     by_value
    .group_segment_fixed_size: 0
    .kernarg_segment_align: 8
    .kernarg_segment_size: 136
    .language:       OpenCL C
    .language_version:
      - 2
      - 0
    .max_flat_workgroup_size: 512
    .name:           _ZN7rocprim17ROCPRIM_400000_NS6detail17trampoline_kernelINS0_14default_configENS1_25partition_config_selectorILNS1_17partition_subalgoE5ElNS0_10empty_typeEbEEZZNS1_14partition_implILS5_5ELb0ES3_mN6hipcub16HIPCUB_304000_NS21CountingInputIteratorIllEEPS6_NSA_22TransformInputIteratorIb7NonZeroIaEPalEENS0_5tupleIJPlS6_EEENSJ_IJSD_SD_EEES6_SK_JS6_EEE10hipError_tPvRmT3_T4_T5_T6_T7_T9_mT8_P12ihipStream_tbDpT10_ENKUlT_T0_E_clISt17integral_constantIbLb1EES16_EEDaS11_S12_EUlS11_E_NS1_11comp_targetILNS1_3genE8ELNS1_11target_archE1030ELNS1_3gpuE2ELNS1_3repE0EEENS1_30default_config_static_selectorELNS0_4arch9wavefront6targetE1EEEvT1_
    .private_segment_fixed_size: 0
    .sgpr_count:     4
    .sgpr_spill_count: 0
    .symbol:         _ZN7rocprim17ROCPRIM_400000_NS6detail17trampoline_kernelINS0_14default_configENS1_25partition_config_selectorILNS1_17partition_subalgoE5ElNS0_10empty_typeEbEEZZNS1_14partition_implILS5_5ELb0ES3_mN6hipcub16HIPCUB_304000_NS21CountingInputIteratorIllEEPS6_NSA_22TransformInputIteratorIb7NonZeroIaEPalEENS0_5tupleIJPlS6_EEENSJ_IJSD_SD_EEES6_SK_JS6_EEE10hipError_tPvRmT3_T4_T5_T6_T7_T9_mT8_P12ihipStream_tbDpT10_ENKUlT_T0_E_clISt17integral_constantIbLb1EES16_EEDaS11_S12_EUlS11_E_NS1_11comp_targetILNS1_3genE8ELNS1_11target_archE1030ELNS1_3gpuE2ELNS1_3repE0EEENS1_30default_config_static_selectorELNS0_4arch9wavefront6targetE1EEEvT1_.kd
    .uniform_work_group_size: 1
    .uses_dynamic_stack: false
    .vgpr_count:     0
    .vgpr_spill_count: 0
    .wavefront_size: 64
  - .args:
      - .address_space:  global
        .offset:         0
        .size:           8
        .value_kind:     global_buffer
      - .offset:         8
        .size:           4
        .value_kind:     by_value
      - .offset:         12
        .size:           1
        .value_kind:     by_value
      - .offset:         16
        .size:           4
        .value_kind:     by_value
      - .address_space:  global
        .offset:         24
        .size:           8
        .value_kind:     global_buffer
      - .offset:         32
        .size:           4
        .value_kind:     hidden_block_count_x
      - .offset:         36
        .size:           4
        .value_kind:     hidden_block_count_y
      - .offset:         40
        .size:           4
        .value_kind:     hidden_block_count_z
      - .offset:         44
        .size:           2
        .value_kind:     hidden_group_size_x
      - .offset:         46
        .size:           2
        .value_kind:     hidden_group_size_y
      - .offset:         48
        .size:           2
        .value_kind:     hidden_group_size_z
      - .offset:         50
        .size:           2
        .value_kind:     hidden_remainder_x
      - .offset:         52
        .size:           2
        .value_kind:     hidden_remainder_y
      - .offset:         54
        .size:           2
        .value_kind:     hidden_remainder_z
      - .offset:         72
        .size:           8
        .value_kind:     hidden_global_offset_x
      - .offset:         80
        .size:           8
        .value_kind:     hidden_global_offset_y
      - .offset:         88
        .size:           8
        .value_kind:     hidden_global_offset_z
      - .offset:         96
        .size:           2
        .value_kind:     hidden_grid_dims
    .group_segment_fixed_size: 0
    .kernarg_segment_align: 8
    .kernarg_segment_size: 288
    .language:       OpenCL C
    .language_version:
      - 2
      - 0
    .max_flat_workgroup_size: 256
    .name:           _ZN7rocprim17ROCPRIM_400000_NS6detail31init_lookback_scan_state_kernelINS1_19lookback_scan_stateImLb1ELb1EEENS1_16block_id_wrapperIjLb0EEEEEvT_jT0_jPNS7_10value_typeE
    .private_segment_fixed_size: 0
    .sgpr_count:     18
    .sgpr_spill_count: 0
    .symbol:         _ZN7rocprim17ROCPRIM_400000_NS6detail31init_lookback_scan_state_kernelINS1_19lookback_scan_stateImLb1ELb1EEENS1_16block_id_wrapperIjLb0EEEEEvT_jT0_jPNS7_10value_typeE.kd
    .uniform_work_group_size: 1
    .uses_dynamic_stack: false
    .vgpr_count:     8
    .vgpr_spill_count: 0
    .wavefront_size: 64
  - .args:
      - .offset:         0
        .size:           120
        .value_kind:     by_value
    .group_segment_fixed_size: 0
    .kernarg_segment_align: 8
    .kernarg_segment_size: 120
    .language:       OpenCL C
    .language_version:
      - 2
      - 0
    .max_flat_workgroup_size: 128
    .name:           _ZN7rocprim17ROCPRIM_400000_NS6detail17trampoline_kernelINS0_14default_configENS1_25partition_config_selectorILNS1_17partition_subalgoE5ElNS0_10empty_typeEbEEZZNS1_14partition_implILS5_5ELb0ES3_mN6hipcub16HIPCUB_304000_NS21CountingInputIteratorIllEEPS6_NSA_22TransformInputIteratorIb7NonZeroIaEPalEENS0_5tupleIJPlS6_EEENSJ_IJSD_SD_EEES6_SK_JS6_EEE10hipError_tPvRmT3_T4_T5_T6_T7_T9_mT8_P12ihipStream_tbDpT10_ENKUlT_T0_E_clISt17integral_constantIbLb1EES15_IbLb0EEEEDaS11_S12_EUlS11_E_NS1_11comp_targetILNS1_3genE0ELNS1_11target_archE4294967295ELNS1_3gpuE0ELNS1_3repE0EEENS1_30default_config_static_selectorELNS0_4arch9wavefront6targetE1EEEvT1_
    .private_segment_fixed_size: 0
    .sgpr_count:     4
    .sgpr_spill_count: 0
    .symbol:         _ZN7rocprim17ROCPRIM_400000_NS6detail17trampoline_kernelINS0_14default_configENS1_25partition_config_selectorILNS1_17partition_subalgoE5ElNS0_10empty_typeEbEEZZNS1_14partition_implILS5_5ELb0ES3_mN6hipcub16HIPCUB_304000_NS21CountingInputIteratorIllEEPS6_NSA_22TransformInputIteratorIb7NonZeroIaEPalEENS0_5tupleIJPlS6_EEENSJ_IJSD_SD_EEES6_SK_JS6_EEE10hipError_tPvRmT3_T4_T5_T6_T7_T9_mT8_P12ihipStream_tbDpT10_ENKUlT_T0_E_clISt17integral_constantIbLb1EES15_IbLb0EEEEDaS11_S12_EUlS11_E_NS1_11comp_targetILNS1_3genE0ELNS1_11target_archE4294967295ELNS1_3gpuE0ELNS1_3repE0EEENS1_30default_config_static_selectorELNS0_4arch9wavefront6targetE1EEEvT1_.kd
    .uniform_work_group_size: 1
    .uses_dynamic_stack: false
    .vgpr_count:     0
    .vgpr_spill_count: 0
    .wavefront_size: 64
  - .args:
      - .offset:         0
        .size:           120
        .value_kind:     by_value
    .group_segment_fixed_size: 0
    .kernarg_segment_align: 8
    .kernarg_segment_size: 120
    .language:       OpenCL C
    .language_version:
      - 2
      - 0
    .max_flat_workgroup_size: 512
    .name:           _ZN7rocprim17ROCPRIM_400000_NS6detail17trampoline_kernelINS0_14default_configENS1_25partition_config_selectorILNS1_17partition_subalgoE5ElNS0_10empty_typeEbEEZZNS1_14partition_implILS5_5ELb0ES3_mN6hipcub16HIPCUB_304000_NS21CountingInputIteratorIllEEPS6_NSA_22TransformInputIteratorIb7NonZeroIaEPalEENS0_5tupleIJPlS6_EEENSJ_IJSD_SD_EEES6_SK_JS6_EEE10hipError_tPvRmT3_T4_T5_T6_T7_T9_mT8_P12ihipStream_tbDpT10_ENKUlT_T0_E_clISt17integral_constantIbLb1EES15_IbLb0EEEEDaS11_S12_EUlS11_E_NS1_11comp_targetILNS1_3genE5ELNS1_11target_archE942ELNS1_3gpuE9ELNS1_3repE0EEENS1_30default_config_static_selectorELNS0_4arch9wavefront6targetE1EEEvT1_
    .private_segment_fixed_size: 0
    .sgpr_count:     4
    .sgpr_spill_count: 0
    .symbol:         _ZN7rocprim17ROCPRIM_400000_NS6detail17trampoline_kernelINS0_14default_configENS1_25partition_config_selectorILNS1_17partition_subalgoE5ElNS0_10empty_typeEbEEZZNS1_14partition_implILS5_5ELb0ES3_mN6hipcub16HIPCUB_304000_NS21CountingInputIteratorIllEEPS6_NSA_22TransformInputIteratorIb7NonZeroIaEPalEENS0_5tupleIJPlS6_EEENSJ_IJSD_SD_EEES6_SK_JS6_EEE10hipError_tPvRmT3_T4_T5_T6_T7_T9_mT8_P12ihipStream_tbDpT10_ENKUlT_T0_E_clISt17integral_constantIbLb1EES15_IbLb0EEEEDaS11_S12_EUlS11_E_NS1_11comp_targetILNS1_3genE5ELNS1_11target_archE942ELNS1_3gpuE9ELNS1_3repE0EEENS1_30default_config_static_selectorELNS0_4arch9wavefront6targetE1EEEvT1_.kd
    .uniform_work_group_size: 1
    .uses_dynamic_stack: false
    .vgpr_count:     0
    .vgpr_spill_count: 0
    .wavefront_size: 64
  - .args:
      - .offset:         0
        .size:           120
        .value_kind:     by_value
    .group_segment_fixed_size: 0
    .kernarg_segment_align: 8
    .kernarg_segment_size: 120
    .language:       OpenCL C
    .language_version:
      - 2
      - 0
    .max_flat_workgroup_size: 192
    .name:           _ZN7rocprim17ROCPRIM_400000_NS6detail17trampoline_kernelINS0_14default_configENS1_25partition_config_selectorILNS1_17partition_subalgoE5ElNS0_10empty_typeEbEEZZNS1_14partition_implILS5_5ELb0ES3_mN6hipcub16HIPCUB_304000_NS21CountingInputIteratorIllEEPS6_NSA_22TransformInputIteratorIb7NonZeroIaEPalEENS0_5tupleIJPlS6_EEENSJ_IJSD_SD_EEES6_SK_JS6_EEE10hipError_tPvRmT3_T4_T5_T6_T7_T9_mT8_P12ihipStream_tbDpT10_ENKUlT_T0_E_clISt17integral_constantIbLb1EES15_IbLb0EEEEDaS11_S12_EUlS11_E_NS1_11comp_targetILNS1_3genE4ELNS1_11target_archE910ELNS1_3gpuE8ELNS1_3repE0EEENS1_30default_config_static_selectorELNS0_4arch9wavefront6targetE1EEEvT1_
    .private_segment_fixed_size: 0
    .sgpr_count:     4
    .sgpr_spill_count: 0
    .symbol:         _ZN7rocprim17ROCPRIM_400000_NS6detail17trampoline_kernelINS0_14default_configENS1_25partition_config_selectorILNS1_17partition_subalgoE5ElNS0_10empty_typeEbEEZZNS1_14partition_implILS5_5ELb0ES3_mN6hipcub16HIPCUB_304000_NS21CountingInputIteratorIllEEPS6_NSA_22TransformInputIteratorIb7NonZeroIaEPalEENS0_5tupleIJPlS6_EEENSJ_IJSD_SD_EEES6_SK_JS6_EEE10hipError_tPvRmT3_T4_T5_T6_T7_T9_mT8_P12ihipStream_tbDpT10_ENKUlT_T0_E_clISt17integral_constantIbLb1EES15_IbLb0EEEEDaS11_S12_EUlS11_E_NS1_11comp_targetILNS1_3genE4ELNS1_11target_archE910ELNS1_3gpuE8ELNS1_3repE0EEENS1_30default_config_static_selectorELNS0_4arch9wavefront6targetE1EEEvT1_.kd
    .uniform_work_group_size: 1
    .uses_dynamic_stack: false
    .vgpr_count:     0
    .vgpr_spill_count: 0
    .wavefront_size: 64
  - .args:
      - .offset:         0
        .size:           120
        .value_kind:     by_value
    .group_segment_fixed_size: 0
    .kernarg_segment_align: 8
    .kernarg_segment_size: 120
    .language:       OpenCL C
    .language_version:
      - 2
      - 0
    .max_flat_workgroup_size: 128
    .name:           _ZN7rocprim17ROCPRIM_400000_NS6detail17trampoline_kernelINS0_14default_configENS1_25partition_config_selectorILNS1_17partition_subalgoE5ElNS0_10empty_typeEbEEZZNS1_14partition_implILS5_5ELb0ES3_mN6hipcub16HIPCUB_304000_NS21CountingInputIteratorIllEEPS6_NSA_22TransformInputIteratorIb7NonZeroIaEPalEENS0_5tupleIJPlS6_EEENSJ_IJSD_SD_EEES6_SK_JS6_EEE10hipError_tPvRmT3_T4_T5_T6_T7_T9_mT8_P12ihipStream_tbDpT10_ENKUlT_T0_E_clISt17integral_constantIbLb1EES15_IbLb0EEEEDaS11_S12_EUlS11_E_NS1_11comp_targetILNS1_3genE3ELNS1_11target_archE908ELNS1_3gpuE7ELNS1_3repE0EEENS1_30default_config_static_selectorELNS0_4arch9wavefront6targetE1EEEvT1_
    .private_segment_fixed_size: 0
    .sgpr_count:     4
    .sgpr_spill_count: 0
    .symbol:         _ZN7rocprim17ROCPRIM_400000_NS6detail17trampoline_kernelINS0_14default_configENS1_25partition_config_selectorILNS1_17partition_subalgoE5ElNS0_10empty_typeEbEEZZNS1_14partition_implILS5_5ELb0ES3_mN6hipcub16HIPCUB_304000_NS21CountingInputIteratorIllEEPS6_NSA_22TransformInputIteratorIb7NonZeroIaEPalEENS0_5tupleIJPlS6_EEENSJ_IJSD_SD_EEES6_SK_JS6_EEE10hipError_tPvRmT3_T4_T5_T6_T7_T9_mT8_P12ihipStream_tbDpT10_ENKUlT_T0_E_clISt17integral_constantIbLb1EES15_IbLb0EEEEDaS11_S12_EUlS11_E_NS1_11comp_targetILNS1_3genE3ELNS1_11target_archE908ELNS1_3gpuE7ELNS1_3repE0EEENS1_30default_config_static_selectorELNS0_4arch9wavefront6targetE1EEEvT1_.kd
    .uniform_work_group_size: 1
    .uses_dynamic_stack: false
    .vgpr_count:     0
    .vgpr_spill_count: 0
    .wavefront_size: 64
  - .args:
      - .offset:         0
        .size:           120
        .value_kind:     by_value
    .group_segment_fixed_size: 0
    .kernarg_segment_align: 8
    .kernarg_segment_size: 120
    .language:       OpenCL C
    .language_version:
      - 2
      - 0
    .max_flat_workgroup_size: 256
    .name:           _ZN7rocprim17ROCPRIM_400000_NS6detail17trampoline_kernelINS0_14default_configENS1_25partition_config_selectorILNS1_17partition_subalgoE5ElNS0_10empty_typeEbEEZZNS1_14partition_implILS5_5ELb0ES3_mN6hipcub16HIPCUB_304000_NS21CountingInputIteratorIllEEPS6_NSA_22TransformInputIteratorIb7NonZeroIaEPalEENS0_5tupleIJPlS6_EEENSJ_IJSD_SD_EEES6_SK_JS6_EEE10hipError_tPvRmT3_T4_T5_T6_T7_T9_mT8_P12ihipStream_tbDpT10_ENKUlT_T0_E_clISt17integral_constantIbLb1EES15_IbLb0EEEEDaS11_S12_EUlS11_E_NS1_11comp_targetILNS1_3genE2ELNS1_11target_archE906ELNS1_3gpuE6ELNS1_3repE0EEENS1_30default_config_static_selectorELNS0_4arch9wavefront6targetE1EEEvT1_
    .private_segment_fixed_size: 0
    .sgpr_count:     4
    .sgpr_spill_count: 0
    .symbol:         _ZN7rocprim17ROCPRIM_400000_NS6detail17trampoline_kernelINS0_14default_configENS1_25partition_config_selectorILNS1_17partition_subalgoE5ElNS0_10empty_typeEbEEZZNS1_14partition_implILS5_5ELb0ES3_mN6hipcub16HIPCUB_304000_NS21CountingInputIteratorIllEEPS6_NSA_22TransformInputIteratorIb7NonZeroIaEPalEENS0_5tupleIJPlS6_EEENSJ_IJSD_SD_EEES6_SK_JS6_EEE10hipError_tPvRmT3_T4_T5_T6_T7_T9_mT8_P12ihipStream_tbDpT10_ENKUlT_T0_E_clISt17integral_constantIbLb1EES15_IbLb0EEEEDaS11_S12_EUlS11_E_NS1_11comp_targetILNS1_3genE2ELNS1_11target_archE906ELNS1_3gpuE6ELNS1_3repE0EEENS1_30default_config_static_selectorELNS0_4arch9wavefront6targetE1EEEvT1_.kd
    .uniform_work_group_size: 1
    .uses_dynamic_stack: false
    .vgpr_count:     0
    .vgpr_spill_count: 0
    .wavefront_size: 64
  - .args:
      - .offset:         0
        .size:           120
        .value_kind:     by_value
    .group_segment_fixed_size: 0
    .kernarg_segment_align: 8
    .kernarg_segment_size: 120
    .language:       OpenCL C
    .language_version:
      - 2
      - 0
    .max_flat_workgroup_size: 256
    .name:           _ZN7rocprim17ROCPRIM_400000_NS6detail17trampoline_kernelINS0_14default_configENS1_25partition_config_selectorILNS1_17partition_subalgoE5ElNS0_10empty_typeEbEEZZNS1_14partition_implILS5_5ELb0ES3_mN6hipcub16HIPCUB_304000_NS21CountingInputIteratorIllEEPS6_NSA_22TransformInputIteratorIb7NonZeroIaEPalEENS0_5tupleIJPlS6_EEENSJ_IJSD_SD_EEES6_SK_JS6_EEE10hipError_tPvRmT3_T4_T5_T6_T7_T9_mT8_P12ihipStream_tbDpT10_ENKUlT_T0_E_clISt17integral_constantIbLb1EES15_IbLb0EEEEDaS11_S12_EUlS11_E_NS1_11comp_targetILNS1_3genE10ELNS1_11target_archE1200ELNS1_3gpuE4ELNS1_3repE0EEENS1_30default_config_static_selectorELNS0_4arch9wavefront6targetE1EEEvT1_
    .private_segment_fixed_size: 0
    .sgpr_count:     4
    .sgpr_spill_count: 0
    .symbol:         _ZN7rocprim17ROCPRIM_400000_NS6detail17trampoline_kernelINS0_14default_configENS1_25partition_config_selectorILNS1_17partition_subalgoE5ElNS0_10empty_typeEbEEZZNS1_14partition_implILS5_5ELb0ES3_mN6hipcub16HIPCUB_304000_NS21CountingInputIteratorIllEEPS6_NSA_22TransformInputIteratorIb7NonZeroIaEPalEENS0_5tupleIJPlS6_EEENSJ_IJSD_SD_EEES6_SK_JS6_EEE10hipError_tPvRmT3_T4_T5_T6_T7_T9_mT8_P12ihipStream_tbDpT10_ENKUlT_T0_E_clISt17integral_constantIbLb1EES15_IbLb0EEEEDaS11_S12_EUlS11_E_NS1_11comp_targetILNS1_3genE10ELNS1_11target_archE1200ELNS1_3gpuE4ELNS1_3repE0EEENS1_30default_config_static_selectorELNS0_4arch9wavefront6targetE1EEEvT1_.kd
    .uniform_work_group_size: 1
    .uses_dynamic_stack: false
    .vgpr_count:     0
    .vgpr_spill_count: 0
    .wavefront_size: 64
  - .args:
      - .offset:         0
        .size:           120
        .value_kind:     by_value
    .group_segment_fixed_size: 0
    .kernarg_segment_align: 8
    .kernarg_segment_size: 120
    .language:       OpenCL C
    .language_version:
      - 2
      - 0
    .max_flat_workgroup_size: 128
    .name:           _ZN7rocprim17ROCPRIM_400000_NS6detail17trampoline_kernelINS0_14default_configENS1_25partition_config_selectorILNS1_17partition_subalgoE5ElNS0_10empty_typeEbEEZZNS1_14partition_implILS5_5ELb0ES3_mN6hipcub16HIPCUB_304000_NS21CountingInputIteratorIllEEPS6_NSA_22TransformInputIteratorIb7NonZeroIaEPalEENS0_5tupleIJPlS6_EEENSJ_IJSD_SD_EEES6_SK_JS6_EEE10hipError_tPvRmT3_T4_T5_T6_T7_T9_mT8_P12ihipStream_tbDpT10_ENKUlT_T0_E_clISt17integral_constantIbLb1EES15_IbLb0EEEEDaS11_S12_EUlS11_E_NS1_11comp_targetILNS1_3genE9ELNS1_11target_archE1100ELNS1_3gpuE3ELNS1_3repE0EEENS1_30default_config_static_selectorELNS0_4arch9wavefront6targetE1EEEvT1_
    .private_segment_fixed_size: 0
    .sgpr_count:     4
    .sgpr_spill_count: 0
    .symbol:         _ZN7rocprim17ROCPRIM_400000_NS6detail17trampoline_kernelINS0_14default_configENS1_25partition_config_selectorILNS1_17partition_subalgoE5ElNS0_10empty_typeEbEEZZNS1_14partition_implILS5_5ELb0ES3_mN6hipcub16HIPCUB_304000_NS21CountingInputIteratorIllEEPS6_NSA_22TransformInputIteratorIb7NonZeroIaEPalEENS0_5tupleIJPlS6_EEENSJ_IJSD_SD_EEES6_SK_JS6_EEE10hipError_tPvRmT3_T4_T5_T6_T7_T9_mT8_P12ihipStream_tbDpT10_ENKUlT_T0_E_clISt17integral_constantIbLb1EES15_IbLb0EEEEDaS11_S12_EUlS11_E_NS1_11comp_targetILNS1_3genE9ELNS1_11target_archE1100ELNS1_3gpuE3ELNS1_3repE0EEENS1_30default_config_static_selectorELNS0_4arch9wavefront6targetE1EEEvT1_.kd
    .uniform_work_group_size: 1
    .uses_dynamic_stack: false
    .vgpr_count:     0
    .vgpr_spill_count: 0
    .wavefront_size: 64
  - .args:
      - .offset:         0
        .size:           120
        .value_kind:     by_value
    .group_segment_fixed_size: 0
    .kernarg_segment_align: 8
    .kernarg_segment_size: 120
    .language:       OpenCL C
    .language_version:
      - 2
      - 0
    .max_flat_workgroup_size: 512
    .name:           _ZN7rocprim17ROCPRIM_400000_NS6detail17trampoline_kernelINS0_14default_configENS1_25partition_config_selectorILNS1_17partition_subalgoE5ElNS0_10empty_typeEbEEZZNS1_14partition_implILS5_5ELb0ES3_mN6hipcub16HIPCUB_304000_NS21CountingInputIteratorIllEEPS6_NSA_22TransformInputIteratorIb7NonZeroIaEPalEENS0_5tupleIJPlS6_EEENSJ_IJSD_SD_EEES6_SK_JS6_EEE10hipError_tPvRmT3_T4_T5_T6_T7_T9_mT8_P12ihipStream_tbDpT10_ENKUlT_T0_E_clISt17integral_constantIbLb1EES15_IbLb0EEEEDaS11_S12_EUlS11_E_NS1_11comp_targetILNS1_3genE8ELNS1_11target_archE1030ELNS1_3gpuE2ELNS1_3repE0EEENS1_30default_config_static_selectorELNS0_4arch9wavefront6targetE1EEEvT1_
    .private_segment_fixed_size: 0
    .sgpr_count:     4
    .sgpr_spill_count: 0
    .symbol:         _ZN7rocprim17ROCPRIM_400000_NS6detail17trampoline_kernelINS0_14default_configENS1_25partition_config_selectorILNS1_17partition_subalgoE5ElNS0_10empty_typeEbEEZZNS1_14partition_implILS5_5ELb0ES3_mN6hipcub16HIPCUB_304000_NS21CountingInputIteratorIllEEPS6_NSA_22TransformInputIteratorIb7NonZeroIaEPalEENS0_5tupleIJPlS6_EEENSJ_IJSD_SD_EEES6_SK_JS6_EEE10hipError_tPvRmT3_T4_T5_T6_T7_T9_mT8_P12ihipStream_tbDpT10_ENKUlT_T0_E_clISt17integral_constantIbLb1EES15_IbLb0EEEEDaS11_S12_EUlS11_E_NS1_11comp_targetILNS1_3genE8ELNS1_11target_archE1030ELNS1_3gpuE2ELNS1_3repE0EEENS1_30default_config_static_selectorELNS0_4arch9wavefront6targetE1EEEvT1_.kd
    .uniform_work_group_size: 1
    .uses_dynamic_stack: false
    .vgpr_count:     0
    .vgpr_spill_count: 0
    .wavefront_size: 64
  - .args:
      - .address_space:  global
        .offset:         0
        .size:           8
        .value_kind:     global_buffer
      - .offset:         8
        .size:           4
        .value_kind:     by_value
      - .address_space:  global
        .offset:         16
        .size:           8
        .value_kind:     global_buffer
      - .offset:         24
        .size:           4
        .value_kind:     by_value
      - .address_space:  global
        .offset:         32
        .size:           8
        .value_kind:     global_buffer
      - .offset:         40
        .size:           4
        .value_kind:     hidden_block_count_x
      - .offset:         44
        .size:           4
        .value_kind:     hidden_block_count_y
      - .offset:         48
        .size:           4
        .value_kind:     hidden_block_count_z
      - .offset:         52
        .size:           2
        .value_kind:     hidden_group_size_x
      - .offset:         54
        .size:           2
        .value_kind:     hidden_group_size_y
      - .offset:         56
        .size:           2
        .value_kind:     hidden_group_size_z
      - .offset:         58
        .size:           2
        .value_kind:     hidden_remainder_x
      - .offset:         60
        .size:           2
        .value_kind:     hidden_remainder_y
      - .offset:         62
        .size:           2
        .value_kind:     hidden_remainder_z
      - .offset:         80
        .size:           8
        .value_kind:     hidden_global_offset_x
      - .offset:         88
        .size:           8
        .value_kind:     hidden_global_offset_y
      - .offset:         96
        .size:           8
        .value_kind:     hidden_global_offset_z
      - .offset:         104
        .size:           2
        .value_kind:     hidden_grid_dims
    .group_segment_fixed_size: 0
    .kernarg_segment_align: 8
    .kernarg_segment_size: 296
    .language:       OpenCL C
    .language_version:
      - 2
      - 0
    .max_flat_workgroup_size: 256
    .name:           _ZN7rocprim17ROCPRIM_400000_NS6detail31init_lookback_scan_state_kernelINS1_19lookback_scan_stateImLb0ELb1EEENS1_16block_id_wrapperIjLb1EEEEEvT_jT0_jPNS7_10value_typeE
    .private_segment_fixed_size: 0
    .sgpr_count:     19
    .sgpr_spill_count: 0
    .symbol:         _ZN7rocprim17ROCPRIM_400000_NS6detail31init_lookback_scan_state_kernelINS1_19lookback_scan_stateImLb0ELb1EEENS1_16block_id_wrapperIjLb1EEEEEvT_jT0_jPNS7_10value_typeE.kd
    .uniform_work_group_size: 1
    .uses_dynamic_stack: false
    .vgpr_count:     8
    .vgpr_spill_count: 0
    .wavefront_size: 64
  - .args:
      - .offset:         0
        .size:           136
        .value_kind:     by_value
    .group_segment_fixed_size: 0
    .kernarg_segment_align: 8
    .kernarg_segment_size: 136
    .language:       OpenCL C
    .language_version:
      - 2
      - 0
    .max_flat_workgroup_size: 128
    .name:           _ZN7rocprim17ROCPRIM_400000_NS6detail17trampoline_kernelINS0_14default_configENS1_25partition_config_selectorILNS1_17partition_subalgoE5ElNS0_10empty_typeEbEEZZNS1_14partition_implILS5_5ELb0ES3_mN6hipcub16HIPCUB_304000_NS21CountingInputIteratorIllEEPS6_NSA_22TransformInputIteratorIb7NonZeroIaEPalEENS0_5tupleIJPlS6_EEENSJ_IJSD_SD_EEES6_SK_JS6_EEE10hipError_tPvRmT3_T4_T5_T6_T7_T9_mT8_P12ihipStream_tbDpT10_ENKUlT_T0_E_clISt17integral_constantIbLb0EES15_IbLb1EEEEDaS11_S12_EUlS11_E_NS1_11comp_targetILNS1_3genE0ELNS1_11target_archE4294967295ELNS1_3gpuE0ELNS1_3repE0EEENS1_30default_config_static_selectorELNS0_4arch9wavefront6targetE1EEEvT1_
    .private_segment_fixed_size: 0
    .sgpr_count:     4
    .sgpr_spill_count: 0
    .symbol:         _ZN7rocprim17ROCPRIM_400000_NS6detail17trampoline_kernelINS0_14default_configENS1_25partition_config_selectorILNS1_17partition_subalgoE5ElNS0_10empty_typeEbEEZZNS1_14partition_implILS5_5ELb0ES3_mN6hipcub16HIPCUB_304000_NS21CountingInputIteratorIllEEPS6_NSA_22TransformInputIteratorIb7NonZeroIaEPalEENS0_5tupleIJPlS6_EEENSJ_IJSD_SD_EEES6_SK_JS6_EEE10hipError_tPvRmT3_T4_T5_T6_T7_T9_mT8_P12ihipStream_tbDpT10_ENKUlT_T0_E_clISt17integral_constantIbLb0EES15_IbLb1EEEEDaS11_S12_EUlS11_E_NS1_11comp_targetILNS1_3genE0ELNS1_11target_archE4294967295ELNS1_3gpuE0ELNS1_3repE0EEENS1_30default_config_static_selectorELNS0_4arch9wavefront6targetE1EEEvT1_.kd
    .uniform_work_group_size: 1
    .uses_dynamic_stack: false
    .vgpr_count:     0
    .vgpr_spill_count: 0
    .wavefront_size: 64
  - .args:
      - .offset:         0
        .size:           136
        .value_kind:     by_value
    .group_segment_fixed_size: 0
    .kernarg_segment_align: 8
    .kernarg_segment_size: 136
    .language:       OpenCL C
    .language_version:
      - 2
      - 0
    .max_flat_workgroup_size: 512
    .name:           _ZN7rocprim17ROCPRIM_400000_NS6detail17trampoline_kernelINS0_14default_configENS1_25partition_config_selectorILNS1_17partition_subalgoE5ElNS0_10empty_typeEbEEZZNS1_14partition_implILS5_5ELb0ES3_mN6hipcub16HIPCUB_304000_NS21CountingInputIteratorIllEEPS6_NSA_22TransformInputIteratorIb7NonZeroIaEPalEENS0_5tupleIJPlS6_EEENSJ_IJSD_SD_EEES6_SK_JS6_EEE10hipError_tPvRmT3_T4_T5_T6_T7_T9_mT8_P12ihipStream_tbDpT10_ENKUlT_T0_E_clISt17integral_constantIbLb0EES15_IbLb1EEEEDaS11_S12_EUlS11_E_NS1_11comp_targetILNS1_3genE5ELNS1_11target_archE942ELNS1_3gpuE9ELNS1_3repE0EEENS1_30default_config_static_selectorELNS0_4arch9wavefront6targetE1EEEvT1_
    .private_segment_fixed_size: 0
    .sgpr_count:     4
    .sgpr_spill_count: 0
    .symbol:         _ZN7rocprim17ROCPRIM_400000_NS6detail17trampoline_kernelINS0_14default_configENS1_25partition_config_selectorILNS1_17partition_subalgoE5ElNS0_10empty_typeEbEEZZNS1_14partition_implILS5_5ELb0ES3_mN6hipcub16HIPCUB_304000_NS21CountingInputIteratorIllEEPS6_NSA_22TransformInputIteratorIb7NonZeroIaEPalEENS0_5tupleIJPlS6_EEENSJ_IJSD_SD_EEES6_SK_JS6_EEE10hipError_tPvRmT3_T4_T5_T6_T7_T9_mT8_P12ihipStream_tbDpT10_ENKUlT_T0_E_clISt17integral_constantIbLb0EES15_IbLb1EEEEDaS11_S12_EUlS11_E_NS1_11comp_targetILNS1_3genE5ELNS1_11target_archE942ELNS1_3gpuE9ELNS1_3repE0EEENS1_30default_config_static_selectorELNS0_4arch9wavefront6targetE1EEEvT1_.kd
    .uniform_work_group_size: 1
    .uses_dynamic_stack: false
    .vgpr_count:     0
    .vgpr_spill_count: 0
    .wavefront_size: 64
  - .args:
      - .offset:         0
        .size:           136
        .value_kind:     by_value
    .group_segment_fixed_size: 0
    .kernarg_segment_align: 8
    .kernarg_segment_size: 136
    .language:       OpenCL C
    .language_version:
      - 2
      - 0
    .max_flat_workgroup_size: 192
    .name:           _ZN7rocprim17ROCPRIM_400000_NS6detail17trampoline_kernelINS0_14default_configENS1_25partition_config_selectorILNS1_17partition_subalgoE5ElNS0_10empty_typeEbEEZZNS1_14partition_implILS5_5ELb0ES3_mN6hipcub16HIPCUB_304000_NS21CountingInputIteratorIllEEPS6_NSA_22TransformInputIteratorIb7NonZeroIaEPalEENS0_5tupleIJPlS6_EEENSJ_IJSD_SD_EEES6_SK_JS6_EEE10hipError_tPvRmT3_T4_T5_T6_T7_T9_mT8_P12ihipStream_tbDpT10_ENKUlT_T0_E_clISt17integral_constantIbLb0EES15_IbLb1EEEEDaS11_S12_EUlS11_E_NS1_11comp_targetILNS1_3genE4ELNS1_11target_archE910ELNS1_3gpuE8ELNS1_3repE0EEENS1_30default_config_static_selectorELNS0_4arch9wavefront6targetE1EEEvT1_
    .private_segment_fixed_size: 0
    .sgpr_count:     4
    .sgpr_spill_count: 0
    .symbol:         _ZN7rocprim17ROCPRIM_400000_NS6detail17trampoline_kernelINS0_14default_configENS1_25partition_config_selectorILNS1_17partition_subalgoE5ElNS0_10empty_typeEbEEZZNS1_14partition_implILS5_5ELb0ES3_mN6hipcub16HIPCUB_304000_NS21CountingInputIteratorIllEEPS6_NSA_22TransformInputIteratorIb7NonZeroIaEPalEENS0_5tupleIJPlS6_EEENSJ_IJSD_SD_EEES6_SK_JS6_EEE10hipError_tPvRmT3_T4_T5_T6_T7_T9_mT8_P12ihipStream_tbDpT10_ENKUlT_T0_E_clISt17integral_constantIbLb0EES15_IbLb1EEEEDaS11_S12_EUlS11_E_NS1_11comp_targetILNS1_3genE4ELNS1_11target_archE910ELNS1_3gpuE8ELNS1_3repE0EEENS1_30default_config_static_selectorELNS0_4arch9wavefront6targetE1EEEvT1_.kd
    .uniform_work_group_size: 1
    .uses_dynamic_stack: false
    .vgpr_count:     0
    .vgpr_spill_count: 0
    .wavefront_size: 64
  - .args:
      - .offset:         0
        .size:           136
        .value_kind:     by_value
    .group_segment_fixed_size: 0
    .kernarg_segment_align: 8
    .kernarg_segment_size: 136
    .language:       OpenCL C
    .language_version:
      - 2
      - 0
    .max_flat_workgroup_size: 128
    .name:           _ZN7rocprim17ROCPRIM_400000_NS6detail17trampoline_kernelINS0_14default_configENS1_25partition_config_selectorILNS1_17partition_subalgoE5ElNS0_10empty_typeEbEEZZNS1_14partition_implILS5_5ELb0ES3_mN6hipcub16HIPCUB_304000_NS21CountingInputIteratorIllEEPS6_NSA_22TransformInputIteratorIb7NonZeroIaEPalEENS0_5tupleIJPlS6_EEENSJ_IJSD_SD_EEES6_SK_JS6_EEE10hipError_tPvRmT3_T4_T5_T6_T7_T9_mT8_P12ihipStream_tbDpT10_ENKUlT_T0_E_clISt17integral_constantIbLb0EES15_IbLb1EEEEDaS11_S12_EUlS11_E_NS1_11comp_targetILNS1_3genE3ELNS1_11target_archE908ELNS1_3gpuE7ELNS1_3repE0EEENS1_30default_config_static_selectorELNS0_4arch9wavefront6targetE1EEEvT1_
    .private_segment_fixed_size: 0
    .sgpr_count:     4
    .sgpr_spill_count: 0
    .symbol:         _ZN7rocprim17ROCPRIM_400000_NS6detail17trampoline_kernelINS0_14default_configENS1_25partition_config_selectorILNS1_17partition_subalgoE5ElNS0_10empty_typeEbEEZZNS1_14partition_implILS5_5ELb0ES3_mN6hipcub16HIPCUB_304000_NS21CountingInputIteratorIllEEPS6_NSA_22TransformInputIteratorIb7NonZeroIaEPalEENS0_5tupleIJPlS6_EEENSJ_IJSD_SD_EEES6_SK_JS6_EEE10hipError_tPvRmT3_T4_T5_T6_T7_T9_mT8_P12ihipStream_tbDpT10_ENKUlT_T0_E_clISt17integral_constantIbLb0EES15_IbLb1EEEEDaS11_S12_EUlS11_E_NS1_11comp_targetILNS1_3genE3ELNS1_11target_archE908ELNS1_3gpuE7ELNS1_3repE0EEENS1_30default_config_static_selectorELNS0_4arch9wavefront6targetE1EEEvT1_.kd
    .uniform_work_group_size: 1
    .uses_dynamic_stack: false
    .vgpr_count:     0
    .vgpr_spill_count: 0
    .wavefront_size: 64
  - .args:
      - .offset:         0
        .size:           136
        .value_kind:     by_value
    .group_segment_fixed_size: 14352
    .kernarg_segment_align: 8
    .kernarg_segment_size: 136
    .language:       OpenCL C
    .language_version:
      - 2
      - 0
    .max_flat_workgroup_size: 256
    .name:           _ZN7rocprim17ROCPRIM_400000_NS6detail17trampoline_kernelINS0_14default_configENS1_25partition_config_selectorILNS1_17partition_subalgoE5ElNS0_10empty_typeEbEEZZNS1_14partition_implILS5_5ELb0ES3_mN6hipcub16HIPCUB_304000_NS21CountingInputIteratorIllEEPS6_NSA_22TransformInputIteratorIb7NonZeroIaEPalEENS0_5tupleIJPlS6_EEENSJ_IJSD_SD_EEES6_SK_JS6_EEE10hipError_tPvRmT3_T4_T5_T6_T7_T9_mT8_P12ihipStream_tbDpT10_ENKUlT_T0_E_clISt17integral_constantIbLb0EES15_IbLb1EEEEDaS11_S12_EUlS11_E_NS1_11comp_targetILNS1_3genE2ELNS1_11target_archE906ELNS1_3gpuE6ELNS1_3repE0EEENS1_30default_config_static_selectorELNS0_4arch9wavefront6targetE1EEEvT1_
    .private_segment_fixed_size: 0
    .sgpr_count:     32
    .sgpr_spill_count: 0
    .symbol:         _ZN7rocprim17ROCPRIM_400000_NS6detail17trampoline_kernelINS0_14default_configENS1_25partition_config_selectorILNS1_17partition_subalgoE5ElNS0_10empty_typeEbEEZZNS1_14partition_implILS5_5ELb0ES3_mN6hipcub16HIPCUB_304000_NS21CountingInputIteratorIllEEPS6_NSA_22TransformInputIteratorIb7NonZeroIaEPalEENS0_5tupleIJPlS6_EEENSJ_IJSD_SD_EEES6_SK_JS6_EEE10hipError_tPvRmT3_T4_T5_T6_T7_T9_mT8_P12ihipStream_tbDpT10_ENKUlT_T0_E_clISt17integral_constantIbLb0EES15_IbLb1EEEEDaS11_S12_EUlS11_E_NS1_11comp_targetILNS1_3genE2ELNS1_11target_archE906ELNS1_3gpuE6ELNS1_3repE0EEENS1_30default_config_static_selectorELNS0_4arch9wavefront6targetE1EEEvT1_.kd
    .uniform_work_group_size: 1
    .uses_dynamic_stack: false
    .vgpr_count:     59
    .vgpr_spill_count: 0
    .wavefront_size: 64
  - .args:
      - .offset:         0
        .size:           136
        .value_kind:     by_value
    .group_segment_fixed_size: 0
    .kernarg_segment_align: 8
    .kernarg_segment_size: 136
    .language:       OpenCL C
    .language_version:
      - 2
      - 0
    .max_flat_workgroup_size: 256
    .name:           _ZN7rocprim17ROCPRIM_400000_NS6detail17trampoline_kernelINS0_14default_configENS1_25partition_config_selectorILNS1_17partition_subalgoE5ElNS0_10empty_typeEbEEZZNS1_14partition_implILS5_5ELb0ES3_mN6hipcub16HIPCUB_304000_NS21CountingInputIteratorIllEEPS6_NSA_22TransformInputIteratorIb7NonZeroIaEPalEENS0_5tupleIJPlS6_EEENSJ_IJSD_SD_EEES6_SK_JS6_EEE10hipError_tPvRmT3_T4_T5_T6_T7_T9_mT8_P12ihipStream_tbDpT10_ENKUlT_T0_E_clISt17integral_constantIbLb0EES15_IbLb1EEEEDaS11_S12_EUlS11_E_NS1_11comp_targetILNS1_3genE10ELNS1_11target_archE1200ELNS1_3gpuE4ELNS1_3repE0EEENS1_30default_config_static_selectorELNS0_4arch9wavefront6targetE1EEEvT1_
    .private_segment_fixed_size: 0
    .sgpr_count:     4
    .sgpr_spill_count: 0
    .symbol:         _ZN7rocprim17ROCPRIM_400000_NS6detail17trampoline_kernelINS0_14default_configENS1_25partition_config_selectorILNS1_17partition_subalgoE5ElNS0_10empty_typeEbEEZZNS1_14partition_implILS5_5ELb0ES3_mN6hipcub16HIPCUB_304000_NS21CountingInputIteratorIllEEPS6_NSA_22TransformInputIteratorIb7NonZeroIaEPalEENS0_5tupleIJPlS6_EEENSJ_IJSD_SD_EEES6_SK_JS6_EEE10hipError_tPvRmT3_T4_T5_T6_T7_T9_mT8_P12ihipStream_tbDpT10_ENKUlT_T0_E_clISt17integral_constantIbLb0EES15_IbLb1EEEEDaS11_S12_EUlS11_E_NS1_11comp_targetILNS1_3genE10ELNS1_11target_archE1200ELNS1_3gpuE4ELNS1_3repE0EEENS1_30default_config_static_selectorELNS0_4arch9wavefront6targetE1EEEvT1_.kd
    .uniform_work_group_size: 1
    .uses_dynamic_stack: false
    .vgpr_count:     0
    .vgpr_spill_count: 0
    .wavefront_size: 64
  - .args:
      - .offset:         0
        .size:           136
        .value_kind:     by_value
    .group_segment_fixed_size: 0
    .kernarg_segment_align: 8
    .kernarg_segment_size: 136
    .language:       OpenCL C
    .language_version:
      - 2
      - 0
    .max_flat_workgroup_size: 128
    .name:           _ZN7rocprim17ROCPRIM_400000_NS6detail17trampoline_kernelINS0_14default_configENS1_25partition_config_selectorILNS1_17partition_subalgoE5ElNS0_10empty_typeEbEEZZNS1_14partition_implILS5_5ELb0ES3_mN6hipcub16HIPCUB_304000_NS21CountingInputIteratorIllEEPS6_NSA_22TransformInputIteratorIb7NonZeroIaEPalEENS0_5tupleIJPlS6_EEENSJ_IJSD_SD_EEES6_SK_JS6_EEE10hipError_tPvRmT3_T4_T5_T6_T7_T9_mT8_P12ihipStream_tbDpT10_ENKUlT_T0_E_clISt17integral_constantIbLb0EES15_IbLb1EEEEDaS11_S12_EUlS11_E_NS1_11comp_targetILNS1_3genE9ELNS1_11target_archE1100ELNS1_3gpuE3ELNS1_3repE0EEENS1_30default_config_static_selectorELNS0_4arch9wavefront6targetE1EEEvT1_
    .private_segment_fixed_size: 0
    .sgpr_count:     4
    .sgpr_spill_count: 0
    .symbol:         _ZN7rocprim17ROCPRIM_400000_NS6detail17trampoline_kernelINS0_14default_configENS1_25partition_config_selectorILNS1_17partition_subalgoE5ElNS0_10empty_typeEbEEZZNS1_14partition_implILS5_5ELb0ES3_mN6hipcub16HIPCUB_304000_NS21CountingInputIteratorIllEEPS6_NSA_22TransformInputIteratorIb7NonZeroIaEPalEENS0_5tupleIJPlS6_EEENSJ_IJSD_SD_EEES6_SK_JS6_EEE10hipError_tPvRmT3_T4_T5_T6_T7_T9_mT8_P12ihipStream_tbDpT10_ENKUlT_T0_E_clISt17integral_constantIbLb0EES15_IbLb1EEEEDaS11_S12_EUlS11_E_NS1_11comp_targetILNS1_3genE9ELNS1_11target_archE1100ELNS1_3gpuE3ELNS1_3repE0EEENS1_30default_config_static_selectorELNS0_4arch9wavefront6targetE1EEEvT1_.kd
    .uniform_work_group_size: 1
    .uses_dynamic_stack: false
    .vgpr_count:     0
    .vgpr_spill_count: 0
    .wavefront_size: 64
  - .args:
      - .offset:         0
        .size:           136
        .value_kind:     by_value
    .group_segment_fixed_size: 0
    .kernarg_segment_align: 8
    .kernarg_segment_size: 136
    .language:       OpenCL C
    .language_version:
      - 2
      - 0
    .max_flat_workgroup_size: 512
    .name:           _ZN7rocprim17ROCPRIM_400000_NS6detail17trampoline_kernelINS0_14default_configENS1_25partition_config_selectorILNS1_17partition_subalgoE5ElNS0_10empty_typeEbEEZZNS1_14partition_implILS5_5ELb0ES3_mN6hipcub16HIPCUB_304000_NS21CountingInputIteratorIllEEPS6_NSA_22TransformInputIteratorIb7NonZeroIaEPalEENS0_5tupleIJPlS6_EEENSJ_IJSD_SD_EEES6_SK_JS6_EEE10hipError_tPvRmT3_T4_T5_T6_T7_T9_mT8_P12ihipStream_tbDpT10_ENKUlT_T0_E_clISt17integral_constantIbLb0EES15_IbLb1EEEEDaS11_S12_EUlS11_E_NS1_11comp_targetILNS1_3genE8ELNS1_11target_archE1030ELNS1_3gpuE2ELNS1_3repE0EEENS1_30default_config_static_selectorELNS0_4arch9wavefront6targetE1EEEvT1_
    .private_segment_fixed_size: 0
    .sgpr_count:     4
    .sgpr_spill_count: 0
    .symbol:         _ZN7rocprim17ROCPRIM_400000_NS6detail17trampoline_kernelINS0_14default_configENS1_25partition_config_selectorILNS1_17partition_subalgoE5ElNS0_10empty_typeEbEEZZNS1_14partition_implILS5_5ELb0ES3_mN6hipcub16HIPCUB_304000_NS21CountingInputIteratorIllEEPS6_NSA_22TransformInputIteratorIb7NonZeroIaEPalEENS0_5tupleIJPlS6_EEENSJ_IJSD_SD_EEES6_SK_JS6_EEE10hipError_tPvRmT3_T4_T5_T6_T7_T9_mT8_P12ihipStream_tbDpT10_ENKUlT_T0_E_clISt17integral_constantIbLb0EES15_IbLb1EEEEDaS11_S12_EUlS11_E_NS1_11comp_targetILNS1_3genE8ELNS1_11target_archE1030ELNS1_3gpuE2ELNS1_3repE0EEENS1_30default_config_static_selectorELNS0_4arch9wavefront6targetE1EEEvT1_.kd
    .uniform_work_group_size: 1
    .uses_dynamic_stack: false
    .vgpr_count:     0
    .vgpr_spill_count: 0
    .wavefront_size: 64
  - .args:
      - .address_space:  global
        .offset:         0
        .size:           8
        .value_kind:     global_buffer
      - .offset:         8
        .size:           16
        .value_kind:     by_value
      - .offset:         24
        .size:           4
        .value_kind:     by_value
      - .offset:         32
        .size:           8
        .value_kind:     by_value
      - .offset:         40
        .size:           4
        .value_kind:     hidden_block_count_x
      - .offset:         44
        .size:           4
        .value_kind:     hidden_block_count_y
      - .offset:         48
        .size:           4
        .value_kind:     hidden_block_count_z
      - .offset:         52
        .size:           2
        .value_kind:     hidden_group_size_x
      - .offset:         54
        .size:           2
        .value_kind:     hidden_group_size_y
      - .offset:         56
        .size:           2
        .value_kind:     hidden_group_size_z
      - .offset:         58
        .size:           2
        .value_kind:     hidden_remainder_x
      - .offset:         60
        .size:           2
        .value_kind:     hidden_remainder_y
      - .offset:         62
        .size:           2
        .value_kind:     hidden_remainder_z
      - .offset:         80
        .size:           8
        .value_kind:     hidden_global_offset_x
      - .offset:         88
        .size:           8
        .value_kind:     hidden_global_offset_y
      - .offset:         96
        .size:           8
        .value_kind:     hidden_global_offset_z
      - .offset:         104
        .size:           2
        .value_kind:     hidden_grid_dims
    .group_segment_fixed_size: 0
    .kernarg_segment_align: 8
    .kernarg_segment_size: 296
    .language:       OpenCL C
    .language_version:
      - 2
      - 0
    .max_flat_workgroup_size: 1024
    .name:           _Z13write_indicesIlEvPl10TensorDimsIT_EiS2_
    .private_segment_fixed_size: 0
    .sgpr_count:     28
    .sgpr_spill_count: 0
    .symbol:         _Z13write_indicesIlEvPl10TensorDimsIT_EiS2_.kd
    .uniform_work_group_size: 1
    .uses_dynamic_stack: false
    .vgpr_count:     15
    .vgpr_spill_count: 0
    .wavefront_size: 64
  - .args:
      - .offset:         0
        .size:           64
        .value_kind:     by_value
    .group_segment_fixed_size: 0
    .kernarg_segment_align: 8
    .kernarg_segment_size: 64
    .language:       OpenCL C
    .language_version:
      - 2
      - 0
    .max_flat_workgroup_size: 256
    .name:           _ZN7rocprim17ROCPRIM_400000_NS6detail17trampoline_kernelINS0_14default_configENS1_22reduce_config_selectorIlEEZNS1_11reduce_implILb1ES3_PlS7_lN6hipcub16HIPCUB_304000_NS6detail34convert_binary_result_type_wrapperINS9_3SumENS9_22TransformInputIteratorIb7NonZeroIsEPslEElEEEE10hipError_tPvRmT1_T2_T3_mT4_P12ihipStream_tbEUlT_E0_NS1_11comp_targetILNS1_3genE0ELNS1_11target_archE4294967295ELNS1_3gpuE0ELNS1_3repE0EEENS1_30default_config_static_selectorELNS0_4arch9wavefront6targetE1EEEvSM_
    .private_segment_fixed_size: 0
    .sgpr_count:     4
    .sgpr_spill_count: 0
    .symbol:         _ZN7rocprim17ROCPRIM_400000_NS6detail17trampoline_kernelINS0_14default_configENS1_22reduce_config_selectorIlEEZNS1_11reduce_implILb1ES3_PlS7_lN6hipcub16HIPCUB_304000_NS6detail34convert_binary_result_type_wrapperINS9_3SumENS9_22TransformInputIteratorIb7NonZeroIsEPslEElEEEE10hipError_tPvRmT1_T2_T3_mT4_P12ihipStream_tbEUlT_E0_NS1_11comp_targetILNS1_3genE0ELNS1_11target_archE4294967295ELNS1_3gpuE0ELNS1_3repE0EEENS1_30default_config_static_selectorELNS0_4arch9wavefront6targetE1EEEvSM_.kd
    .uniform_work_group_size: 1
    .uses_dynamic_stack: false
    .vgpr_count:     0
    .vgpr_spill_count: 0
    .wavefront_size: 64
  - .args:
      - .offset:         0
        .size:           64
        .value_kind:     by_value
    .group_segment_fixed_size: 0
    .kernarg_segment_align: 8
    .kernarg_segment_size: 64
    .language:       OpenCL C
    .language_version:
      - 2
      - 0
    .max_flat_workgroup_size: 256
    .name:           _ZN7rocprim17ROCPRIM_400000_NS6detail17trampoline_kernelINS0_14default_configENS1_22reduce_config_selectorIlEEZNS1_11reduce_implILb1ES3_PlS7_lN6hipcub16HIPCUB_304000_NS6detail34convert_binary_result_type_wrapperINS9_3SumENS9_22TransformInputIteratorIb7NonZeroIsEPslEElEEEE10hipError_tPvRmT1_T2_T3_mT4_P12ihipStream_tbEUlT_E0_NS1_11comp_targetILNS1_3genE5ELNS1_11target_archE942ELNS1_3gpuE9ELNS1_3repE0EEENS1_30default_config_static_selectorELNS0_4arch9wavefront6targetE1EEEvSM_
    .private_segment_fixed_size: 0
    .sgpr_count:     4
    .sgpr_spill_count: 0
    .symbol:         _ZN7rocprim17ROCPRIM_400000_NS6detail17trampoline_kernelINS0_14default_configENS1_22reduce_config_selectorIlEEZNS1_11reduce_implILb1ES3_PlS7_lN6hipcub16HIPCUB_304000_NS6detail34convert_binary_result_type_wrapperINS9_3SumENS9_22TransformInputIteratorIb7NonZeroIsEPslEElEEEE10hipError_tPvRmT1_T2_T3_mT4_P12ihipStream_tbEUlT_E0_NS1_11comp_targetILNS1_3genE5ELNS1_11target_archE942ELNS1_3gpuE9ELNS1_3repE0EEENS1_30default_config_static_selectorELNS0_4arch9wavefront6targetE1EEEvSM_.kd
    .uniform_work_group_size: 1
    .uses_dynamic_stack: false
    .vgpr_count:     0
    .vgpr_spill_count: 0
    .wavefront_size: 64
  - .args:
      - .offset:         0
        .size:           64
        .value_kind:     by_value
    .group_segment_fixed_size: 0
    .kernarg_segment_align: 8
    .kernarg_segment_size: 64
    .language:       OpenCL C
    .language_version:
      - 2
      - 0
    .max_flat_workgroup_size: 256
    .name:           _ZN7rocprim17ROCPRIM_400000_NS6detail17trampoline_kernelINS0_14default_configENS1_22reduce_config_selectorIlEEZNS1_11reduce_implILb1ES3_PlS7_lN6hipcub16HIPCUB_304000_NS6detail34convert_binary_result_type_wrapperINS9_3SumENS9_22TransformInputIteratorIb7NonZeroIsEPslEElEEEE10hipError_tPvRmT1_T2_T3_mT4_P12ihipStream_tbEUlT_E0_NS1_11comp_targetILNS1_3genE4ELNS1_11target_archE910ELNS1_3gpuE8ELNS1_3repE0EEENS1_30default_config_static_selectorELNS0_4arch9wavefront6targetE1EEEvSM_
    .private_segment_fixed_size: 0
    .sgpr_count:     4
    .sgpr_spill_count: 0
    .symbol:         _ZN7rocprim17ROCPRIM_400000_NS6detail17trampoline_kernelINS0_14default_configENS1_22reduce_config_selectorIlEEZNS1_11reduce_implILb1ES3_PlS7_lN6hipcub16HIPCUB_304000_NS6detail34convert_binary_result_type_wrapperINS9_3SumENS9_22TransformInputIteratorIb7NonZeroIsEPslEElEEEE10hipError_tPvRmT1_T2_T3_mT4_P12ihipStream_tbEUlT_E0_NS1_11comp_targetILNS1_3genE4ELNS1_11target_archE910ELNS1_3gpuE8ELNS1_3repE0EEENS1_30default_config_static_selectorELNS0_4arch9wavefront6targetE1EEEvSM_.kd
    .uniform_work_group_size: 1
    .uses_dynamic_stack: false
    .vgpr_count:     0
    .vgpr_spill_count: 0
    .wavefront_size: 64
  - .args:
      - .offset:         0
        .size:           64
        .value_kind:     by_value
    .group_segment_fixed_size: 0
    .kernarg_segment_align: 8
    .kernarg_segment_size: 64
    .language:       OpenCL C
    .language_version:
      - 2
      - 0
    .max_flat_workgroup_size: 256
    .name:           _ZN7rocprim17ROCPRIM_400000_NS6detail17trampoline_kernelINS0_14default_configENS1_22reduce_config_selectorIlEEZNS1_11reduce_implILb1ES3_PlS7_lN6hipcub16HIPCUB_304000_NS6detail34convert_binary_result_type_wrapperINS9_3SumENS9_22TransformInputIteratorIb7NonZeroIsEPslEElEEEE10hipError_tPvRmT1_T2_T3_mT4_P12ihipStream_tbEUlT_E0_NS1_11comp_targetILNS1_3genE3ELNS1_11target_archE908ELNS1_3gpuE7ELNS1_3repE0EEENS1_30default_config_static_selectorELNS0_4arch9wavefront6targetE1EEEvSM_
    .private_segment_fixed_size: 0
    .sgpr_count:     4
    .sgpr_spill_count: 0
    .symbol:         _ZN7rocprim17ROCPRIM_400000_NS6detail17trampoline_kernelINS0_14default_configENS1_22reduce_config_selectorIlEEZNS1_11reduce_implILb1ES3_PlS7_lN6hipcub16HIPCUB_304000_NS6detail34convert_binary_result_type_wrapperINS9_3SumENS9_22TransformInputIteratorIb7NonZeroIsEPslEElEEEE10hipError_tPvRmT1_T2_T3_mT4_P12ihipStream_tbEUlT_E0_NS1_11comp_targetILNS1_3genE3ELNS1_11target_archE908ELNS1_3gpuE7ELNS1_3repE0EEENS1_30default_config_static_selectorELNS0_4arch9wavefront6targetE1EEEvSM_.kd
    .uniform_work_group_size: 1
    .uses_dynamic_stack: false
    .vgpr_count:     0
    .vgpr_spill_count: 0
    .wavefront_size: 64
  - .args:
      - .offset:         0
        .size:           64
        .value_kind:     by_value
    .group_segment_fixed_size: 64
    .kernarg_segment_align: 8
    .kernarg_segment_size: 64
    .language:       OpenCL C
    .language_version:
      - 2
      - 0
    .max_flat_workgroup_size: 256
    .name:           _ZN7rocprim17ROCPRIM_400000_NS6detail17trampoline_kernelINS0_14default_configENS1_22reduce_config_selectorIlEEZNS1_11reduce_implILb1ES3_PlS7_lN6hipcub16HIPCUB_304000_NS6detail34convert_binary_result_type_wrapperINS9_3SumENS9_22TransformInputIteratorIb7NonZeroIsEPslEElEEEE10hipError_tPvRmT1_T2_T3_mT4_P12ihipStream_tbEUlT_E0_NS1_11comp_targetILNS1_3genE2ELNS1_11target_archE906ELNS1_3gpuE6ELNS1_3repE0EEENS1_30default_config_static_selectorELNS0_4arch9wavefront6targetE1EEEvSM_
    .private_segment_fixed_size: 0
    .sgpr_count:     24
    .sgpr_spill_count: 0
    .symbol:         _ZN7rocprim17ROCPRIM_400000_NS6detail17trampoline_kernelINS0_14default_configENS1_22reduce_config_selectorIlEEZNS1_11reduce_implILb1ES3_PlS7_lN6hipcub16HIPCUB_304000_NS6detail34convert_binary_result_type_wrapperINS9_3SumENS9_22TransformInputIteratorIb7NonZeroIsEPslEElEEEE10hipError_tPvRmT1_T2_T3_mT4_P12ihipStream_tbEUlT_E0_NS1_11comp_targetILNS1_3genE2ELNS1_11target_archE906ELNS1_3gpuE6ELNS1_3repE0EEENS1_30default_config_static_selectorELNS0_4arch9wavefront6targetE1EEEvSM_.kd
    .uniform_work_group_size: 1
    .uses_dynamic_stack: false
    .vgpr_count:     11
    .vgpr_spill_count: 0
    .wavefront_size: 64
  - .args:
      - .offset:         0
        .size:           64
        .value_kind:     by_value
    .group_segment_fixed_size: 0
    .kernarg_segment_align: 8
    .kernarg_segment_size: 64
    .language:       OpenCL C
    .language_version:
      - 2
      - 0
    .max_flat_workgroup_size: 256
    .name:           _ZN7rocprim17ROCPRIM_400000_NS6detail17trampoline_kernelINS0_14default_configENS1_22reduce_config_selectorIlEEZNS1_11reduce_implILb1ES3_PlS7_lN6hipcub16HIPCUB_304000_NS6detail34convert_binary_result_type_wrapperINS9_3SumENS9_22TransformInputIteratorIb7NonZeroIsEPslEElEEEE10hipError_tPvRmT1_T2_T3_mT4_P12ihipStream_tbEUlT_E0_NS1_11comp_targetILNS1_3genE10ELNS1_11target_archE1201ELNS1_3gpuE5ELNS1_3repE0EEENS1_30default_config_static_selectorELNS0_4arch9wavefront6targetE1EEEvSM_
    .private_segment_fixed_size: 0
    .sgpr_count:     4
    .sgpr_spill_count: 0
    .symbol:         _ZN7rocprim17ROCPRIM_400000_NS6detail17trampoline_kernelINS0_14default_configENS1_22reduce_config_selectorIlEEZNS1_11reduce_implILb1ES3_PlS7_lN6hipcub16HIPCUB_304000_NS6detail34convert_binary_result_type_wrapperINS9_3SumENS9_22TransformInputIteratorIb7NonZeroIsEPslEElEEEE10hipError_tPvRmT1_T2_T3_mT4_P12ihipStream_tbEUlT_E0_NS1_11comp_targetILNS1_3genE10ELNS1_11target_archE1201ELNS1_3gpuE5ELNS1_3repE0EEENS1_30default_config_static_selectorELNS0_4arch9wavefront6targetE1EEEvSM_.kd
    .uniform_work_group_size: 1
    .uses_dynamic_stack: false
    .vgpr_count:     0
    .vgpr_spill_count: 0
    .wavefront_size: 64
  - .args:
      - .offset:         0
        .size:           64
        .value_kind:     by_value
    .group_segment_fixed_size: 0
    .kernarg_segment_align: 8
    .kernarg_segment_size: 64
    .language:       OpenCL C
    .language_version:
      - 2
      - 0
    .max_flat_workgroup_size: 256
    .name:           _ZN7rocprim17ROCPRIM_400000_NS6detail17trampoline_kernelINS0_14default_configENS1_22reduce_config_selectorIlEEZNS1_11reduce_implILb1ES3_PlS7_lN6hipcub16HIPCUB_304000_NS6detail34convert_binary_result_type_wrapperINS9_3SumENS9_22TransformInputIteratorIb7NonZeroIsEPslEElEEEE10hipError_tPvRmT1_T2_T3_mT4_P12ihipStream_tbEUlT_E0_NS1_11comp_targetILNS1_3genE10ELNS1_11target_archE1200ELNS1_3gpuE4ELNS1_3repE0EEENS1_30default_config_static_selectorELNS0_4arch9wavefront6targetE1EEEvSM_
    .private_segment_fixed_size: 0
    .sgpr_count:     4
    .sgpr_spill_count: 0
    .symbol:         _ZN7rocprim17ROCPRIM_400000_NS6detail17trampoline_kernelINS0_14default_configENS1_22reduce_config_selectorIlEEZNS1_11reduce_implILb1ES3_PlS7_lN6hipcub16HIPCUB_304000_NS6detail34convert_binary_result_type_wrapperINS9_3SumENS9_22TransformInputIteratorIb7NonZeroIsEPslEElEEEE10hipError_tPvRmT1_T2_T3_mT4_P12ihipStream_tbEUlT_E0_NS1_11comp_targetILNS1_3genE10ELNS1_11target_archE1200ELNS1_3gpuE4ELNS1_3repE0EEENS1_30default_config_static_selectorELNS0_4arch9wavefront6targetE1EEEvSM_.kd
    .uniform_work_group_size: 1
    .uses_dynamic_stack: false
    .vgpr_count:     0
    .vgpr_spill_count: 0
    .wavefront_size: 64
  - .args:
      - .offset:         0
        .size:           64
        .value_kind:     by_value
    .group_segment_fixed_size: 0
    .kernarg_segment_align: 8
    .kernarg_segment_size: 64
    .language:       OpenCL C
    .language_version:
      - 2
      - 0
    .max_flat_workgroup_size: 256
    .name:           _ZN7rocprim17ROCPRIM_400000_NS6detail17trampoline_kernelINS0_14default_configENS1_22reduce_config_selectorIlEEZNS1_11reduce_implILb1ES3_PlS7_lN6hipcub16HIPCUB_304000_NS6detail34convert_binary_result_type_wrapperINS9_3SumENS9_22TransformInputIteratorIb7NonZeroIsEPslEElEEEE10hipError_tPvRmT1_T2_T3_mT4_P12ihipStream_tbEUlT_E0_NS1_11comp_targetILNS1_3genE9ELNS1_11target_archE1100ELNS1_3gpuE3ELNS1_3repE0EEENS1_30default_config_static_selectorELNS0_4arch9wavefront6targetE1EEEvSM_
    .private_segment_fixed_size: 0
    .sgpr_count:     4
    .sgpr_spill_count: 0
    .symbol:         _ZN7rocprim17ROCPRIM_400000_NS6detail17trampoline_kernelINS0_14default_configENS1_22reduce_config_selectorIlEEZNS1_11reduce_implILb1ES3_PlS7_lN6hipcub16HIPCUB_304000_NS6detail34convert_binary_result_type_wrapperINS9_3SumENS9_22TransformInputIteratorIb7NonZeroIsEPslEElEEEE10hipError_tPvRmT1_T2_T3_mT4_P12ihipStream_tbEUlT_E0_NS1_11comp_targetILNS1_3genE9ELNS1_11target_archE1100ELNS1_3gpuE3ELNS1_3repE0EEENS1_30default_config_static_selectorELNS0_4arch9wavefront6targetE1EEEvSM_.kd
    .uniform_work_group_size: 1
    .uses_dynamic_stack: false
    .vgpr_count:     0
    .vgpr_spill_count: 0
    .wavefront_size: 64
  - .args:
      - .offset:         0
        .size:           64
        .value_kind:     by_value
    .group_segment_fixed_size: 0
    .kernarg_segment_align: 8
    .kernarg_segment_size: 64
    .language:       OpenCL C
    .language_version:
      - 2
      - 0
    .max_flat_workgroup_size: 256
    .name:           _ZN7rocprim17ROCPRIM_400000_NS6detail17trampoline_kernelINS0_14default_configENS1_22reduce_config_selectorIlEEZNS1_11reduce_implILb1ES3_PlS7_lN6hipcub16HIPCUB_304000_NS6detail34convert_binary_result_type_wrapperINS9_3SumENS9_22TransformInputIteratorIb7NonZeroIsEPslEElEEEE10hipError_tPvRmT1_T2_T3_mT4_P12ihipStream_tbEUlT_E0_NS1_11comp_targetILNS1_3genE8ELNS1_11target_archE1030ELNS1_3gpuE2ELNS1_3repE0EEENS1_30default_config_static_selectorELNS0_4arch9wavefront6targetE1EEEvSM_
    .private_segment_fixed_size: 0
    .sgpr_count:     4
    .sgpr_spill_count: 0
    .symbol:         _ZN7rocprim17ROCPRIM_400000_NS6detail17trampoline_kernelINS0_14default_configENS1_22reduce_config_selectorIlEEZNS1_11reduce_implILb1ES3_PlS7_lN6hipcub16HIPCUB_304000_NS6detail34convert_binary_result_type_wrapperINS9_3SumENS9_22TransformInputIteratorIb7NonZeroIsEPslEElEEEE10hipError_tPvRmT1_T2_T3_mT4_P12ihipStream_tbEUlT_E0_NS1_11comp_targetILNS1_3genE8ELNS1_11target_archE1030ELNS1_3gpuE2ELNS1_3repE0EEENS1_30default_config_static_selectorELNS0_4arch9wavefront6targetE1EEEvSM_.kd
    .uniform_work_group_size: 1
    .uses_dynamic_stack: false
    .vgpr_count:     0
    .vgpr_spill_count: 0
    .wavefront_size: 64
  - .args:
      - .offset:         0
        .size:           48
        .value_kind:     by_value
    .group_segment_fixed_size: 0
    .kernarg_segment_align: 8
    .kernarg_segment_size: 48
    .language:       OpenCL C
    .language_version:
      - 2
      - 0
    .max_flat_workgroup_size: 256
    .name:           _ZN7rocprim17ROCPRIM_400000_NS6detail17trampoline_kernelINS0_14default_configENS1_22reduce_config_selectorIlEEZNS1_11reduce_implILb1ES3_PlS7_lN6hipcub16HIPCUB_304000_NS6detail34convert_binary_result_type_wrapperINS9_3SumENS9_22TransformInputIteratorIb7NonZeroIsEPslEElEEEE10hipError_tPvRmT1_T2_T3_mT4_P12ihipStream_tbEUlT_E1_NS1_11comp_targetILNS1_3genE0ELNS1_11target_archE4294967295ELNS1_3gpuE0ELNS1_3repE0EEENS1_30default_config_static_selectorELNS0_4arch9wavefront6targetE1EEEvSM_
    .private_segment_fixed_size: 0
    .sgpr_count:     4
    .sgpr_spill_count: 0
    .symbol:         _ZN7rocprim17ROCPRIM_400000_NS6detail17trampoline_kernelINS0_14default_configENS1_22reduce_config_selectorIlEEZNS1_11reduce_implILb1ES3_PlS7_lN6hipcub16HIPCUB_304000_NS6detail34convert_binary_result_type_wrapperINS9_3SumENS9_22TransformInputIteratorIb7NonZeroIsEPslEElEEEE10hipError_tPvRmT1_T2_T3_mT4_P12ihipStream_tbEUlT_E1_NS1_11comp_targetILNS1_3genE0ELNS1_11target_archE4294967295ELNS1_3gpuE0ELNS1_3repE0EEENS1_30default_config_static_selectorELNS0_4arch9wavefront6targetE1EEEvSM_.kd
    .uniform_work_group_size: 1
    .uses_dynamic_stack: false
    .vgpr_count:     0
    .vgpr_spill_count: 0
    .wavefront_size: 64
  - .args:
      - .offset:         0
        .size:           48
        .value_kind:     by_value
    .group_segment_fixed_size: 0
    .kernarg_segment_align: 8
    .kernarg_segment_size: 48
    .language:       OpenCL C
    .language_version:
      - 2
      - 0
    .max_flat_workgroup_size: 256
    .name:           _ZN7rocprim17ROCPRIM_400000_NS6detail17trampoline_kernelINS0_14default_configENS1_22reduce_config_selectorIlEEZNS1_11reduce_implILb1ES3_PlS7_lN6hipcub16HIPCUB_304000_NS6detail34convert_binary_result_type_wrapperINS9_3SumENS9_22TransformInputIteratorIb7NonZeroIsEPslEElEEEE10hipError_tPvRmT1_T2_T3_mT4_P12ihipStream_tbEUlT_E1_NS1_11comp_targetILNS1_3genE5ELNS1_11target_archE942ELNS1_3gpuE9ELNS1_3repE0EEENS1_30default_config_static_selectorELNS0_4arch9wavefront6targetE1EEEvSM_
    .private_segment_fixed_size: 0
    .sgpr_count:     4
    .sgpr_spill_count: 0
    .symbol:         _ZN7rocprim17ROCPRIM_400000_NS6detail17trampoline_kernelINS0_14default_configENS1_22reduce_config_selectorIlEEZNS1_11reduce_implILb1ES3_PlS7_lN6hipcub16HIPCUB_304000_NS6detail34convert_binary_result_type_wrapperINS9_3SumENS9_22TransformInputIteratorIb7NonZeroIsEPslEElEEEE10hipError_tPvRmT1_T2_T3_mT4_P12ihipStream_tbEUlT_E1_NS1_11comp_targetILNS1_3genE5ELNS1_11target_archE942ELNS1_3gpuE9ELNS1_3repE0EEENS1_30default_config_static_selectorELNS0_4arch9wavefront6targetE1EEEvSM_.kd
    .uniform_work_group_size: 1
    .uses_dynamic_stack: false
    .vgpr_count:     0
    .vgpr_spill_count: 0
    .wavefront_size: 64
  - .args:
      - .offset:         0
        .size:           48
        .value_kind:     by_value
    .group_segment_fixed_size: 0
    .kernarg_segment_align: 8
    .kernarg_segment_size: 48
    .language:       OpenCL C
    .language_version:
      - 2
      - 0
    .max_flat_workgroup_size: 256
    .name:           _ZN7rocprim17ROCPRIM_400000_NS6detail17trampoline_kernelINS0_14default_configENS1_22reduce_config_selectorIlEEZNS1_11reduce_implILb1ES3_PlS7_lN6hipcub16HIPCUB_304000_NS6detail34convert_binary_result_type_wrapperINS9_3SumENS9_22TransformInputIteratorIb7NonZeroIsEPslEElEEEE10hipError_tPvRmT1_T2_T3_mT4_P12ihipStream_tbEUlT_E1_NS1_11comp_targetILNS1_3genE4ELNS1_11target_archE910ELNS1_3gpuE8ELNS1_3repE0EEENS1_30default_config_static_selectorELNS0_4arch9wavefront6targetE1EEEvSM_
    .private_segment_fixed_size: 0
    .sgpr_count:     4
    .sgpr_spill_count: 0
    .symbol:         _ZN7rocprim17ROCPRIM_400000_NS6detail17trampoline_kernelINS0_14default_configENS1_22reduce_config_selectorIlEEZNS1_11reduce_implILb1ES3_PlS7_lN6hipcub16HIPCUB_304000_NS6detail34convert_binary_result_type_wrapperINS9_3SumENS9_22TransformInputIteratorIb7NonZeroIsEPslEElEEEE10hipError_tPvRmT1_T2_T3_mT4_P12ihipStream_tbEUlT_E1_NS1_11comp_targetILNS1_3genE4ELNS1_11target_archE910ELNS1_3gpuE8ELNS1_3repE0EEENS1_30default_config_static_selectorELNS0_4arch9wavefront6targetE1EEEvSM_.kd
    .uniform_work_group_size: 1
    .uses_dynamic_stack: false
    .vgpr_count:     0
    .vgpr_spill_count: 0
    .wavefront_size: 64
  - .args:
      - .offset:         0
        .size:           48
        .value_kind:     by_value
    .group_segment_fixed_size: 0
    .kernarg_segment_align: 8
    .kernarg_segment_size: 48
    .language:       OpenCL C
    .language_version:
      - 2
      - 0
    .max_flat_workgroup_size: 256
    .name:           _ZN7rocprim17ROCPRIM_400000_NS6detail17trampoline_kernelINS0_14default_configENS1_22reduce_config_selectorIlEEZNS1_11reduce_implILb1ES3_PlS7_lN6hipcub16HIPCUB_304000_NS6detail34convert_binary_result_type_wrapperINS9_3SumENS9_22TransformInputIteratorIb7NonZeroIsEPslEElEEEE10hipError_tPvRmT1_T2_T3_mT4_P12ihipStream_tbEUlT_E1_NS1_11comp_targetILNS1_3genE3ELNS1_11target_archE908ELNS1_3gpuE7ELNS1_3repE0EEENS1_30default_config_static_selectorELNS0_4arch9wavefront6targetE1EEEvSM_
    .private_segment_fixed_size: 0
    .sgpr_count:     4
    .sgpr_spill_count: 0
    .symbol:         _ZN7rocprim17ROCPRIM_400000_NS6detail17trampoline_kernelINS0_14default_configENS1_22reduce_config_selectorIlEEZNS1_11reduce_implILb1ES3_PlS7_lN6hipcub16HIPCUB_304000_NS6detail34convert_binary_result_type_wrapperINS9_3SumENS9_22TransformInputIteratorIb7NonZeroIsEPslEElEEEE10hipError_tPvRmT1_T2_T3_mT4_P12ihipStream_tbEUlT_E1_NS1_11comp_targetILNS1_3genE3ELNS1_11target_archE908ELNS1_3gpuE7ELNS1_3repE0EEENS1_30default_config_static_selectorELNS0_4arch9wavefront6targetE1EEEvSM_.kd
    .uniform_work_group_size: 1
    .uses_dynamic_stack: false
    .vgpr_count:     0
    .vgpr_spill_count: 0
    .wavefront_size: 64
  - .args:
      - .offset:         0
        .size:           48
        .value_kind:     by_value
    .group_segment_fixed_size: 192
    .kernarg_segment_align: 8
    .kernarg_segment_size: 48
    .language:       OpenCL C
    .language_version:
      - 2
      - 0
    .max_flat_workgroup_size: 256
    .name:           _ZN7rocprim17ROCPRIM_400000_NS6detail17trampoline_kernelINS0_14default_configENS1_22reduce_config_selectorIlEEZNS1_11reduce_implILb1ES3_PlS7_lN6hipcub16HIPCUB_304000_NS6detail34convert_binary_result_type_wrapperINS9_3SumENS9_22TransformInputIteratorIb7NonZeroIsEPslEElEEEE10hipError_tPvRmT1_T2_T3_mT4_P12ihipStream_tbEUlT_E1_NS1_11comp_targetILNS1_3genE2ELNS1_11target_archE906ELNS1_3gpuE6ELNS1_3repE0EEENS1_30default_config_static_selectorELNS0_4arch9wavefront6targetE1EEEvSM_
    .private_segment_fixed_size: 0
    .sgpr_count:     32
    .sgpr_spill_count: 0
    .symbol:         _ZN7rocprim17ROCPRIM_400000_NS6detail17trampoline_kernelINS0_14default_configENS1_22reduce_config_selectorIlEEZNS1_11reduce_implILb1ES3_PlS7_lN6hipcub16HIPCUB_304000_NS6detail34convert_binary_result_type_wrapperINS9_3SumENS9_22TransformInputIteratorIb7NonZeroIsEPslEElEEEE10hipError_tPvRmT1_T2_T3_mT4_P12ihipStream_tbEUlT_E1_NS1_11comp_targetILNS1_3genE2ELNS1_11target_archE906ELNS1_3gpuE6ELNS1_3repE0EEENS1_30default_config_static_selectorELNS0_4arch9wavefront6targetE1EEEvSM_.kd
    .uniform_work_group_size: 1
    .uses_dynamic_stack: false
    .vgpr_count:     34
    .vgpr_spill_count: 0
    .wavefront_size: 64
  - .args:
      - .offset:         0
        .size:           48
        .value_kind:     by_value
    .group_segment_fixed_size: 0
    .kernarg_segment_align: 8
    .kernarg_segment_size: 48
    .language:       OpenCL C
    .language_version:
      - 2
      - 0
    .max_flat_workgroup_size: 256
    .name:           _ZN7rocprim17ROCPRIM_400000_NS6detail17trampoline_kernelINS0_14default_configENS1_22reduce_config_selectorIlEEZNS1_11reduce_implILb1ES3_PlS7_lN6hipcub16HIPCUB_304000_NS6detail34convert_binary_result_type_wrapperINS9_3SumENS9_22TransformInputIteratorIb7NonZeroIsEPslEElEEEE10hipError_tPvRmT1_T2_T3_mT4_P12ihipStream_tbEUlT_E1_NS1_11comp_targetILNS1_3genE10ELNS1_11target_archE1201ELNS1_3gpuE5ELNS1_3repE0EEENS1_30default_config_static_selectorELNS0_4arch9wavefront6targetE1EEEvSM_
    .private_segment_fixed_size: 0
    .sgpr_count:     4
    .sgpr_spill_count: 0
    .symbol:         _ZN7rocprim17ROCPRIM_400000_NS6detail17trampoline_kernelINS0_14default_configENS1_22reduce_config_selectorIlEEZNS1_11reduce_implILb1ES3_PlS7_lN6hipcub16HIPCUB_304000_NS6detail34convert_binary_result_type_wrapperINS9_3SumENS9_22TransformInputIteratorIb7NonZeroIsEPslEElEEEE10hipError_tPvRmT1_T2_T3_mT4_P12ihipStream_tbEUlT_E1_NS1_11comp_targetILNS1_3genE10ELNS1_11target_archE1201ELNS1_3gpuE5ELNS1_3repE0EEENS1_30default_config_static_selectorELNS0_4arch9wavefront6targetE1EEEvSM_.kd
    .uniform_work_group_size: 1
    .uses_dynamic_stack: false
    .vgpr_count:     0
    .vgpr_spill_count: 0
    .wavefront_size: 64
  - .args:
      - .offset:         0
        .size:           48
        .value_kind:     by_value
    .group_segment_fixed_size: 0
    .kernarg_segment_align: 8
    .kernarg_segment_size: 48
    .language:       OpenCL C
    .language_version:
      - 2
      - 0
    .max_flat_workgroup_size: 256
    .name:           _ZN7rocprim17ROCPRIM_400000_NS6detail17trampoline_kernelINS0_14default_configENS1_22reduce_config_selectorIlEEZNS1_11reduce_implILb1ES3_PlS7_lN6hipcub16HIPCUB_304000_NS6detail34convert_binary_result_type_wrapperINS9_3SumENS9_22TransformInputIteratorIb7NonZeroIsEPslEElEEEE10hipError_tPvRmT1_T2_T3_mT4_P12ihipStream_tbEUlT_E1_NS1_11comp_targetILNS1_3genE10ELNS1_11target_archE1200ELNS1_3gpuE4ELNS1_3repE0EEENS1_30default_config_static_selectorELNS0_4arch9wavefront6targetE1EEEvSM_
    .private_segment_fixed_size: 0
    .sgpr_count:     4
    .sgpr_spill_count: 0
    .symbol:         _ZN7rocprim17ROCPRIM_400000_NS6detail17trampoline_kernelINS0_14default_configENS1_22reduce_config_selectorIlEEZNS1_11reduce_implILb1ES3_PlS7_lN6hipcub16HIPCUB_304000_NS6detail34convert_binary_result_type_wrapperINS9_3SumENS9_22TransformInputIteratorIb7NonZeroIsEPslEElEEEE10hipError_tPvRmT1_T2_T3_mT4_P12ihipStream_tbEUlT_E1_NS1_11comp_targetILNS1_3genE10ELNS1_11target_archE1200ELNS1_3gpuE4ELNS1_3repE0EEENS1_30default_config_static_selectorELNS0_4arch9wavefront6targetE1EEEvSM_.kd
    .uniform_work_group_size: 1
    .uses_dynamic_stack: false
    .vgpr_count:     0
    .vgpr_spill_count: 0
    .wavefront_size: 64
  - .args:
      - .offset:         0
        .size:           48
        .value_kind:     by_value
    .group_segment_fixed_size: 0
    .kernarg_segment_align: 8
    .kernarg_segment_size: 48
    .language:       OpenCL C
    .language_version:
      - 2
      - 0
    .max_flat_workgroup_size: 256
    .name:           _ZN7rocprim17ROCPRIM_400000_NS6detail17trampoline_kernelINS0_14default_configENS1_22reduce_config_selectorIlEEZNS1_11reduce_implILb1ES3_PlS7_lN6hipcub16HIPCUB_304000_NS6detail34convert_binary_result_type_wrapperINS9_3SumENS9_22TransformInputIteratorIb7NonZeroIsEPslEElEEEE10hipError_tPvRmT1_T2_T3_mT4_P12ihipStream_tbEUlT_E1_NS1_11comp_targetILNS1_3genE9ELNS1_11target_archE1100ELNS1_3gpuE3ELNS1_3repE0EEENS1_30default_config_static_selectorELNS0_4arch9wavefront6targetE1EEEvSM_
    .private_segment_fixed_size: 0
    .sgpr_count:     4
    .sgpr_spill_count: 0
    .symbol:         _ZN7rocprim17ROCPRIM_400000_NS6detail17trampoline_kernelINS0_14default_configENS1_22reduce_config_selectorIlEEZNS1_11reduce_implILb1ES3_PlS7_lN6hipcub16HIPCUB_304000_NS6detail34convert_binary_result_type_wrapperINS9_3SumENS9_22TransformInputIteratorIb7NonZeroIsEPslEElEEEE10hipError_tPvRmT1_T2_T3_mT4_P12ihipStream_tbEUlT_E1_NS1_11comp_targetILNS1_3genE9ELNS1_11target_archE1100ELNS1_3gpuE3ELNS1_3repE0EEENS1_30default_config_static_selectorELNS0_4arch9wavefront6targetE1EEEvSM_.kd
    .uniform_work_group_size: 1
    .uses_dynamic_stack: false
    .vgpr_count:     0
    .vgpr_spill_count: 0
    .wavefront_size: 64
  - .args:
      - .offset:         0
        .size:           48
        .value_kind:     by_value
    .group_segment_fixed_size: 0
    .kernarg_segment_align: 8
    .kernarg_segment_size: 48
    .language:       OpenCL C
    .language_version:
      - 2
      - 0
    .max_flat_workgroup_size: 256
    .name:           _ZN7rocprim17ROCPRIM_400000_NS6detail17trampoline_kernelINS0_14default_configENS1_22reduce_config_selectorIlEEZNS1_11reduce_implILb1ES3_PlS7_lN6hipcub16HIPCUB_304000_NS6detail34convert_binary_result_type_wrapperINS9_3SumENS9_22TransformInputIteratorIb7NonZeroIsEPslEElEEEE10hipError_tPvRmT1_T2_T3_mT4_P12ihipStream_tbEUlT_E1_NS1_11comp_targetILNS1_3genE8ELNS1_11target_archE1030ELNS1_3gpuE2ELNS1_3repE0EEENS1_30default_config_static_selectorELNS0_4arch9wavefront6targetE1EEEvSM_
    .private_segment_fixed_size: 0
    .sgpr_count:     4
    .sgpr_spill_count: 0
    .symbol:         _ZN7rocprim17ROCPRIM_400000_NS6detail17trampoline_kernelINS0_14default_configENS1_22reduce_config_selectorIlEEZNS1_11reduce_implILb1ES3_PlS7_lN6hipcub16HIPCUB_304000_NS6detail34convert_binary_result_type_wrapperINS9_3SumENS9_22TransformInputIteratorIb7NonZeroIsEPslEElEEEE10hipError_tPvRmT1_T2_T3_mT4_P12ihipStream_tbEUlT_E1_NS1_11comp_targetILNS1_3genE8ELNS1_11target_archE1030ELNS1_3gpuE2ELNS1_3repE0EEENS1_30default_config_static_selectorELNS0_4arch9wavefront6targetE1EEEvSM_.kd
    .uniform_work_group_size: 1
    .uses_dynamic_stack: false
    .vgpr_count:     0
    .vgpr_spill_count: 0
    .wavefront_size: 64
  - .args:
      - .offset:         0
        .size:           72
        .value_kind:     by_value
    .group_segment_fixed_size: 0
    .kernarg_segment_align: 8
    .kernarg_segment_size: 72
    .language:       OpenCL C
    .language_version:
      - 2
      - 0
    .max_flat_workgroup_size: 256
    .name:           _ZN7rocprim17ROCPRIM_400000_NS6detail17trampoline_kernelINS0_14default_configENS1_22reduce_config_selectorIbEEZNS1_11reduce_implILb1ES3_N6hipcub16HIPCUB_304000_NS22TransformInputIteratorIb7NonZeroIsEPslEEPllNS8_6detail34convert_binary_result_type_wrapperINS8_3SumESD_lEEEE10hipError_tPvRmT1_T2_T3_mT4_P12ihipStream_tbEUlT_E0_NS1_11comp_targetILNS1_3genE0ELNS1_11target_archE4294967295ELNS1_3gpuE0ELNS1_3repE0EEENS1_30default_config_static_selectorELNS0_4arch9wavefront6targetE1EEEvSM_
    .private_segment_fixed_size: 0
    .sgpr_count:     4
    .sgpr_spill_count: 0
    .symbol:         _ZN7rocprim17ROCPRIM_400000_NS6detail17trampoline_kernelINS0_14default_configENS1_22reduce_config_selectorIbEEZNS1_11reduce_implILb1ES3_N6hipcub16HIPCUB_304000_NS22TransformInputIteratorIb7NonZeroIsEPslEEPllNS8_6detail34convert_binary_result_type_wrapperINS8_3SumESD_lEEEE10hipError_tPvRmT1_T2_T3_mT4_P12ihipStream_tbEUlT_E0_NS1_11comp_targetILNS1_3genE0ELNS1_11target_archE4294967295ELNS1_3gpuE0ELNS1_3repE0EEENS1_30default_config_static_selectorELNS0_4arch9wavefront6targetE1EEEvSM_.kd
    .uniform_work_group_size: 1
    .uses_dynamic_stack: false
    .vgpr_count:     0
    .vgpr_spill_count: 0
    .wavefront_size: 64
  - .args:
      - .offset:         0
        .size:           72
        .value_kind:     by_value
    .group_segment_fixed_size: 0
    .kernarg_segment_align: 8
    .kernarg_segment_size: 72
    .language:       OpenCL C
    .language_version:
      - 2
      - 0
    .max_flat_workgroup_size: 256
    .name:           _ZN7rocprim17ROCPRIM_400000_NS6detail17trampoline_kernelINS0_14default_configENS1_22reduce_config_selectorIbEEZNS1_11reduce_implILb1ES3_N6hipcub16HIPCUB_304000_NS22TransformInputIteratorIb7NonZeroIsEPslEEPllNS8_6detail34convert_binary_result_type_wrapperINS8_3SumESD_lEEEE10hipError_tPvRmT1_T2_T3_mT4_P12ihipStream_tbEUlT_E0_NS1_11comp_targetILNS1_3genE5ELNS1_11target_archE942ELNS1_3gpuE9ELNS1_3repE0EEENS1_30default_config_static_selectorELNS0_4arch9wavefront6targetE1EEEvSM_
    .private_segment_fixed_size: 0
    .sgpr_count:     4
    .sgpr_spill_count: 0
    .symbol:         _ZN7rocprim17ROCPRIM_400000_NS6detail17trampoline_kernelINS0_14default_configENS1_22reduce_config_selectorIbEEZNS1_11reduce_implILb1ES3_N6hipcub16HIPCUB_304000_NS22TransformInputIteratorIb7NonZeroIsEPslEEPllNS8_6detail34convert_binary_result_type_wrapperINS8_3SumESD_lEEEE10hipError_tPvRmT1_T2_T3_mT4_P12ihipStream_tbEUlT_E0_NS1_11comp_targetILNS1_3genE5ELNS1_11target_archE942ELNS1_3gpuE9ELNS1_3repE0EEENS1_30default_config_static_selectorELNS0_4arch9wavefront6targetE1EEEvSM_.kd
    .uniform_work_group_size: 1
    .uses_dynamic_stack: false
    .vgpr_count:     0
    .vgpr_spill_count: 0
    .wavefront_size: 64
  - .args:
      - .offset:         0
        .size:           72
        .value_kind:     by_value
    .group_segment_fixed_size: 0
    .kernarg_segment_align: 8
    .kernarg_segment_size: 72
    .language:       OpenCL C
    .language_version:
      - 2
      - 0
    .max_flat_workgroup_size: 128
    .name:           _ZN7rocprim17ROCPRIM_400000_NS6detail17trampoline_kernelINS0_14default_configENS1_22reduce_config_selectorIbEEZNS1_11reduce_implILb1ES3_N6hipcub16HIPCUB_304000_NS22TransformInputIteratorIb7NonZeroIsEPslEEPllNS8_6detail34convert_binary_result_type_wrapperINS8_3SumESD_lEEEE10hipError_tPvRmT1_T2_T3_mT4_P12ihipStream_tbEUlT_E0_NS1_11comp_targetILNS1_3genE4ELNS1_11target_archE910ELNS1_3gpuE8ELNS1_3repE0EEENS1_30default_config_static_selectorELNS0_4arch9wavefront6targetE1EEEvSM_
    .private_segment_fixed_size: 0
    .sgpr_count:     4
    .sgpr_spill_count: 0
    .symbol:         _ZN7rocprim17ROCPRIM_400000_NS6detail17trampoline_kernelINS0_14default_configENS1_22reduce_config_selectorIbEEZNS1_11reduce_implILb1ES3_N6hipcub16HIPCUB_304000_NS22TransformInputIteratorIb7NonZeroIsEPslEEPllNS8_6detail34convert_binary_result_type_wrapperINS8_3SumESD_lEEEE10hipError_tPvRmT1_T2_T3_mT4_P12ihipStream_tbEUlT_E0_NS1_11comp_targetILNS1_3genE4ELNS1_11target_archE910ELNS1_3gpuE8ELNS1_3repE0EEENS1_30default_config_static_selectorELNS0_4arch9wavefront6targetE1EEEvSM_.kd
    .uniform_work_group_size: 1
    .uses_dynamic_stack: false
    .vgpr_count:     0
    .vgpr_spill_count: 0
    .wavefront_size: 64
  - .args:
      - .offset:         0
        .size:           72
        .value_kind:     by_value
    .group_segment_fixed_size: 0
    .kernarg_segment_align: 8
    .kernarg_segment_size: 72
    .language:       OpenCL C
    .language_version:
      - 2
      - 0
    .max_flat_workgroup_size: 256
    .name:           _ZN7rocprim17ROCPRIM_400000_NS6detail17trampoline_kernelINS0_14default_configENS1_22reduce_config_selectorIbEEZNS1_11reduce_implILb1ES3_N6hipcub16HIPCUB_304000_NS22TransformInputIteratorIb7NonZeroIsEPslEEPllNS8_6detail34convert_binary_result_type_wrapperINS8_3SumESD_lEEEE10hipError_tPvRmT1_T2_T3_mT4_P12ihipStream_tbEUlT_E0_NS1_11comp_targetILNS1_3genE3ELNS1_11target_archE908ELNS1_3gpuE7ELNS1_3repE0EEENS1_30default_config_static_selectorELNS0_4arch9wavefront6targetE1EEEvSM_
    .private_segment_fixed_size: 0
    .sgpr_count:     4
    .sgpr_spill_count: 0
    .symbol:         _ZN7rocprim17ROCPRIM_400000_NS6detail17trampoline_kernelINS0_14default_configENS1_22reduce_config_selectorIbEEZNS1_11reduce_implILb1ES3_N6hipcub16HIPCUB_304000_NS22TransformInputIteratorIb7NonZeroIsEPslEEPllNS8_6detail34convert_binary_result_type_wrapperINS8_3SumESD_lEEEE10hipError_tPvRmT1_T2_T3_mT4_P12ihipStream_tbEUlT_E0_NS1_11comp_targetILNS1_3genE3ELNS1_11target_archE908ELNS1_3gpuE7ELNS1_3repE0EEENS1_30default_config_static_selectorELNS0_4arch9wavefront6targetE1EEEvSM_.kd
    .uniform_work_group_size: 1
    .uses_dynamic_stack: false
    .vgpr_count:     0
    .vgpr_spill_count: 0
    .wavefront_size: 64
  - .args:
      - .offset:         0
        .size:           72
        .value_kind:     by_value
    .group_segment_fixed_size: 32
    .kernarg_segment_align: 8
    .kernarg_segment_size: 72
    .language:       OpenCL C
    .language_version:
      - 2
      - 0
    .max_flat_workgroup_size: 128
    .name:           _ZN7rocprim17ROCPRIM_400000_NS6detail17trampoline_kernelINS0_14default_configENS1_22reduce_config_selectorIbEEZNS1_11reduce_implILb1ES3_N6hipcub16HIPCUB_304000_NS22TransformInputIteratorIb7NonZeroIsEPslEEPllNS8_6detail34convert_binary_result_type_wrapperINS8_3SumESD_lEEEE10hipError_tPvRmT1_T2_T3_mT4_P12ihipStream_tbEUlT_E0_NS1_11comp_targetILNS1_3genE2ELNS1_11target_archE906ELNS1_3gpuE6ELNS1_3repE0EEENS1_30default_config_static_selectorELNS0_4arch9wavefront6targetE1EEEvSM_
    .private_segment_fixed_size: 0
    .sgpr_count:     24
    .sgpr_spill_count: 0
    .symbol:         _ZN7rocprim17ROCPRIM_400000_NS6detail17trampoline_kernelINS0_14default_configENS1_22reduce_config_selectorIbEEZNS1_11reduce_implILb1ES3_N6hipcub16HIPCUB_304000_NS22TransformInputIteratorIb7NonZeroIsEPslEEPllNS8_6detail34convert_binary_result_type_wrapperINS8_3SumESD_lEEEE10hipError_tPvRmT1_T2_T3_mT4_P12ihipStream_tbEUlT_E0_NS1_11comp_targetILNS1_3genE2ELNS1_11target_archE906ELNS1_3gpuE6ELNS1_3repE0EEENS1_30default_config_static_selectorELNS0_4arch9wavefront6targetE1EEEvSM_.kd
    .uniform_work_group_size: 1
    .uses_dynamic_stack: false
    .vgpr_count:     36
    .vgpr_spill_count: 0
    .wavefront_size: 64
  - .args:
      - .offset:         0
        .size:           72
        .value_kind:     by_value
    .group_segment_fixed_size: 0
    .kernarg_segment_align: 8
    .kernarg_segment_size: 72
    .language:       OpenCL C
    .language_version:
      - 2
      - 0
    .max_flat_workgroup_size: 256
    .name:           _ZN7rocprim17ROCPRIM_400000_NS6detail17trampoline_kernelINS0_14default_configENS1_22reduce_config_selectorIbEEZNS1_11reduce_implILb1ES3_N6hipcub16HIPCUB_304000_NS22TransformInputIteratorIb7NonZeroIsEPslEEPllNS8_6detail34convert_binary_result_type_wrapperINS8_3SumESD_lEEEE10hipError_tPvRmT1_T2_T3_mT4_P12ihipStream_tbEUlT_E0_NS1_11comp_targetILNS1_3genE10ELNS1_11target_archE1201ELNS1_3gpuE5ELNS1_3repE0EEENS1_30default_config_static_selectorELNS0_4arch9wavefront6targetE1EEEvSM_
    .private_segment_fixed_size: 0
    .sgpr_count:     4
    .sgpr_spill_count: 0
    .symbol:         _ZN7rocprim17ROCPRIM_400000_NS6detail17trampoline_kernelINS0_14default_configENS1_22reduce_config_selectorIbEEZNS1_11reduce_implILb1ES3_N6hipcub16HIPCUB_304000_NS22TransformInputIteratorIb7NonZeroIsEPslEEPllNS8_6detail34convert_binary_result_type_wrapperINS8_3SumESD_lEEEE10hipError_tPvRmT1_T2_T3_mT4_P12ihipStream_tbEUlT_E0_NS1_11comp_targetILNS1_3genE10ELNS1_11target_archE1201ELNS1_3gpuE5ELNS1_3repE0EEENS1_30default_config_static_selectorELNS0_4arch9wavefront6targetE1EEEvSM_.kd
    .uniform_work_group_size: 1
    .uses_dynamic_stack: false
    .vgpr_count:     0
    .vgpr_spill_count: 0
    .wavefront_size: 64
  - .args:
      - .offset:         0
        .size:           72
        .value_kind:     by_value
    .group_segment_fixed_size: 0
    .kernarg_segment_align: 8
    .kernarg_segment_size: 72
    .language:       OpenCL C
    .language_version:
      - 2
      - 0
    .max_flat_workgroup_size: 256
    .name:           _ZN7rocprim17ROCPRIM_400000_NS6detail17trampoline_kernelINS0_14default_configENS1_22reduce_config_selectorIbEEZNS1_11reduce_implILb1ES3_N6hipcub16HIPCUB_304000_NS22TransformInputIteratorIb7NonZeroIsEPslEEPllNS8_6detail34convert_binary_result_type_wrapperINS8_3SumESD_lEEEE10hipError_tPvRmT1_T2_T3_mT4_P12ihipStream_tbEUlT_E0_NS1_11comp_targetILNS1_3genE10ELNS1_11target_archE1200ELNS1_3gpuE4ELNS1_3repE0EEENS1_30default_config_static_selectorELNS0_4arch9wavefront6targetE1EEEvSM_
    .private_segment_fixed_size: 0
    .sgpr_count:     4
    .sgpr_spill_count: 0
    .symbol:         _ZN7rocprim17ROCPRIM_400000_NS6detail17trampoline_kernelINS0_14default_configENS1_22reduce_config_selectorIbEEZNS1_11reduce_implILb1ES3_N6hipcub16HIPCUB_304000_NS22TransformInputIteratorIb7NonZeroIsEPslEEPllNS8_6detail34convert_binary_result_type_wrapperINS8_3SumESD_lEEEE10hipError_tPvRmT1_T2_T3_mT4_P12ihipStream_tbEUlT_E0_NS1_11comp_targetILNS1_3genE10ELNS1_11target_archE1200ELNS1_3gpuE4ELNS1_3repE0EEENS1_30default_config_static_selectorELNS0_4arch9wavefront6targetE1EEEvSM_.kd
    .uniform_work_group_size: 1
    .uses_dynamic_stack: false
    .vgpr_count:     0
    .vgpr_spill_count: 0
    .wavefront_size: 64
  - .args:
      - .offset:         0
        .size:           72
        .value_kind:     by_value
    .group_segment_fixed_size: 0
    .kernarg_segment_align: 8
    .kernarg_segment_size: 72
    .language:       OpenCL C
    .language_version:
      - 2
      - 0
    .max_flat_workgroup_size: 128
    .name:           _ZN7rocprim17ROCPRIM_400000_NS6detail17trampoline_kernelINS0_14default_configENS1_22reduce_config_selectorIbEEZNS1_11reduce_implILb1ES3_N6hipcub16HIPCUB_304000_NS22TransformInputIteratorIb7NonZeroIsEPslEEPllNS8_6detail34convert_binary_result_type_wrapperINS8_3SumESD_lEEEE10hipError_tPvRmT1_T2_T3_mT4_P12ihipStream_tbEUlT_E0_NS1_11comp_targetILNS1_3genE9ELNS1_11target_archE1100ELNS1_3gpuE3ELNS1_3repE0EEENS1_30default_config_static_selectorELNS0_4arch9wavefront6targetE1EEEvSM_
    .private_segment_fixed_size: 0
    .sgpr_count:     4
    .sgpr_spill_count: 0
    .symbol:         _ZN7rocprim17ROCPRIM_400000_NS6detail17trampoline_kernelINS0_14default_configENS1_22reduce_config_selectorIbEEZNS1_11reduce_implILb1ES3_N6hipcub16HIPCUB_304000_NS22TransformInputIteratorIb7NonZeroIsEPslEEPllNS8_6detail34convert_binary_result_type_wrapperINS8_3SumESD_lEEEE10hipError_tPvRmT1_T2_T3_mT4_P12ihipStream_tbEUlT_E0_NS1_11comp_targetILNS1_3genE9ELNS1_11target_archE1100ELNS1_3gpuE3ELNS1_3repE0EEENS1_30default_config_static_selectorELNS0_4arch9wavefront6targetE1EEEvSM_.kd
    .uniform_work_group_size: 1
    .uses_dynamic_stack: false
    .vgpr_count:     0
    .vgpr_spill_count: 0
    .wavefront_size: 64
  - .args:
      - .offset:         0
        .size:           72
        .value_kind:     by_value
    .group_segment_fixed_size: 0
    .kernarg_segment_align: 8
    .kernarg_segment_size: 72
    .language:       OpenCL C
    .language_version:
      - 2
      - 0
    .max_flat_workgroup_size: 256
    .name:           _ZN7rocprim17ROCPRIM_400000_NS6detail17trampoline_kernelINS0_14default_configENS1_22reduce_config_selectorIbEEZNS1_11reduce_implILb1ES3_N6hipcub16HIPCUB_304000_NS22TransformInputIteratorIb7NonZeroIsEPslEEPllNS8_6detail34convert_binary_result_type_wrapperINS8_3SumESD_lEEEE10hipError_tPvRmT1_T2_T3_mT4_P12ihipStream_tbEUlT_E0_NS1_11comp_targetILNS1_3genE8ELNS1_11target_archE1030ELNS1_3gpuE2ELNS1_3repE0EEENS1_30default_config_static_selectorELNS0_4arch9wavefront6targetE1EEEvSM_
    .private_segment_fixed_size: 0
    .sgpr_count:     4
    .sgpr_spill_count: 0
    .symbol:         _ZN7rocprim17ROCPRIM_400000_NS6detail17trampoline_kernelINS0_14default_configENS1_22reduce_config_selectorIbEEZNS1_11reduce_implILb1ES3_N6hipcub16HIPCUB_304000_NS22TransformInputIteratorIb7NonZeroIsEPslEEPllNS8_6detail34convert_binary_result_type_wrapperINS8_3SumESD_lEEEE10hipError_tPvRmT1_T2_T3_mT4_P12ihipStream_tbEUlT_E0_NS1_11comp_targetILNS1_3genE8ELNS1_11target_archE1030ELNS1_3gpuE2ELNS1_3repE0EEENS1_30default_config_static_selectorELNS0_4arch9wavefront6targetE1EEEvSM_.kd
    .uniform_work_group_size: 1
    .uses_dynamic_stack: false
    .vgpr_count:     0
    .vgpr_spill_count: 0
    .wavefront_size: 64
  - .args:
      - .offset:         0
        .size:           56
        .value_kind:     by_value
    .group_segment_fixed_size: 0
    .kernarg_segment_align: 8
    .kernarg_segment_size: 56
    .language:       OpenCL C
    .language_version:
      - 2
      - 0
    .max_flat_workgroup_size: 256
    .name:           _ZN7rocprim17ROCPRIM_400000_NS6detail17trampoline_kernelINS0_14default_configENS1_22reduce_config_selectorIbEEZNS1_11reduce_implILb1ES3_N6hipcub16HIPCUB_304000_NS22TransformInputIteratorIb7NonZeroIsEPslEEPllNS8_6detail34convert_binary_result_type_wrapperINS8_3SumESD_lEEEE10hipError_tPvRmT1_T2_T3_mT4_P12ihipStream_tbEUlT_E1_NS1_11comp_targetILNS1_3genE0ELNS1_11target_archE4294967295ELNS1_3gpuE0ELNS1_3repE0EEENS1_30default_config_static_selectorELNS0_4arch9wavefront6targetE1EEEvSM_
    .private_segment_fixed_size: 0
    .sgpr_count:     4
    .sgpr_spill_count: 0
    .symbol:         _ZN7rocprim17ROCPRIM_400000_NS6detail17trampoline_kernelINS0_14default_configENS1_22reduce_config_selectorIbEEZNS1_11reduce_implILb1ES3_N6hipcub16HIPCUB_304000_NS22TransformInputIteratorIb7NonZeroIsEPslEEPllNS8_6detail34convert_binary_result_type_wrapperINS8_3SumESD_lEEEE10hipError_tPvRmT1_T2_T3_mT4_P12ihipStream_tbEUlT_E1_NS1_11comp_targetILNS1_3genE0ELNS1_11target_archE4294967295ELNS1_3gpuE0ELNS1_3repE0EEENS1_30default_config_static_selectorELNS0_4arch9wavefront6targetE1EEEvSM_.kd
    .uniform_work_group_size: 1
    .uses_dynamic_stack: false
    .vgpr_count:     0
    .vgpr_spill_count: 0
    .wavefront_size: 64
  - .args:
      - .offset:         0
        .size:           56
        .value_kind:     by_value
    .group_segment_fixed_size: 0
    .kernarg_segment_align: 8
    .kernarg_segment_size: 56
    .language:       OpenCL C
    .language_version:
      - 2
      - 0
    .max_flat_workgroup_size: 256
    .name:           _ZN7rocprim17ROCPRIM_400000_NS6detail17trampoline_kernelINS0_14default_configENS1_22reduce_config_selectorIbEEZNS1_11reduce_implILb1ES3_N6hipcub16HIPCUB_304000_NS22TransformInputIteratorIb7NonZeroIsEPslEEPllNS8_6detail34convert_binary_result_type_wrapperINS8_3SumESD_lEEEE10hipError_tPvRmT1_T2_T3_mT4_P12ihipStream_tbEUlT_E1_NS1_11comp_targetILNS1_3genE5ELNS1_11target_archE942ELNS1_3gpuE9ELNS1_3repE0EEENS1_30default_config_static_selectorELNS0_4arch9wavefront6targetE1EEEvSM_
    .private_segment_fixed_size: 0
    .sgpr_count:     4
    .sgpr_spill_count: 0
    .symbol:         _ZN7rocprim17ROCPRIM_400000_NS6detail17trampoline_kernelINS0_14default_configENS1_22reduce_config_selectorIbEEZNS1_11reduce_implILb1ES3_N6hipcub16HIPCUB_304000_NS22TransformInputIteratorIb7NonZeroIsEPslEEPllNS8_6detail34convert_binary_result_type_wrapperINS8_3SumESD_lEEEE10hipError_tPvRmT1_T2_T3_mT4_P12ihipStream_tbEUlT_E1_NS1_11comp_targetILNS1_3genE5ELNS1_11target_archE942ELNS1_3gpuE9ELNS1_3repE0EEENS1_30default_config_static_selectorELNS0_4arch9wavefront6targetE1EEEvSM_.kd
    .uniform_work_group_size: 1
    .uses_dynamic_stack: false
    .vgpr_count:     0
    .vgpr_spill_count: 0
    .wavefront_size: 64
  - .args:
      - .offset:         0
        .size:           56
        .value_kind:     by_value
    .group_segment_fixed_size: 0
    .kernarg_segment_align: 8
    .kernarg_segment_size: 56
    .language:       OpenCL C
    .language_version:
      - 2
      - 0
    .max_flat_workgroup_size: 128
    .name:           _ZN7rocprim17ROCPRIM_400000_NS6detail17trampoline_kernelINS0_14default_configENS1_22reduce_config_selectorIbEEZNS1_11reduce_implILb1ES3_N6hipcub16HIPCUB_304000_NS22TransformInputIteratorIb7NonZeroIsEPslEEPllNS8_6detail34convert_binary_result_type_wrapperINS8_3SumESD_lEEEE10hipError_tPvRmT1_T2_T3_mT4_P12ihipStream_tbEUlT_E1_NS1_11comp_targetILNS1_3genE4ELNS1_11target_archE910ELNS1_3gpuE8ELNS1_3repE0EEENS1_30default_config_static_selectorELNS0_4arch9wavefront6targetE1EEEvSM_
    .private_segment_fixed_size: 0
    .sgpr_count:     4
    .sgpr_spill_count: 0
    .symbol:         _ZN7rocprim17ROCPRIM_400000_NS6detail17trampoline_kernelINS0_14default_configENS1_22reduce_config_selectorIbEEZNS1_11reduce_implILb1ES3_N6hipcub16HIPCUB_304000_NS22TransformInputIteratorIb7NonZeroIsEPslEEPllNS8_6detail34convert_binary_result_type_wrapperINS8_3SumESD_lEEEE10hipError_tPvRmT1_T2_T3_mT4_P12ihipStream_tbEUlT_E1_NS1_11comp_targetILNS1_3genE4ELNS1_11target_archE910ELNS1_3gpuE8ELNS1_3repE0EEENS1_30default_config_static_selectorELNS0_4arch9wavefront6targetE1EEEvSM_.kd
    .uniform_work_group_size: 1
    .uses_dynamic_stack: false
    .vgpr_count:     0
    .vgpr_spill_count: 0
    .wavefront_size: 64
  - .args:
      - .offset:         0
        .size:           56
        .value_kind:     by_value
    .group_segment_fixed_size: 0
    .kernarg_segment_align: 8
    .kernarg_segment_size: 56
    .language:       OpenCL C
    .language_version:
      - 2
      - 0
    .max_flat_workgroup_size: 256
    .name:           _ZN7rocprim17ROCPRIM_400000_NS6detail17trampoline_kernelINS0_14default_configENS1_22reduce_config_selectorIbEEZNS1_11reduce_implILb1ES3_N6hipcub16HIPCUB_304000_NS22TransformInputIteratorIb7NonZeroIsEPslEEPllNS8_6detail34convert_binary_result_type_wrapperINS8_3SumESD_lEEEE10hipError_tPvRmT1_T2_T3_mT4_P12ihipStream_tbEUlT_E1_NS1_11comp_targetILNS1_3genE3ELNS1_11target_archE908ELNS1_3gpuE7ELNS1_3repE0EEENS1_30default_config_static_selectorELNS0_4arch9wavefront6targetE1EEEvSM_
    .private_segment_fixed_size: 0
    .sgpr_count:     4
    .sgpr_spill_count: 0
    .symbol:         _ZN7rocprim17ROCPRIM_400000_NS6detail17trampoline_kernelINS0_14default_configENS1_22reduce_config_selectorIbEEZNS1_11reduce_implILb1ES3_N6hipcub16HIPCUB_304000_NS22TransformInputIteratorIb7NonZeroIsEPslEEPllNS8_6detail34convert_binary_result_type_wrapperINS8_3SumESD_lEEEE10hipError_tPvRmT1_T2_T3_mT4_P12ihipStream_tbEUlT_E1_NS1_11comp_targetILNS1_3genE3ELNS1_11target_archE908ELNS1_3gpuE7ELNS1_3repE0EEENS1_30default_config_static_selectorELNS0_4arch9wavefront6targetE1EEEvSM_.kd
    .uniform_work_group_size: 1
    .uses_dynamic_stack: false
    .vgpr_count:     0
    .vgpr_spill_count: 0
    .wavefront_size: 64
  - .args:
      - .offset:         0
        .size:           56
        .value_kind:     by_value
    .group_segment_fixed_size: 144
    .kernarg_segment_align: 8
    .kernarg_segment_size: 56
    .language:       OpenCL C
    .language_version:
      - 2
      - 0
    .max_flat_workgroup_size: 128
    .name:           _ZN7rocprim17ROCPRIM_400000_NS6detail17trampoline_kernelINS0_14default_configENS1_22reduce_config_selectorIbEEZNS1_11reduce_implILb1ES3_N6hipcub16HIPCUB_304000_NS22TransformInputIteratorIb7NonZeroIsEPslEEPllNS8_6detail34convert_binary_result_type_wrapperINS8_3SumESD_lEEEE10hipError_tPvRmT1_T2_T3_mT4_P12ihipStream_tbEUlT_E1_NS1_11comp_targetILNS1_3genE2ELNS1_11target_archE906ELNS1_3gpuE6ELNS1_3repE0EEENS1_30default_config_static_selectorELNS0_4arch9wavefront6targetE1EEEvSM_
    .private_segment_fixed_size: 20
    .sgpr_count:     44
    .sgpr_spill_count: 0
    .symbol:         _ZN7rocprim17ROCPRIM_400000_NS6detail17trampoline_kernelINS0_14default_configENS1_22reduce_config_selectorIbEEZNS1_11reduce_implILb1ES3_N6hipcub16HIPCUB_304000_NS22TransformInputIteratorIb7NonZeroIsEPslEEPllNS8_6detail34convert_binary_result_type_wrapperINS8_3SumESD_lEEEE10hipError_tPvRmT1_T2_T3_mT4_P12ihipStream_tbEUlT_E1_NS1_11comp_targetILNS1_3genE2ELNS1_11target_archE906ELNS1_3gpuE6ELNS1_3repE0EEENS1_30default_config_static_selectorELNS0_4arch9wavefront6targetE1EEEvSM_.kd
    .uniform_work_group_size: 1
    .uses_dynamic_stack: false
    .vgpr_count:     256
    .vgpr_spill_count: 6
    .wavefront_size: 64
  - .args:
      - .offset:         0
        .size:           56
        .value_kind:     by_value
    .group_segment_fixed_size: 0
    .kernarg_segment_align: 8
    .kernarg_segment_size: 56
    .language:       OpenCL C
    .language_version:
      - 2
      - 0
    .max_flat_workgroup_size: 256
    .name:           _ZN7rocprim17ROCPRIM_400000_NS6detail17trampoline_kernelINS0_14default_configENS1_22reduce_config_selectorIbEEZNS1_11reduce_implILb1ES3_N6hipcub16HIPCUB_304000_NS22TransformInputIteratorIb7NonZeroIsEPslEEPllNS8_6detail34convert_binary_result_type_wrapperINS8_3SumESD_lEEEE10hipError_tPvRmT1_T2_T3_mT4_P12ihipStream_tbEUlT_E1_NS1_11comp_targetILNS1_3genE10ELNS1_11target_archE1201ELNS1_3gpuE5ELNS1_3repE0EEENS1_30default_config_static_selectorELNS0_4arch9wavefront6targetE1EEEvSM_
    .private_segment_fixed_size: 0
    .sgpr_count:     4
    .sgpr_spill_count: 0
    .symbol:         _ZN7rocprim17ROCPRIM_400000_NS6detail17trampoline_kernelINS0_14default_configENS1_22reduce_config_selectorIbEEZNS1_11reduce_implILb1ES3_N6hipcub16HIPCUB_304000_NS22TransformInputIteratorIb7NonZeroIsEPslEEPllNS8_6detail34convert_binary_result_type_wrapperINS8_3SumESD_lEEEE10hipError_tPvRmT1_T2_T3_mT4_P12ihipStream_tbEUlT_E1_NS1_11comp_targetILNS1_3genE10ELNS1_11target_archE1201ELNS1_3gpuE5ELNS1_3repE0EEENS1_30default_config_static_selectorELNS0_4arch9wavefront6targetE1EEEvSM_.kd
    .uniform_work_group_size: 1
    .uses_dynamic_stack: false
    .vgpr_count:     0
    .vgpr_spill_count: 0
    .wavefront_size: 64
  - .args:
      - .offset:         0
        .size:           56
        .value_kind:     by_value
    .group_segment_fixed_size: 0
    .kernarg_segment_align: 8
    .kernarg_segment_size: 56
    .language:       OpenCL C
    .language_version:
      - 2
      - 0
    .max_flat_workgroup_size: 256
    .name:           _ZN7rocprim17ROCPRIM_400000_NS6detail17trampoline_kernelINS0_14default_configENS1_22reduce_config_selectorIbEEZNS1_11reduce_implILb1ES3_N6hipcub16HIPCUB_304000_NS22TransformInputIteratorIb7NonZeroIsEPslEEPllNS8_6detail34convert_binary_result_type_wrapperINS8_3SumESD_lEEEE10hipError_tPvRmT1_T2_T3_mT4_P12ihipStream_tbEUlT_E1_NS1_11comp_targetILNS1_3genE10ELNS1_11target_archE1200ELNS1_3gpuE4ELNS1_3repE0EEENS1_30default_config_static_selectorELNS0_4arch9wavefront6targetE1EEEvSM_
    .private_segment_fixed_size: 0
    .sgpr_count:     4
    .sgpr_spill_count: 0
    .symbol:         _ZN7rocprim17ROCPRIM_400000_NS6detail17trampoline_kernelINS0_14default_configENS1_22reduce_config_selectorIbEEZNS1_11reduce_implILb1ES3_N6hipcub16HIPCUB_304000_NS22TransformInputIteratorIb7NonZeroIsEPslEEPllNS8_6detail34convert_binary_result_type_wrapperINS8_3SumESD_lEEEE10hipError_tPvRmT1_T2_T3_mT4_P12ihipStream_tbEUlT_E1_NS1_11comp_targetILNS1_3genE10ELNS1_11target_archE1200ELNS1_3gpuE4ELNS1_3repE0EEENS1_30default_config_static_selectorELNS0_4arch9wavefront6targetE1EEEvSM_.kd
    .uniform_work_group_size: 1
    .uses_dynamic_stack: false
    .vgpr_count:     0
    .vgpr_spill_count: 0
    .wavefront_size: 64
  - .args:
      - .offset:         0
        .size:           56
        .value_kind:     by_value
    .group_segment_fixed_size: 0
    .kernarg_segment_align: 8
    .kernarg_segment_size: 56
    .language:       OpenCL C
    .language_version:
      - 2
      - 0
    .max_flat_workgroup_size: 128
    .name:           _ZN7rocprim17ROCPRIM_400000_NS6detail17trampoline_kernelINS0_14default_configENS1_22reduce_config_selectorIbEEZNS1_11reduce_implILb1ES3_N6hipcub16HIPCUB_304000_NS22TransformInputIteratorIb7NonZeroIsEPslEEPllNS8_6detail34convert_binary_result_type_wrapperINS8_3SumESD_lEEEE10hipError_tPvRmT1_T2_T3_mT4_P12ihipStream_tbEUlT_E1_NS1_11comp_targetILNS1_3genE9ELNS1_11target_archE1100ELNS1_3gpuE3ELNS1_3repE0EEENS1_30default_config_static_selectorELNS0_4arch9wavefront6targetE1EEEvSM_
    .private_segment_fixed_size: 0
    .sgpr_count:     4
    .sgpr_spill_count: 0
    .symbol:         _ZN7rocprim17ROCPRIM_400000_NS6detail17trampoline_kernelINS0_14default_configENS1_22reduce_config_selectorIbEEZNS1_11reduce_implILb1ES3_N6hipcub16HIPCUB_304000_NS22TransformInputIteratorIb7NonZeroIsEPslEEPllNS8_6detail34convert_binary_result_type_wrapperINS8_3SumESD_lEEEE10hipError_tPvRmT1_T2_T3_mT4_P12ihipStream_tbEUlT_E1_NS1_11comp_targetILNS1_3genE9ELNS1_11target_archE1100ELNS1_3gpuE3ELNS1_3repE0EEENS1_30default_config_static_selectorELNS0_4arch9wavefront6targetE1EEEvSM_.kd
    .uniform_work_group_size: 1
    .uses_dynamic_stack: false
    .vgpr_count:     0
    .vgpr_spill_count: 0
    .wavefront_size: 64
  - .args:
      - .offset:         0
        .size:           56
        .value_kind:     by_value
    .group_segment_fixed_size: 0
    .kernarg_segment_align: 8
    .kernarg_segment_size: 56
    .language:       OpenCL C
    .language_version:
      - 2
      - 0
    .max_flat_workgroup_size: 256
    .name:           _ZN7rocprim17ROCPRIM_400000_NS6detail17trampoline_kernelINS0_14default_configENS1_22reduce_config_selectorIbEEZNS1_11reduce_implILb1ES3_N6hipcub16HIPCUB_304000_NS22TransformInputIteratorIb7NonZeroIsEPslEEPllNS8_6detail34convert_binary_result_type_wrapperINS8_3SumESD_lEEEE10hipError_tPvRmT1_T2_T3_mT4_P12ihipStream_tbEUlT_E1_NS1_11comp_targetILNS1_3genE8ELNS1_11target_archE1030ELNS1_3gpuE2ELNS1_3repE0EEENS1_30default_config_static_selectorELNS0_4arch9wavefront6targetE1EEEvSM_
    .private_segment_fixed_size: 0
    .sgpr_count:     4
    .sgpr_spill_count: 0
    .symbol:         _ZN7rocprim17ROCPRIM_400000_NS6detail17trampoline_kernelINS0_14default_configENS1_22reduce_config_selectorIbEEZNS1_11reduce_implILb1ES3_N6hipcub16HIPCUB_304000_NS22TransformInputIteratorIb7NonZeroIsEPslEEPllNS8_6detail34convert_binary_result_type_wrapperINS8_3SumESD_lEEEE10hipError_tPvRmT1_T2_T3_mT4_P12ihipStream_tbEUlT_E1_NS1_11comp_targetILNS1_3genE8ELNS1_11target_archE1030ELNS1_3gpuE2ELNS1_3repE0EEENS1_30default_config_static_selectorELNS0_4arch9wavefront6targetE1EEEvSM_.kd
    .uniform_work_group_size: 1
    .uses_dynamic_stack: false
    .vgpr_count:     0
    .vgpr_spill_count: 0
    .wavefront_size: 64
  - .args:
      - .offset:         0
        .size:           120
        .value_kind:     by_value
    .group_segment_fixed_size: 0
    .kernarg_segment_align: 8
    .kernarg_segment_size: 120
    .language:       OpenCL C
    .language_version:
      - 2
      - 0
    .max_flat_workgroup_size: 128
    .name:           _ZN7rocprim17ROCPRIM_400000_NS6detail17trampoline_kernelINS0_14default_configENS1_25partition_config_selectorILNS1_17partition_subalgoE5ElNS0_10empty_typeEbEEZZNS1_14partition_implILS5_5ELb0ES3_mN6hipcub16HIPCUB_304000_NS21CountingInputIteratorIllEEPS6_NSA_22TransformInputIteratorIb7NonZeroIsEPslEENS0_5tupleIJPlS6_EEENSJ_IJSD_SD_EEES6_SK_JS6_EEE10hipError_tPvRmT3_T4_T5_T6_T7_T9_mT8_P12ihipStream_tbDpT10_ENKUlT_T0_E_clISt17integral_constantIbLb0EES16_EEDaS11_S12_EUlS11_E_NS1_11comp_targetILNS1_3genE0ELNS1_11target_archE4294967295ELNS1_3gpuE0ELNS1_3repE0EEENS1_30default_config_static_selectorELNS0_4arch9wavefront6targetE1EEEvT1_
    .private_segment_fixed_size: 0
    .sgpr_count:     4
    .sgpr_spill_count: 0
    .symbol:         _ZN7rocprim17ROCPRIM_400000_NS6detail17trampoline_kernelINS0_14default_configENS1_25partition_config_selectorILNS1_17partition_subalgoE5ElNS0_10empty_typeEbEEZZNS1_14partition_implILS5_5ELb0ES3_mN6hipcub16HIPCUB_304000_NS21CountingInputIteratorIllEEPS6_NSA_22TransformInputIteratorIb7NonZeroIsEPslEENS0_5tupleIJPlS6_EEENSJ_IJSD_SD_EEES6_SK_JS6_EEE10hipError_tPvRmT3_T4_T5_T6_T7_T9_mT8_P12ihipStream_tbDpT10_ENKUlT_T0_E_clISt17integral_constantIbLb0EES16_EEDaS11_S12_EUlS11_E_NS1_11comp_targetILNS1_3genE0ELNS1_11target_archE4294967295ELNS1_3gpuE0ELNS1_3repE0EEENS1_30default_config_static_selectorELNS0_4arch9wavefront6targetE1EEEvT1_.kd
    .uniform_work_group_size: 1
    .uses_dynamic_stack: false
    .vgpr_count:     0
    .vgpr_spill_count: 0
    .wavefront_size: 64
  - .args:
      - .offset:         0
        .size:           120
        .value_kind:     by_value
    .group_segment_fixed_size: 0
    .kernarg_segment_align: 8
    .kernarg_segment_size: 120
    .language:       OpenCL C
    .language_version:
      - 2
      - 0
    .max_flat_workgroup_size: 512
    .name:           _ZN7rocprim17ROCPRIM_400000_NS6detail17trampoline_kernelINS0_14default_configENS1_25partition_config_selectorILNS1_17partition_subalgoE5ElNS0_10empty_typeEbEEZZNS1_14partition_implILS5_5ELb0ES3_mN6hipcub16HIPCUB_304000_NS21CountingInputIteratorIllEEPS6_NSA_22TransformInputIteratorIb7NonZeroIsEPslEENS0_5tupleIJPlS6_EEENSJ_IJSD_SD_EEES6_SK_JS6_EEE10hipError_tPvRmT3_T4_T5_T6_T7_T9_mT8_P12ihipStream_tbDpT10_ENKUlT_T0_E_clISt17integral_constantIbLb0EES16_EEDaS11_S12_EUlS11_E_NS1_11comp_targetILNS1_3genE5ELNS1_11target_archE942ELNS1_3gpuE9ELNS1_3repE0EEENS1_30default_config_static_selectorELNS0_4arch9wavefront6targetE1EEEvT1_
    .private_segment_fixed_size: 0
    .sgpr_count:     4
    .sgpr_spill_count: 0
    .symbol:         _ZN7rocprim17ROCPRIM_400000_NS6detail17trampoline_kernelINS0_14default_configENS1_25partition_config_selectorILNS1_17partition_subalgoE5ElNS0_10empty_typeEbEEZZNS1_14partition_implILS5_5ELb0ES3_mN6hipcub16HIPCUB_304000_NS21CountingInputIteratorIllEEPS6_NSA_22TransformInputIteratorIb7NonZeroIsEPslEENS0_5tupleIJPlS6_EEENSJ_IJSD_SD_EEES6_SK_JS6_EEE10hipError_tPvRmT3_T4_T5_T6_T7_T9_mT8_P12ihipStream_tbDpT10_ENKUlT_T0_E_clISt17integral_constantIbLb0EES16_EEDaS11_S12_EUlS11_E_NS1_11comp_targetILNS1_3genE5ELNS1_11target_archE942ELNS1_3gpuE9ELNS1_3repE0EEENS1_30default_config_static_selectorELNS0_4arch9wavefront6targetE1EEEvT1_.kd
    .uniform_work_group_size: 1
    .uses_dynamic_stack: false
    .vgpr_count:     0
    .vgpr_spill_count: 0
    .wavefront_size: 64
  - .args:
      - .offset:         0
        .size:           120
        .value_kind:     by_value
    .group_segment_fixed_size: 0
    .kernarg_segment_align: 8
    .kernarg_segment_size: 120
    .language:       OpenCL C
    .language_version:
      - 2
      - 0
    .max_flat_workgroup_size: 192
    .name:           _ZN7rocprim17ROCPRIM_400000_NS6detail17trampoline_kernelINS0_14default_configENS1_25partition_config_selectorILNS1_17partition_subalgoE5ElNS0_10empty_typeEbEEZZNS1_14partition_implILS5_5ELb0ES3_mN6hipcub16HIPCUB_304000_NS21CountingInputIteratorIllEEPS6_NSA_22TransformInputIteratorIb7NonZeroIsEPslEENS0_5tupleIJPlS6_EEENSJ_IJSD_SD_EEES6_SK_JS6_EEE10hipError_tPvRmT3_T4_T5_T6_T7_T9_mT8_P12ihipStream_tbDpT10_ENKUlT_T0_E_clISt17integral_constantIbLb0EES16_EEDaS11_S12_EUlS11_E_NS1_11comp_targetILNS1_3genE4ELNS1_11target_archE910ELNS1_3gpuE8ELNS1_3repE0EEENS1_30default_config_static_selectorELNS0_4arch9wavefront6targetE1EEEvT1_
    .private_segment_fixed_size: 0
    .sgpr_count:     4
    .sgpr_spill_count: 0
    .symbol:         _ZN7rocprim17ROCPRIM_400000_NS6detail17trampoline_kernelINS0_14default_configENS1_25partition_config_selectorILNS1_17partition_subalgoE5ElNS0_10empty_typeEbEEZZNS1_14partition_implILS5_5ELb0ES3_mN6hipcub16HIPCUB_304000_NS21CountingInputIteratorIllEEPS6_NSA_22TransformInputIteratorIb7NonZeroIsEPslEENS0_5tupleIJPlS6_EEENSJ_IJSD_SD_EEES6_SK_JS6_EEE10hipError_tPvRmT3_T4_T5_T6_T7_T9_mT8_P12ihipStream_tbDpT10_ENKUlT_T0_E_clISt17integral_constantIbLb0EES16_EEDaS11_S12_EUlS11_E_NS1_11comp_targetILNS1_3genE4ELNS1_11target_archE910ELNS1_3gpuE8ELNS1_3repE0EEENS1_30default_config_static_selectorELNS0_4arch9wavefront6targetE1EEEvT1_.kd
    .uniform_work_group_size: 1
    .uses_dynamic_stack: false
    .vgpr_count:     0
    .vgpr_spill_count: 0
    .wavefront_size: 64
  - .args:
      - .offset:         0
        .size:           120
        .value_kind:     by_value
    .group_segment_fixed_size: 0
    .kernarg_segment_align: 8
    .kernarg_segment_size: 120
    .language:       OpenCL C
    .language_version:
      - 2
      - 0
    .max_flat_workgroup_size: 128
    .name:           _ZN7rocprim17ROCPRIM_400000_NS6detail17trampoline_kernelINS0_14default_configENS1_25partition_config_selectorILNS1_17partition_subalgoE5ElNS0_10empty_typeEbEEZZNS1_14partition_implILS5_5ELb0ES3_mN6hipcub16HIPCUB_304000_NS21CountingInputIteratorIllEEPS6_NSA_22TransformInputIteratorIb7NonZeroIsEPslEENS0_5tupleIJPlS6_EEENSJ_IJSD_SD_EEES6_SK_JS6_EEE10hipError_tPvRmT3_T4_T5_T6_T7_T9_mT8_P12ihipStream_tbDpT10_ENKUlT_T0_E_clISt17integral_constantIbLb0EES16_EEDaS11_S12_EUlS11_E_NS1_11comp_targetILNS1_3genE3ELNS1_11target_archE908ELNS1_3gpuE7ELNS1_3repE0EEENS1_30default_config_static_selectorELNS0_4arch9wavefront6targetE1EEEvT1_
    .private_segment_fixed_size: 0
    .sgpr_count:     4
    .sgpr_spill_count: 0
    .symbol:         _ZN7rocprim17ROCPRIM_400000_NS6detail17trampoline_kernelINS0_14default_configENS1_25partition_config_selectorILNS1_17partition_subalgoE5ElNS0_10empty_typeEbEEZZNS1_14partition_implILS5_5ELb0ES3_mN6hipcub16HIPCUB_304000_NS21CountingInputIteratorIllEEPS6_NSA_22TransformInputIteratorIb7NonZeroIsEPslEENS0_5tupleIJPlS6_EEENSJ_IJSD_SD_EEES6_SK_JS6_EEE10hipError_tPvRmT3_T4_T5_T6_T7_T9_mT8_P12ihipStream_tbDpT10_ENKUlT_T0_E_clISt17integral_constantIbLb0EES16_EEDaS11_S12_EUlS11_E_NS1_11comp_targetILNS1_3genE3ELNS1_11target_archE908ELNS1_3gpuE7ELNS1_3repE0EEENS1_30default_config_static_selectorELNS0_4arch9wavefront6targetE1EEEvT1_.kd
    .uniform_work_group_size: 1
    .uses_dynamic_stack: false
    .vgpr_count:     0
    .vgpr_spill_count: 0
    .wavefront_size: 64
  - .args:
      - .offset:         0
        .size:           120
        .value_kind:     by_value
    .group_segment_fixed_size: 14352
    .kernarg_segment_align: 8
    .kernarg_segment_size: 120
    .language:       OpenCL C
    .language_version:
      - 2
      - 0
    .max_flat_workgroup_size: 256
    .name:           _ZN7rocprim17ROCPRIM_400000_NS6detail17trampoline_kernelINS0_14default_configENS1_25partition_config_selectorILNS1_17partition_subalgoE5ElNS0_10empty_typeEbEEZZNS1_14partition_implILS5_5ELb0ES3_mN6hipcub16HIPCUB_304000_NS21CountingInputIteratorIllEEPS6_NSA_22TransformInputIteratorIb7NonZeroIsEPslEENS0_5tupleIJPlS6_EEENSJ_IJSD_SD_EEES6_SK_JS6_EEE10hipError_tPvRmT3_T4_T5_T6_T7_T9_mT8_P12ihipStream_tbDpT10_ENKUlT_T0_E_clISt17integral_constantIbLb0EES16_EEDaS11_S12_EUlS11_E_NS1_11comp_targetILNS1_3genE2ELNS1_11target_archE906ELNS1_3gpuE6ELNS1_3repE0EEENS1_30default_config_static_selectorELNS0_4arch9wavefront6targetE1EEEvT1_
    .private_segment_fixed_size: 0
    .sgpr_count:     30
    .sgpr_spill_count: 0
    .symbol:         _ZN7rocprim17ROCPRIM_400000_NS6detail17trampoline_kernelINS0_14default_configENS1_25partition_config_selectorILNS1_17partition_subalgoE5ElNS0_10empty_typeEbEEZZNS1_14partition_implILS5_5ELb0ES3_mN6hipcub16HIPCUB_304000_NS21CountingInputIteratorIllEEPS6_NSA_22TransformInputIteratorIb7NonZeroIsEPslEENS0_5tupleIJPlS6_EEENSJ_IJSD_SD_EEES6_SK_JS6_EEE10hipError_tPvRmT3_T4_T5_T6_T7_T9_mT8_P12ihipStream_tbDpT10_ENKUlT_T0_E_clISt17integral_constantIbLb0EES16_EEDaS11_S12_EUlS11_E_NS1_11comp_targetILNS1_3genE2ELNS1_11target_archE906ELNS1_3gpuE6ELNS1_3repE0EEENS1_30default_config_static_selectorELNS0_4arch9wavefront6targetE1EEEvT1_.kd
    .uniform_work_group_size: 1
    .uses_dynamic_stack: false
    .vgpr_count:     59
    .vgpr_spill_count: 0
    .wavefront_size: 64
  - .args:
      - .offset:         0
        .size:           120
        .value_kind:     by_value
    .group_segment_fixed_size: 0
    .kernarg_segment_align: 8
    .kernarg_segment_size: 120
    .language:       OpenCL C
    .language_version:
      - 2
      - 0
    .max_flat_workgroup_size: 256
    .name:           _ZN7rocprim17ROCPRIM_400000_NS6detail17trampoline_kernelINS0_14default_configENS1_25partition_config_selectorILNS1_17partition_subalgoE5ElNS0_10empty_typeEbEEZZNS1_14partition_implILS5_5ELb0ES3_mN6hipcub16HIPCUB_304000_NS21CountingInputIteratorIllEEPS6_NSA_22TransformInputIteratorIb7NonZeroIsEPslEENS0_5tupleIJPlS6_EEENSJ_IJSD_SD_EEES6_SK_JS6_EEE10hipError_tPvRmT3_T4_T5_T6_T7_T9_mT8_P12ihipStream_tbDpT10_ENKUlT_T0_E_clISt17integral_constantIbLb0EES16_EEDaS11_S12_EUlS11_E_NS1_11comp_targetILNS1_3genE10ELNS1_11target_archE1200ELNS1_3gpuE4ELNS1_3repE0EEENS1_30default_config_static_selectorELNS0_4arch9wavefront6targetE1EEEvT1_
    .private_segment_fixed_size: 0
    .sgpr_count:     4
    .sgpr_spill_count: 0
    .symbol:         _ZN7rocprim17ROCPRIM_400000_NS6detail17trampoline_kernelINS0_14default_configENS1_25partition_config_selectorILNS1_17partition_subalgoE5ElNS0_10empty_typeEbEEZZNS1_14partition_implILS5_5ELb0ES3_mN6hipcub16HIPCUB_304000_NS21CountingInputIteratorIllEEPS6_NSA_22TransformInputIteratorIb7NonZeroIsEPslEENS0_5tupleIJPlS6_EEENSJ_IJSD_SD_EEES6_SK_JS6_EEE10hipError_tPvRmT3_T4_T5_T6_T7_T9_mT8_P12ihipStream_tbDpT10_ENKUlT_T0_E_clISt17integral_constantIbLb0EES16_EEDaS11_S12_EUlS11_E_NS1_11comp_targetILNS1_3genE10ELNS1_11target_archE1200ELNS1_3gpuE4ELNS1_3repE0EEENS1_30default_config_static_selectorELNS0_4arch9wavefront6targetE1EEEvT1_.kd
    .uniform_work_group_size: 1
    .uses_dynamic_stack: false
    .vgpr_count:     0
    .vgpr_spill_count: 0
    .wavefront_size: 64
  - .args:
      - .offset:         0
        .size:           120
        .value_kind:     by_value
    .group_segment_fixed_size: 0
    .kernarg_segment_align: 8
    .kernarg_segment_size: 120
    .language:       OpenCL C
    .language_version:
      - 2
      - 0
    .max_flat_workgroup_size: 128
    .name:           _ZN7rocprim17ROCPRIM_400000_NS6detail17trampoline_kernelINS0_14default_configENS1_25partition_config_selectorILNS1_17partition_subalgoE5ElNS0_10empty_typeEbEEZZNS1_14partition_implILS5_5ELb0ES3_mN6hipcub16HIPCUB_304000_NS21CountingInputIteratorIllEEPS6_NSA_22TransformInputIteratorIb7NonZeroIsEPslEENS0_5tupleIJPlS6_EEENSJ_IJSD_SD_EEES6_SK_JS6_EEE10hipError_tPvRmT3_T4_T5_T6_T7_T9_mT8_P12ihipStream_tbDpT10_ENKUlT_T0_E_clISt17integral_constantIbLb0EES16_EEDaS11_S12_EUlS11_E_NS1_11comp_targetILNS1_3genE9ELNS1_11target_archE1100ELNS1_3gpuE3ELNS1_3repE0EEENS1_30default_config_static_selectorELNS0_4arch9wavefront6targetE1EEEvT1_
    .private_segment_fixed_size: 0
    .sgpr_count:     4
    .sgpr_spill_count: 0
    .symbol:         _ZN7rocprim17ROCPRIM_400000_NS6detail17trampoline_kernelINS0_14default_configENS1_25partition_config_selectorILNS1_17partition_subalgoE5ElNS0_10empty_typeEbEEZZNS1_14partition_implILS5_5ELb0ES3_mN6hipcub16HIPCUB_304000_NS21CountingInputIteratorIllEEPS6_NSA_22TransformInputIteratorIb7NonZeroIsEPslEENS0_5tupleIJPlS6_EEENSJ_IJSD_SD_EEES6_SK_JS6_EEE10hipError_tPvRmT3_T4_T5_T6_T7_T9_mT8_P12ihipStream_tbDpT10_ENKUlT_T0_E_clISt17integral_constantIbLb0EES16_EEDaS11_S12_EUlS11_E_NS1_11comp_targetILNS1_3genE9ELNS1_11target_archE1100ELNS1_3gpuE3ELNS1_3repE0EEENS1_30default_config_static_selectorELNS0_4arch9wavefront6targetE1EEEvT1_.kd
    .uniform_work_group_size: 1
    .uses_dynamic_stack: false
    .vgpr_count:     0
    .vgpr_spill_count: 0
    .wavefront_size: 64
  - .args:
      - .offset:         0
        .size:           120
        .value_kind:     by_value
    .group_segment_fixed_size: 0
    .kernarg_segment_align: 8
    .kernarg_segment_size: 120
    .language:       OpenCL C
    .language_version:
      - 2
      - 0
    .max_flat_workgroup_size: 512
    .name:           _ZN7rocprim17ROCPRIM_400000_NS6detail17trampoline_kernelINS0_14default_configENS1_25partition_config_selectorILNS1_17partition_subalgoE5ElNS0_10empty_typeEbEEZZNS1_14partition_implILS5_5ELb0ES3_mN6hipcub16HIPCUB_304000_NS21CountingInputIteratorIllEEPS6_NSA_22TransformInputIteratorIb7NonZeroIsEPslEENS0_5tupleIJPlS6_EEENSJ_IJSD_SD_EEES6_SK_JS6_EEE10hipError_tPvRmT3_T4_T5_T6_T7_T9_mT8_P12ihipStream_tbDpT10_ENKUlT_T0_E_clISt17integral_constantIbLb0EES16_EEDaS11_S12_EUlS11_E_NS1_11comp_targetILNS1_3genE8ELNS1_11target_archE1030ELNS1_3gpuE2ELNS1_3repE0EEENS1_30default_config_static_selectorELNS0_4arch9wavefront6targetE1EEEvT1_
    .private_segment_fixed_size: 0
    .sgpr_count:     4
    .sgpr_spill_count: 0
    .symbol:         _ZN7rocprim17ROCPRIM_400000_NS6detail17trampoline_kernelINS0_14default_configENS1_25partition_config_selectorILNS1_17partition_subalgoE5ElNS0_10empty_typeEbEEZZNS1_14partition_implILS5_5ELb0ES3_mN6hipcub16HIPCUB_304000_NS21CountingInputIteratorIllEEPS6_NSA_22TransformInputIteratorIb7NonZeroIsEPslEENS0_5tupleIJPlS6_EEENSJ_IJSD_SD_EEES6_SK_JS6_EEE10hipError_tPvRmT3_T4_T5_T6_T7_T9_mT8_P12ihipStream_tbDpT10_ENKUlT_T0_E_clISt17integral_constantIbLb0EES16_EEDaS11_S12_EUlS11_E_NS1_11comp_targetILNS1_3genE8ELNS1_11target_archE1030ELNS1_3gpuE2ELNS1_3repE0EEENS1_30default_config_static_selectorELNS0_4arch9wavefront6targetE1EEEvT1_.kd
    .uniform_work_group_size: 1
    .uses_dynamic_stack: false
    .vgpr_count:     0
    .vgpr_spill_count: 0
    .wavefront_size: 64
  - .args:
      - .offset:         0
        .size:           136
        .value_kind:     by_value
    .group_segment_fixed_size: 0
    .kernarg_segment_align: 8
    .kernarg_segment_size: 136
    .language:       OpenCL C
    .language_version:
      - 2
      - 0
    .max_flat_workgroup_size: 128
    .name:           _ZN7rocprim17ROCPRIM_400000_NS6detail17trampoline_kernelINS0_14default_configENS1_25partition_config_selectorILNS1_17partition_subalgoE5ElNS0_10empty_typeEbEEZZNS1_14partition_implILS5_5ELb0ES3_mN6hipcub16HIPCUB_304000_NS21CountingInputIteratorIllEEPS6_NSA_22TransformInputIteratorIb7NonZeroIsEPslEENS0_5tupleIJPlS6_EEENSJ_IJSD_SD_EEES6_SK_JS6_EEE10hipError_tPvRmT3_T4_T5_T6_T7_T9_mT8_P12ihipStream_tbDpT10_ENKUlT_T0_E_clISt17integral_constantIbLb1EES16_EEDaS11_S12_EUlS11_E_NS1_11comp_targetILNS1_3genE0ELNS1_11target_archE4294967295ELNS1_3gpuE0ELNS1_3repE0EEENS1_30default_config_static_selectorELNS0_4arch9wavefront6targetE1EEEvT1_
    .private_segment_fixed_size: 0
    .sgpr_count:     4
    .sgpr_spill_count: 0
    .symbol:         _ZN7rocprim17ROCPRIM_400000_NS6detail17trampoline_kernelINS0_14default_configENS1_25partition_config_selectorILNS1_17partition_subalgoE5ElNS0_10empty_typeEbEEZZNS1_14partition_implILS5_5ELb0ES3_mN6hipcub16HIPCUB_304000_NS21CountingInputIteratorIllEEPS6_NSA_22TransformInputIteratorIb7NonZeroIsEPslEENS0_5tupleIJPlS6_EEENSJ_IJSD_SD_EEES6_SK_JS6_EEE10hipError_tPvRmT3_T4_T5_T6_T7_T9_mT8_P12ihipStream_tbDpT10_ENKUlT_T0_E_clISt17integral_constantIbLb1EES16_EEDaS11_S12_EUlS11_E_NS1_11comp_targetILNS1_3genE0ELNS1_11target_archE4294967295ELNS1_3gpuE0ELNS1_3repE0EEENS1_30default_config_static_selectorELNS0_4arch9wavefront6targetE1EEEvT1_.kd
    .uniform_work_group_size: 1
    .uses_dynamic_stack: false
    .vgpr_count:     0
    .vgpr_spill_count: 0
    .wavefront_size: 64
  - .args:
      - .offset:         0
        .size:           136
        .value_kind:     by_value
    .group_segment_fixed_size: 0
    .kernarg_segment_align: 8
    .kernarg_segment_size: 136
    .language:       OpenCL C
    .language_version:
      - 2
      - 0
    .max_flat_workgroup_size: 512
    .name:           _ZN7rocprim17ROCPRIM_400000_NS6detail17trampoline_kernelINS0_14default_configENS1_25partition_config_selectorILNS1_17partition_subalgoE5ElNS0_10empty_typeEbEEZZNS1_14partition_implILS5_5ELb0ES3_mN6hipcub16HIPCUB_304000_NS21CountingInputIteratorIllEEPS6_NSA_22TransformInputIteratorIb7NonZeroIsEPslEENS0_5tupleIJPlS6_EEENSJ_IJSD_SD_EEES6_SK_JS6_EEE10hipError_tPvRmT3_T4_T5_T6_T7_T9_mT8_P12ihipStream_tbDpT10_ENKUlT_T0_E_clISt17integral_constantIbLb1EES16_EEDaS11_S12_EUlS11_E_NS1_11comp_targetILNS1_3genE5ELNS1_11target_archE942ELNS1_3gpuE9ELNS1_3repE0EEENS1_30default_config_static_selectorELNS0_4arch9wavefront6targetE1EEEvT1_
    .private_segment_fixed_size: 0
    .sgpr_count:     4
    .sgpr_spill_count: 0
    .symbol:         _ZN7rocprim17ROCPRIM_400000_NS6detail17trampoline_kernelINS0_14default_configENS1_25partition_config_selectorILNS1_17partition_subalgoE5ElNS0_10empty_typeEbEEZZNS1_14partition_implILS5_5ELb0ES3_mN6hipcub16HIPCUB_304000_NS21CountingInputIteratorIllEEPS6_NSA_22TransformInputIteratorIb7NonZeroIsEPslEENS0_5tupleIJPlS6_EEENSJ_IJSD_SD_EEES6_SK_JS6_EEE10hipError_tPvRmT3_T4_T5_T6_T7_T9_mT8_P12ihipStream_tbDpT10_ENKUlT_T0_E_clISt17integral_constantIbLb1EES16_EEDaS11_S12_EUlS11_E_NS1_11comp_targetILNS1_3genE5ELNS1_11target_archE942ELNS1_3gpuE9ELNS1_3repE0EEENS1_30default_config_static_selectorELNS0_4arch9wavefront6targetE1EEEvT1_.kd
    .uniform_work_group_size: 1
    .uses_dynamic_stack: false
    .vgpr_count:     0
    .vgpr_spill_count: 0
    .wavefront_size: 64
  - .args:
      - .offset:         0
        .size:           136
        .value_kind:     by_value
    .group_segment_fixed_size: 0
    .kernarg_segment_align: 8
    .kernarg_segment_size: 136
    .language:       OpenCL C
    .language_version:
      - 2
      - 0
    .max_flat_workgroup_size: 192
    .name:           _ZN7rocprim17ROCPRIM_400000_NS6detail17trampoline_kernelINS0_14default_configENS1_25partition_config_selectorILNS1_17partition_subalgoE5ElNS0_10empty_typeEbEEZZNS1_14partition_implILS5_5ELb0ES3_mN6hipcub16HIPCUB_304000_NS21CountingInputIteratorIllEEPS6_NSA_22TransformInputIteratorIb7NonZeroIsEPslEENS0_5tupleIJPlS6_EEENSJ_IJSD_SD_EEES6_SK_JS6_EEE10hipError_tPvRmT3_T4_T5_T6_T7_T9_mT8_P12ihipStream_tbDpT10_ENKUlT_T0_E_clISt17integral_constantIbLb1EES16_EEDaS11_S12_EUlS11_E_NS1_11comp_targetILNS1_3genE4ELNS1_11target_archE910ELNS1_3gpuE8ELNS1_3repE0EEENS1_30default_config_static_selectorELNS0_4arch9wavefront6targetE1EEEvT1_
    .private_segment_fixed_size: 0
    .sgpr_count:     4
    .sgpr_spill_count: 0
    .symbol:         _ZN7rocprim17ROCPRIM_400000_NS6detail17trampoline_kernelINS0_14default_configENS1_25partition_config_selectorILNS1_17partition_subalgoE5ElNS0_10empty_typeEbEEZZNS1_14partition_implILS5_5ELb0ES3_mN6hipcub16HIPCUB_304000_NS21CountingInputIteratorIllEEPS6_NSA_22TransformInputIteratorIb7NonZeroIsEPslEENS0_5tupleIJPlS6_EEENSJ_IJSD_SD_EEES6_SK_JS6_EEE10hipError_tPvRmT3_T4_T5_T6_T7_T9_mT8_P12ihipStream_tbDpT10_ENKUlT_T0_E_clISt17integral_constantIbLb1EES16_EEDaS11_S12_EUlS11_E_NS1_11comp_targetILNS1_3genE4ELNS1_11target_archE910ELNS1_3gpuE8ELNS1_3repE0EEENS1_30default_config_static_selectorELNS0_4arch9wavefront6targetE1EEEvT1_.kd
    .uniform_work_group_size: 1
    .uses_dynamic_stack: false
    .vgpr_count:     0
    .vgpr_spill_count: 0
    .wavefront_size: 64
  - .args:
      - .offset:         0
        .size:           136
        .value_kind:     by_value
    .group_segment_fixed_size: 0
    .kernarg_segment_align: 8
    .kernarg_segment_size: 136
    .language:       OpenCL C
    .language_version:
      - 2
      - 0
    .max_flat_workgroup_size: 128
    .name:           _ZN7rocprim17ROCPRIM_400000_NS6detail17trampoline_kernelINS0_14default_configENS1_25partition_config_selectorILNS1_17partition_subalgoE5ElNS0_10empty_typeEbEEZZNS1_14partition_implILS5_5ELb0ES3_mN6hipcub16HIPCUB_304000_NS21CountingInputIteratorIllEEPS6_NSA_22TransformInputIteratorIb7NonZeroIsEPslEENS0_5tupleIJPlS6_EEENSJ_IJSD_SD_EEES6_SK_JS6_EEE10hipError_tPvRmT3_T4_T5_T6_T7_T9_mT8_P12ihipStream_tbDpT10_ENKUlT_T0_E_clISt17integral_constantIbLb1EES16_EEDaS11_S12_EUlS11_E_NS1_11comp_targetILNS1_3genE3ELNS1_11target_archE908ELNS1_3gpuE7ELNS1_3repE0EEENS1_30default_config_static_selectorELNS0_4arch9wavefront6targetE1EEEvT1_
    .private_segment_fixed_size: 0
    .sgpr_count:     4
    .sgpr_spill_count: 0
    .symbol:         _ZN7rocprim17ROCPRIM_400000_NS6detail17trampoline_kernelINS0_14default_configENS1_25partition_config_selectorILNS1_17partition_subalgoE5ElNS0_10empty_typeEbEEZZNS1_14partition_implILS5_5ELb0ES3_mN6hipcub16HIPCUB_304000_NS21CountingInputIteratorIllEEPS6_NSA_22TransformInputIteratorIb7NonZeroIsEPslEENS0_5tupleIJPlS6_EEENSJ_IJSD_SD_EEES6_SK_JS6_EEE10hipError_tPvRmT3_T4_T5_T6_T7_T9_mT8_P12ihipStream_tbDpT10_ENKUlT_T0_E_clISt17integral_constantIbLb1EES16_EEDaS11_S12_EUlS11_E_NS1_11comp_targetILNS1_3genE3ELNS1_11target_archE908ELNS1_3gpuE7ELNS1_3repE0EEENS1_30default_config_static_selectorELNS0_4arch9wavefront6targetE1EEEvT1_.kd
    .uniform_work_group_size: 1
    .uses_dynamic_stack: false
    .vgpr_count:     0
    .vgpr_spill_count: 0
    .wavefront_size: 64
  - .args:
      - .offset:         0
        .size:           136
        .value_kind:     by_value
    .group_segment_fixed_size: 0
    .kernarg_segment_align: 8
    .kernarg_segment_size: 136
    .language:       OpenCL C
    .language_version:
      - 2
      - 0
    .max_flat_workgroup_size: 256
    .name:           _ZN7rocprim17ROCPRIM_400000_NS6detail17trampoline_kernelINS0_14default_configENS1_25partition_config_selectorILNS1_17partition_subalgoE5ElNS0_10empty_typeEbEEZZNS1_14partition_implILS5_5ELb0ES3_mN6hipcub16HIPCUB_304000_NS21CountingInputIteratorIllEEPS6_NSA_22TransformInputIteratorIb7NonZeroIsEPslEENS0_5tupleIJPlS6_EEENSJ_IJSD_SD_EEES6_SK_JS6_EEE10hipError_tPvRmT3_T4_T5_T6_T7_T9_mT8_P12ihipStream_tbDpT10_ENKUlT_T0_E_clISt17integral_constantIbLb1EES16_EEDaS11_S12_EUlS11_E_NS1_11comp_targetILNS1_3genE2ELNS1_11target_archE906ELNS1_3gpuE6ELNS1_3repE0EEENS1_30default_config_static_selectorELNS0_4arch9wavefront6targetE1EEEvT1_
    .private_segment_fixed_size: 0
    .sgpr_count:     4
    .sgpr_spill_count: 0
    .symbol:         _ZN7rocprim17ROCPRIM_400000_NS6detail17trampoline_kernelINS0_14default_configENS1_25partition_config_selectorILNS1_17partition_subalgoE5ElNS0_10empty_typeEbEEZZNS1_14partition_implILS5_5ELb0ES3_mN6hipcub16HIPCUB_304000_NS21CountingInputIteratorIllEEPS6_NSA_22TransformInputIteratorIb7NonZeroIsEPslEENS0_5tupleIJPlS6_EEENSJ_IJSD_SD_EEES6_SK_JS6_EEE10hipError_tPvRmT3_T4_T5_T6_T7_T9_mT8_P12ihipStream_tbDpT10_ENKUlT_T0_E_clISt17integral_constantIbLb1EES16_EEDaS11_S12_EUlS11_E_NS1_11comp_targetILNS1_3genE2ELNS1_11target_archE906ELNS1_3gpuE6ELNS1_3repE0EEENS1_30default_config_static_selectorELNS0_4arch9wavefront6targetE1EEEvT1_.kd
    .uniform_work_group_size: 1
    .uses_dynamic_stack: false
    .vgpr_count:     0
    .vgpr_spill_count: 0
    .wavefront_size: 64
  - .args:
      - .offset:         0
        .size:           136
        .value_kind:     by_value
    .group_segment_fixed_size: 0
    .kernarg_segment_align: 8
    .kernarg_segment_size: 136
    .language:       OpenCL C
    .language_version:
      - 2
      - 0
    .max_flat_workgroup_size: 256
    .name:           _ZN7rocprim17ROCPRIM_400000_NS6detail17trampoline_kernelINS0_14default_configENS1_25partition_config_selectorILNS1_17partition_subalgoE5ElNS0_10empty_typeEbEEZZNS1_14partition_implILS5_5ELb0ES3_mN6hipcub16HIPCUB_304000_NS21CountingInputIteratorIllEEPS6_NSA_22TransformInputIteratorIb7NonZeroIsEPslEENS0_5tupleIJPlS6_EEENSJ_IJSD_SD_EEES6_SK_JS6_EEE10hipError_tPvRmT3_T4_T5_T6_T7_T9_mT8_P12ihipStream_tbDpT10_ENKUlT_T0_E_clISt17integral_constantIbLb1EES16_EEDaS11_S12_EUlS11_E_NS1_11comp_targetILNS1_3genE10ELNS1_11target_archE1200ELNS1_3gpuE4ELNS1_3repE0EEENS1_30default_config_static_selectorELNS0_4arch9wavefront6targetE1EEEvT1_
    .private_segment_fixed_size: 0
    .sgpr_count:     4
    .sgpr_spill_count: 0
    .symbol:         _ZN7rocprim17ROCPRIM_400000_NS6detail17trampoline_kernelINS0_14default_configENS1_25partition_config_selectorILNS1_17partition_subalgoE5ElNS0_10empty_typeEbEEZZNS1_14partition_implILS5_5ELb0ES3_mN6hipcub16HIPCUB_304000_NS21CountingInputIteratorIllEEPS6_NSA_22TransformInputIteratorIb7NonZeroIsEPslEENS0_5tupleIJPlS6_EEENSJ_IJSD_SD_EEES6_SK_JS6_EEE10hipError_tPvRmT3_T4_T5_T6_T7_T9_mT8_P12ihipStream_tbDpT10_ENKUlT_T0_E_clISt17integral_constantIbLb1EES16_EEDaS11_S12_EUlS11_E_NS1_11comp_targetILNS1_3genE10ELNS1_11target_archE1200ELNS1_3gpuE4ELNS1_3repE0EEENS1_30default_config_static_selectorELNS0_4arch9wavefront6targetE1EEEvT1_.kd
    .uniform_work_group_size: 1
    .uses_dynamic_stack: false
    .vgpr_count:     0
    .vgpr_spill_count: 0
    .wavefront_size: 64
  - .args:
      - .offset:         0
        .size:           136
        .value_kind:     by_value
    .group_segment_fixed_size: 0
    .kernarg_segment_align: 8
    .kernarg_segment_size: 136
    .language:       OpenCL C
    .language_version:
      - 2
      - 0
    .max_flat_workgroup_size: 128
    .name:           _ZN7rocprim17ROCPRIM_400000_NS6detail17trampoline_kernelINS0_14default_configENS1_25partition_config_selectorILNS1_17partition_subalgoE5ElNS0_10empty_typeEbEEZZNS1_14partition_implILS5_5ELb0ES3_mN6hipcub16HIPCUB_304000_NS21CountingInputIteratorIllEEPS6_NSA_22TransformInputIteratorIb7NonZeroIsEPslEENS0_5tupleIJPlS6_EEENSJ_IJSD_SD_EEES6_SK_JS6_EEE10hipError_tPvRmT3_T4_T5_T6_T7_T9_mT8_P12ihipStream_tbDpT10_ENKUlT_T0_E_clISt17integral_constantIbLb1EES16_EEDaS11_S12_EUlS11_E_NS1_11comp_targetILNS1_3genE9ELNS1_11target_archE1100ELNS1_3gpuE3ELNS1_3repE0EEENS1_30default_config_static_selectorELNS0_4arch9wavefront6targetE1EEEvT1_
    .private_segment_fixed_size: 0
    .sgpr_count:     4
    .sgpr_spill_count: 0
    .symbol:         _ZN7rocprim17ROCPRIM_400000_NS6detail17trampoline_kernelINS0_14default_configENS1_25partition_config_selectorILNS1_17partition_subalgoE5ElNS0_10empty_typeEbEEZZNS1_14partition_implILS5_5ELb0ES3_mN6hipcub16HIPCUB_304000_NS21CountingInputIteratorIllEEPS6_NSA_22TransformInputIteratorIb7NonZeroIsEPslEENS0_5tupleIJPlS6_EEENSJ_IJSD_SD_EEES6_SK_JS6_EEE10hipError_tPvRmT3_T4_T5_T6_T7_T9_mT8_P12ihipStream_tbDpT10_ENKUlT_T0_E_clISt17integral_constantIbLb1EES16_EEDaS11_S12_EUlS11_E_NS1_11comp_targetILNS1_3genE9ELNS1_11target_archE1100ELNS1_3gpuE3ELNS1_3repE0EEENS1_30default_config_static_selectorELNS0_4arch9wavefront6targetE1EEEvT1_.kd
    .uniform_work_group_size: 1
    .uses_dynamic_stack: false
    .vgpr_count:     0
    .vgpr_spill_count: 0
    .wavefront_size: 64
  - .args:
      - .offset:         0
        .size:           136
        .value_kind:     by_value
    .group_segment_fixed_size: 0
    .kernarg_segment_align: 8
    .kernarg_segment_size: 136
    .language:       OpenCL C
    .language_version:
      - 2
      - 0
    .max_flat_workgroup_size: 512
    .name:           _ZN7rocprim17ROCPRIM_400000_NS6detail17trampoline_kernelINS0_14default_configENS1_25partition_config_selectorILNS1_17partition_subalgoE5ElNS0_10empty_typeEbEEZZNS1_14partition_implILS5_5ELb0ES3_mN6hipcub16HIPCUB_304000_NS21CountingInputIteratorIllEEPS6_NSA_22TransformInputIteratorIb7NonZeroIsEPslEENS0_5tupleIJPlS6_EEENSJ_IJSD_SD_EEES6_SK_JS6_EEE10hipError_tPvRmT3_T4_T5_T6_T7_T9_mT8_P12ihipStream_tbDpT10_ENKUlT_T0_E_clISt17integral_constantIbLb1EES16_EEDaS11_S12_EUlS11_E_NS1_11comp_targetILNS1_3genE8ELNS1_11target_archE1030ELNS1_3gpuE2ELNS1_3repE0EEENS1_30default_config_static_selectorELNS0_4arch9wavefront6targetE1EEEvT1_
    .private_segment_fixed_size: 0
    .sgpr_count:     4
    .sgpr_spill_count: 0
    .symbol:         _ZN7rocprim17ROCPRIM_400000_NS6detail17trampoline_kernelINS0_14default_configENS1_25partition_config_selectorILNS1_17partition_subalgoE5ElNS0_10empty_typeEbEEZZNS1_14partition_implILS5_5ELb0ES3_mN6hipcub16HIPCUB_304000_NS21CountingInputIteratorIllEEPS6_NSA_22TransformInputIteratorIb7NonZeroIsEPslEENS0_5tupleIJPlS6_EEENSJ_IJSD_SD_EEES6_SK_JS6_EEE10hipError_tPvRmT3_T4_T5_T6_T7_T9_mT8_P12ihipStream_tbDpT10_ENKUlT_T0_E_clISt17integral_constantIbLb1EES16_EEDaS11_S12_EUlS11_E_NS1_11comp_targetILNS1_3genE8ELNS1_11target_archE1030ELNS1_3gpuE2ELNS1_3repE0EEENS1_30default_config_static_selectorELNS0_4arch9wavefront6targetE1EEEvT1_.kd
    .uniform_work_group_size: 1
    .uses_dynamic_stack: false
    .vgpr_count:     0
    .vgpr_spill_count: 0
    .wavefront_size: 64
  - .args:
      - .offset:         0
        .size:           120
        .value_kind:     by_value
    .group_segment_fixed_size: 0
    .kernarg_segment_align: 8
    .kernarg_segment_size: 120
    .language:       OpenCL C
    .language_version:
      - 2
      - 0
    .max_flat_workgroup_size: 128
    .name:           _ZN7rocprim17ROCPRIM_400000_NS6detail17trampoline_kernelINS0_14default_configENS1_25partition_config_selectorILNS1_17partition_subalgoE5ElNS0_10empty_typeEbEEZZNS1_14partition_implILS5_5ELb0ES3_mN6hipcub16HIPCUB_304000_NS21CountingInputIteratorIllEEPS6_NSA_22TransformInputIteratorIb7NonZeroIsEPslEENS0_5tupleIJPlS6_EEENSJ_IJSD_SD_EEES6_SK_JS6_EEE10hipError_tPvRmT3_T4_T5_T6_T7_T9_mT8_P12ihipStream_tbDpT10_ENKUlT_T0_E_clISt17integral_constantIbLb1EES15_IbLb0EEEEDaS11_S12_EUlS11_E_NS1_11comp_targetILNS1_3genE0ELNS1_11target_archE4294967295ELNS1_3gpuE0ELNS1_3repE0EEENS1_30default_config_static_selectorELNS0_4arch9wavefront6targetE1EEEvT1_
    .private_segment_fixed_size: 0
    .sgpr_count:     4
    .sgpr_spill_count: 0
    .symbol:         _ZN7rocprim17ROCPRIM_400000_NS6detail17trampoline_kernelINS0_14default_configENS1_25partition_config_selectorILNS1_17partition_subalgoE5ElNS0_10empty_typeEbEEZZNS1_14partition_implILS5_5ELb0ES3_mN6hipcub16HIPCUB_304000_NS21CountingInputIteratorIllEEPS6_NSA_22TransformInputIteratorIb7NonZeroIsEPslEENS0_5tupleIJPlS6_EEENSJ_IJSD_SD_EEES6_SK_JS6_EEE10hipError_tPvRmT3_T4_T5_T6_T7_T9_mT8_P12ihipStream_tbDpT10_ENKUlT_T0_E_clISt17integral_constantIbLb1EES15_IbLb0EEEEDaS11_S12_EUlS11_E_NS1_11comp_targetILNS1_3genE0ELNS1_11target_archE4294967295ELNS1_3gpuE0ELNS1_3repE0EEENS1_30default_config_static_selectorELNS0_4arch9wavefront6targetE1EEEvT1_.kd
    .uniform_work_group_size: 1
    .uses_dynamic_stack: false
    .vgpr_count:     0
    .vgpr_spill_count: 0
    .wavefront_size: 64
  - .args:
      - .offset:         0
        .size:           120
        .value_kind:     by_value
    .group_segment_fixed_size: 0
    .kernarg_segment_align: 8
    .kernarg_segment_size: 120
    .language:       OpenCL C
    .language_version:
      - 2
      - 0
    .max_flat_workgroup_size: 512
    .name:           _ZN7rocprim17ROCPRIM_400000_NS6detail17trampoline_kernelINS0_14default_configENS1_25partition_config_selectorILNS1_17partition_subalgoE5ElNS0_10empty_typeEbEEZZNS1_14partition_implILS5_5ELb0ES3_mN6hipcub16HIPCUB_304000_NS21CountingInputIteratorIllEEPS6_NSA_22TransformInputIteratorIb7NonZeroIsEPslEENS0_5tupleIJPlS6_EEENSJ_IJSD_SD_EEES6_SK_JS6_EEE10hipError_tPvRmT3_T4_T5_T6_T7_T9_mT8_P12ihipStream_tbDpT10_ENKUlT_T0_E_clISt17integral_constantIbLb1EES15_IbLb0EEEEDaS11_S12_EUlS11_E_NS1_11comp_targetILNS1_3genE5ELNS1_11target_archE942ELNS1_3gpuE9ELNS1_3repE0EEENS1_30default_config_static_selectorELNS0_4arch9wavefront6targetE1EEEvT1_
    .private_segment_fixed_size: 0
    .sgpr_count:     4
    .sgpr_spill_count: 0
    .symbol:         _ZN7rocprim17ROCPRIM_400000_NS6detail17trampoline_kernelINS0_14default_configENS1_25partition_config_selectorILNS1_17partition_subalgoE5ElNS0_10empty_typeEbEEZZNS1_14partition_implILS5_5ELb0ES3_mN6hipcub16HIPCUB_304000_NS21CountingInputIteratorIllEEPS6_NSA_22TransformInputIteratorIb7NonZeroIsEPslEENS0_5tupleIJPlS6_EEENSJ_IJSD_SD_EEES6_SK_JS6_EEE10hipError_tPvRmT3_T4_T5_T6_T7_T9_mT8_P12ihipStream_tbDpT10_ENKUlT_T0_E_clISt17integral_constantIbLb1EES15_IbLb0EEEEDaS11_S12_EUlS11_E_NS1_11comp_targetILNS1_3genE5ELNS1_11target_archE942ELNS1_3gpuE9ELNS1_3repE0EEENS1_30default_config_static_selectorELNS0_4arch9wavefront6targetE1EEEvT1_.kd
    .uniform_work_group_size: 1
    .uses_dynamic_stack: false
    .vgpr_count:     0
    .vgpr_spill_count: 0
    .wavefront_size: 64
  - .args:
      - .offset:         0
        .size:           120
        .value_kind:     by_value
    .group_segment_fixed_size: 0
    .kernarg_segment_align: 8
    .kernarg_segment_size: 120
    .language:       OpenCL C
    .language_version:
      - 2
      - 0
    .max_flat_workgroup_size: 192
    .name:           _ZN7rocprim17ROCPRIM_400000_NS6detail17trampoline_kernelINS0_14default_configENS1_25partition_config_selectorILNS1_17partition_subalgoE5ElNS0_10empty_typeEbEEZZNS1_14partition_implILS5_5ELb0ES3_mN6hipcub16HIPCUB_304000_NS21CountingInputIteratorIllEEPS6_NSA_22TransformInputIteratorIb7NonZeroIsEPslEENS0_5tupleIJPlS6_EEENSJ_IJSD_SD_EEES6_SK_JS6_EEE10hipError_tPvRmT3_T4_T5_T6_T7_T9_mT8_P12ihipStream_tbDpT10_ENKUlT_T0_E_clISt17integral_constantIbLb1EES15_IbLb0EEEEDaS11_S12_EUlS11_E_NS1_11comp_targetILNS1_3genE4ELNS1_11target_archE910ELNS1_3gpuE8ELNS1_3repE0EEENS1_30default_config_static_selectorELNS0_4arch9wavefront6targetE1EEEvT1_
    .private_segment_fixed_size: 0
    .sgpr_count:     4
    .sgpr_spill_count: 0
    .symbol:         _ZN7rocprim17ROCPRIM_400000_NS6detail17trampoline_kernelINS0_14default_configENS1_25partition_config_selectorILNS1_17partition_subalgoE5ElNS0_10empty_typeEbEEZZNS1_14partition_implILS5_5ELb0ES3_mN6hipcub16HIPCUB_304000_NS21CountingInputIteratorIllEEPS6_NSA_22TransformInputIteratorIb7NonZeroIsEPslEENS0_5tupleIJPlS6_EEENSJ_IJSD_SD_EEES6_SK_JS6_EEE10hipError_tPvRmT3_T4_T5_T6_T7_T9_mT8_P12ihipStream_tbDpT10_ENKUlT_T0_E_clISt17integral_constantIbLb1EES15_IbLb0EEEEDaS11_S12_EUlS11_E_NS1_11comp_targetILNS1_3genE4ELNS1_11target_archE910ELNS1_3gpuE8ELNS1_3repE0EEENS1_30default_config_static_selectorELNS0_4arch9wavefront6targetE1EEEvT1_.kd
    .uniform_work_group_size: 1
    .uses_dynamic_stack: false
    .vgpr_count:     0
    .vgpr_spill_count: 0
    .wavefront_size: 64
  - .args:
      - .offset:         0
        .size:           120
        .value_kind:     by_value
    .group_segment_fixed_size: 0
    .kernarg_segment_align: 8
    .kernarg_segment_size: 120
    .language:       OpenCL C
    .language_version:
      - 2
      - 0
    .max_flat_workgroup_size: 128
    .name:           _ZN7rocprim17ROCPRIM_400000_NS6detail17trampoline_kernelINS0_14default_configENS1_25partition_config_selectorILNS1_17partition_subalgoE5ElNS0_10empty_typeEbEEZZNS1_14partition_implILS5_5ELb0ES3_mN6hipcub16HIPCUB_304000_NS21CountingInputIteratorIllEEPS6_NSA_22TransformInputIteratorIb7NonZeroIsEPslEENS0_5tupleIJPlS6_EEENSJ_IJSD_SD_EEES6_SK_JS6_EEE10hipError_tPvRmT3_T4_T5_T6_T7_T9_mT8_P12ihipStream_tbDpT10_ENKUlT_T0_E_clISt17integral_constantIbLb1EES15_IbLb0EEEEDaS11_S12_EUlS11_E_NS1_11comp_targetILNS1_3genE3ELNS1_11target_archE908ELNS1_3gpuE7ELNS1_3repE0EEENS1_30default_config_static_selectorELNS0_4arch9wavefront6targetE1EEEvT1_
    .private_segment_fixed_size: 0
    .sgpr_count:     4
    .sgpr_spill_count: 0
    .symbol:         _ZN7rocprim17ROCPRIM_400000_NS6detail17trampoline_kernelINS0_14default_configENS1_25partition_config_selectorILNS1_17partition_subalgoE5ElNS0_10empty_typeEbEEZZNS1_14partition_implILS5_5ELb0ES3_mN6hipcub16HIPCUB_304000_NS21CountingInputIteratorIllEEPS6_NSA_22TransformInputIteratorIb7NonZeroIsEPslEENS0_5tupleIJPlS6_EEENSJ_IJSD_SD_EEES6_SK_JS6_EEE10hipError_tPvRmT3_T4_T5_T6_T7_T9_mT8_P12ihipStream_tbDpT10_ENKUlT_T0_E_clISt17integral_constantIbLb1EES15_IbLb0EEEEDaS11_S12_EUlS11_E_NS1_11comp_targetILNS1_3genE3ELNS1_11target_archE908ELNS1_3gpuE7ELNS1_3repE0EEENS1_30default_config_static_selectorELNS0_4arch9wavefront6targetE1EEEvT1_.kd
    .uniform_work_group_size: 1
    .uses_dynamic_stack: false
    .vgpr_count:     0
    .vgpr_spill_count: 0
    .wavefront_size: 64
  - .args:
      - .offset:         0
        .size:           120
        .value_kind:     by_value
    .group_segment_fixed_size: 0
    .kernarg_segment_align: 8
    .kernarg_segment_size: 120
    .language:       OpenCL C
    .language_version:
      - 2
      - 0
    .max_flat_workgroup_size: 256
    .name:           _ZN7rocprim17ROCPRIM_400000_NS6detail17trampoline_kernelINS0_14default_configENS1_25partition_config_selectorILNS1_17partition_subalgoE5ElNS0_10empty_typeEbEEZZNS1_14partition_implILS5_5ELb0ES3_mN6hipcub16HIPCUB_304000_NS21CountingInputIteratorIllEEPS6_NSA_22TransformInputIteratorIb7NonZeroIsEPslEENS0_5tupleIJPlS6_EEENSJ_IJSD_SD_EEES6_SK_JS6_EEE10hipError_tPvRmT3_T4_T5_T6_T7_T9_mT8_P12ihipStream_tbDpT10_ENKUlT_T0_E_clISt17integral_constantIbLb1EES15_IbLb0EEEEDaS11_S12_EUlS11_E_NS1_11comp_targetILNS1_3genE2ELNS1_11target_archE906ELNS1_3gpuE6ELNS1_3repE0EEENS1_30default_config_static_selectorELNS0_4arch9wavefront6targetE1EEEvT1_
    .private_segment_fixed_size: 0
    .sgpr_count:     4
    .sgpr_spill_count: 0
    .symbol:         _ZN7rocprim17ROCPRIM_400000_NS6detail17trampoline_kernelINS0_14default_configENS1_25partition_config_selectorILNS1_17partition_subalgoE5ElNS0_10empty_typeEbEEZZNS1_14partition_implILS5_5ELb0ES3_mN6hipcub16HIPCUB_304000_NS21CountingInputIteratorIllEEPS6_NSA_22TransformInputIteratorIb7NonZeroIsEPslEENS0_5tupleIJPlS6_EEENSJ_IJSD_SD_EEES6_SK_JS6_EEE10hipError_tPvRmT3_T4_T5_T6_T7_T9_mT8_P12ihipStream_tbDpT10_ENKUlT_T0_E_clISt17integral_constantIbLb1EES15_IbLb0EEEEDaS11_S12_EUlS11_E_NS1_11comp_targetILNS1_3genE2ELNS1_11target_archE906ELNS1_3gpuE6ELNS1_3repE0EEENS1_30default_config_static_selectorELNS0_4arch9wavefront6targetE1EEEvT1_.kd
    .uniform_work_group_size: 1
    .uses_dynamic_stack: false
    .vgpr_count:     0
    .vgpr_spill_count: 0
    .wavefront_size: 64
  - .args:
      - .offset:         0
        .size:           120
        .value_kind:     by_value
    .group_segment_fixed_size: 0
    .kernarg_segment_align: 8
    .kernarg_segment_size: 120
    .language:       OpenCL C
    .language_version:
      - 2
      - 0
    .max_flat_workgroup_size: 256
    .name:           _ZN7rocprim17ROCPRIM_400000_NS6detail17trampoline_kernelINS0_14default_configENS1_25partition_config_selectorILNS1_17partition_subalgoE5ElNS0_10empty_typeEbEEZZNS1_14partition_implILS5_5ELb0ES3_mN6hipcub16HIPCUB_304000_NS21CountingInputIteratorIllEEPS6_NSA_22TransformInputIteratorIb7NonZeroIsEPslEENS0_5tupleIJPlS6_EEENSJ_IJSD_SD_EEES6_SK_JS6_EEE10hipError_tPvRmT3_T4_T5_T6_T7_T9_mT8_P12ihipStream_tbDpT10_ENKUlT_T0_E_clISt17integral_constantIbLb1EES15_IbLb0EEEEDaS11_S12_EUlS11_E_NS1_11comp_targetILNS1_3genE10ELNS1_11target_archE1200ELNS1_3gpuE4ELNS1_3repE0EEENS1_30default_config_static_selectorELNS0_4arch9wavefront6targetE1EEEvT1_
    .private_segment_fixed_size: 0
    .sgpr_count:     4
    .sgpr_spill_count: 0
    .symbol:         _ZN7rocprim17ROCPRIM_400000_NS6detail17trampoline_kernelINS0_14default_configENS1_25partition_config_selectorILNS1_17partition_subalgoE5ElNS0_10empty_typeEbEEZZNS1_14partition_implILS5_5ELb0ES3_mN6hipcub16HIPCUB_304000_NS21CountingInputIteratorIllEEPS6_NSA_22TransformInputIteratorIb7NonZeroIsEPslEENS0_5tupleIJPlS6_EEENSJ_IJSD_SD_EEES6_SK_JS6_EEE10hipError_tPvRmT3_T4_T5_T6_T7_T9_mT8_P12ihipStream_tbDpT10_ENKUlT_T0_E_clISt17integral_constantIbLb1EES15_IbLb0EEEEDaS11_S12_EUlS11_E_NS1_11comp_targetILNS1_3genE10ELNS1_11target_archE1200ELNS1_3gpuE4ELNS1_3repE0EEENS1_30default_config_static_selectorELNS0_4arch9wavefront6targetE1EEEvT1_.kd
    .uniform_work_group_size: 1
    .uses_dynamic_stack: false
    .vgpr_count:     0
    .vgpr_spill_count: 0
    .wavefront_size: 64
  - .args:
      - .offset:         0
        .size:           120
        .value_kind:     by_value
    .group_segment_fixed_size: 0
    .kernarg_segment_align: 8
    .kernarg_segment_size: 120
    .language:       OpenCL C
    .language_version:
      - 2
      - 0
    .max_flat_workgroup_size: 128
    .name:           _ZN7rocprim17ROCPRIM_400000_NS6detail17trampoline_kernelINS0_14default_configENS1_25partition_config_selectorILNS1_17partition_subalgoE5ElNS0_10empty_typeEbEEZZNS1_14partition_implILS5_5ELb0ES3_mN6hipcub16HIPCUB_304000_NS21CountingInputIteratorIllEEPS6_NSA_22TransformInputIteratorIb7NonZeroIsEPslEENS0_5tupleIJPlS6_EEENSJ_IJSD_SD_EEES6_SK_JS6_EEE10hipError_tPvRmT3_T4_T5_T6_T7_T9_mT8_P12ihipStream_tbDpT10_ENKUlT_T0_E_clISt17integral_constantIbLb1EES15_IbLb0EEEEDaS11_S12_EUlS11_E_NS1_11comp_targetILNS1_3genE9ELNS1_11target_archE1100ELNS1_3gpuE3ELNS1_3repE0EEENS1_30default_config_static_selectorELNS0_4arch9wavefront6targetE1EEEvT1_
    .private_segment_fixed_size: 0
    .sgpr_count:     4
    .sgpr_spill_count: 0
    .symbol:         _ZN7rocprim17ROCPRIM_400000_NS6detail17trampoline_kernelINS0_14default_configENS1_25partition_config_selectorILNS1_17partition_subalgoE5ElNS0_10empty_typeEbEEZZNS1_14partition_implILS5_5ELb0ES3_mN6hipcub16HIPCUB_304000_NS21CountingInputIteratorIllEEPS6_NSA_22TransformInputIteratorIb7NonZeroIsEPslEENS0_5tupleIJPlS6_EEENSJ_IJSD_SD_EEES6_SK_JS6_EEE10hipError_tPvRmT3_T4_T5_T6_T7_T9_mT8_P12ihipStream_tbDpT10_ENKUlT_T0_E_clISt17integral_constantIbLb1EES15_IbLb0EEEEDaS11_S12_EUlS11_E_NS1_11comp_targetILNS1_3genE9ELNS1_11target_archE1100ELNS1_3gpuE3ELNS1_3repE0EEENS1_30default_config_static_selectorELNS0_4arch9wavefront6targetE1EEEvT1_.kd
    .uniform_work_group_size: 1
    .uses_dynamic_stack: false
    .vgpr_count:     0
    .vgpr_spill_count: 0
    .wavefront_size: 64
  - .args:
      - .offset:         0
        .size:           120
        .value_kind:     by_value
    .group_segment_fixed_size: 0
    .kernarg_segment_align: 8
    .kernarg_segment_size: 120
    .language:       OpenCL C
    .language_version:
      - 2
      - 0
    .max_flat_workgroup_size: 512
    .name:           _ZN7rocprim17ROCPRIM_400000_NS6detail17trampoline_kernelINS0_14default_configENS1_25partition_config_selectorILNS1_17partition_subalgoE5ElNS0_10empty_typeEbEEZZNS1_14partition_implILS5_5ELb0ES3_mN6hipcub16HIPCUB_304000_NS21CountingInputIteratorIllEEPS6_NSA_22TransformInputIteratorIb7NonZeroIsEPslEENS0_5tupleIJPlS6_EEENSJ_IJSD_SD_EEES6_SK_JS6_EEE10hipError_tPvRmT3_T4_T5_T6_T7_T9_mT8_P12ihipStream_tbDpT10_ENKUlT_T0_E_clISt17integral_constantIbLb1EES15_IbLb0EEEEDaS11_S12_EUlS11_E_NS1_11comp_targetILNS1_3genE8ELNS1_11target_archE1030ELNS1_3gpuE2ELNS1_3repE0EEENS1_30default_config_static_selectorELNS0_4arch9wavefront6targetE1EEEvT1_
    .private_segment_fixed_size: 0
    .sgpr_count:     4
    .sgpr_spill_count: 0
    .symbol:         _ZN7rocprim17ROCPRIM_400000_NS6detail17trampoline_kernelINS0_14default_configENS1_25partition_config_selectorILNS1_17partition_subalgoE5ElNS0_10empty_typeEbEEZZNS1_14partition_implILS5_5ELb0ES3_mN6hipcub16HIPCUB_304000_NS21CountingInputIteratorIllEEPS6_NSA_22TransformInputIteratorIb7NonZeroIsEPslEENS0_5tupleIJPlS6_EEENSJ_IJSD_SD_EEES6_SK_JS6_EEE10hipError_tPvRmT3_T4_T5_T6_T7_T9_mT8_P12ihipStream_tbDpT10_ENKUlT_T0_E_clISt17integral_constantIbLb1EES15_IbLb0EEEEDaS11_S12_EUlS11_E_NS1_11comp_targetILNS1_3genE8ELNS1_11target_archE1030ELNS1_3gpuE2ELNS1_3repE0EEENS1_30default_config_static_selectorELNS0_4arch9wavefront6targetE1EEEvT1_.kd
    .uniform_work_group_size: 1
    .uses_dynamic_stack: false
    .vgpr_count:     0
    .vgpr_spill_count: 0
    .wavefront_size: 64
  - .args:
      - .offset:         0
        .size:           136
        .value_kind:     by_value
    .group_segment_fixed_size: 0
    .kernarg_segment_align: 8
    .kernarg_segment_size: 136
    .language:       OpenCL C
    .language_version:
      - 2
      - 0
    .max_flat_workgroup_size: 128
    .name:           _ZN7rocprim17ROCPRIM_400000_NS6detail17trampoline_kernelINS0_14default_configENS1_25partition_config_selectorILNS1_17partition_subalgoE5ElNS0_10empty_typeEbEEZZNS1_14partition_implILS5_5ELb0ES3_mN6hipcub16HIPCUB_304000_NS21CountingInputIteratorIllEEPS6_NSA_22TransformInputIteratorIb7NonZeroIsEPslEENS0_5tupleIJPlS6_EEENSJ_IJSD_SD_EEES6_SK_JS6_EEE10hipError_tPvRmT3_T4_T5_T6_T7_T9_mT8_P12ihipStream_tbDpT10_ENKUlT_T0_E_clISt17integral_constantIbLb0EES15_IbLb1EEEEDaS11_S12_EUlS11_E_NS1_11comp_targetILNS1_3genE0ELNS1_11target_archE4294967295ELNS1_3gpuE0ELNS1_3repE0EEENS1_30default_config_static_selectorELNS0_4arch9wavefront6targetE1EEEvT1_
    .private_segment_fixed_size: 0
    .sgpr_count:     4
    .sgpr_spill_count: 0
    .symbol:         _ZN7rocprim17ROCPRIM_400000_NS6detail17trampoline_kernelINS0_14default_configENS1_25partition_config_selectorILNS1_17partition_subalgoE5ElNS0_10empty_typeEbEEZZNS1_14partition_implILS5_5ELb0ES3_mN6hipcub16HIPCUB_304000_NS21CountingInputIteratorIllEEPS6_NSA_22TransformInputIteratorIb7NonZeroIsEPslEENS0_5tupleIJPlS6_EEENSJ_IJSD_SD_EEES6_SK_JS6_EEE10hipError_tPvRmT3_T4_T5_T6_T7_T9_mT8_P12ihipStream_tbDpT10_ENKUlT_T0_E_clISt17integral_constantIbLb0EES15_IbLb1EEEEDaS11_S12_EUlS11_E_NS1_11comp_targetILNS1_3genE0ELNS1_11target_archE4294967295ELNS1_3gpuE0ELNS1_3repE0EEENS1_30default_config_static_selectorELNS0_4arch9wavefront6targetE1EEEvT1_.kd
    .uniform_work_group_size: 1
    .uses_dynamic_stack: false
    .vgpr_count:     0
    .vgpr_spill_count: 0
    .wavefront_size: 64
  - .args:
      - .offset:         0
        .size:           136
        .value_kind:     by_value
    .group_segment_fixed_size: 0
    .kernarg_segment_align: 8
    .kernarg_segment_size: 136
    .language:       OpenCL C
    .language_version:
      - 2
      - 0
    .max_flat_workgroup_size: 512
    .name:           _ZN7rocprim17ROCPRIM_400000_NS6detail17trampoline_kernelINS0_14default_configENS1_25partition_config_selectorILNS1_17partition_subalgoE5ElNS0_10empty_typeEbEEZZNS1_14partition_implILS5_5ELb0ES3_mN6hipcub16HIPCUB_304000_NS21CountingInputIteratorIllEEPS6_NSA_22TransformInputIteratorIb7NonZeroIsEPslEENS0_5tupleIJPlS6_EEENSJ_IJSD_SD_EEES6_SK_JS6_EEE10hipError_tPvRmT3_T4_T5_T6_T7_T9_mT8_P12ihipStream_tbDpT10_ENKUlT_T0_E_clISt17integral_constantIbLb0EES15_IbLb1EEEEDaS11_S12_EUlS11_E_NS1_11comp_targetILNS1_3genE5ELNS1_11target_archE942ELNS1_3gpuE9ELNS1_3repE0EEENS1_30default_config_static_selectorELNS0_4arch9wavefront6targetE1EEEvT1_
    .private_segment_fixed_size: 0
    .sgpr_count:     4
    .sgpr_spill_count: 0
    .symbol:         _ZN7rocprim17ROCPRIM_400000_NS6detail17trampoline_kernelINS0_14default_configENS1_25partition_config_selectorILNS1_17partition_subalgoE5ElNS0_10empty_typeEbEEZZNS1_14partition_implILS5_5ELb0ES3_mN6hipcub16HIPCUB_304000_NS21CountingInputIteratorIllEEPS6_NSA_22TransformInputIteratorIb7NonZeroIsEPslEENS0_5tupleIJPlS6_EEENSJ_IJSD_SD_EEES6_SK_JS6_EEE10hipError_tPvRmT3_T4_T5_T6_T7_T9_mT8_P12ihipStream_tbDpT10_ENKUlT_T0_E_clISt17integral_constantIbLb0EES15_IbLb1EEEEDaS11_S12_EUlS11_E_NS1_11comp_targetILNS1_3genE5ELNS1_11target_archE942ELNS1_3gpuE9ELNS1_3repE0EEENS1_30default_config_static_selectorELNS0_4arch9wavefront6targetE1EEEvT1_.kd
    .uniform_work_group_size: 1
    .uses_dynamic_stack: false
    .vgpr_count:     0
    .vgpr_spill_count: 0
    .wavefront_size: 64
  - .args:
      - .offset:         0
        .size:           136
        .value_kind:     by_value
    .group_segment_fixed_size: 0
    .kernarg_segment_align: 8
    .kernarg_segment_size: 136
    .language:       OpenCL C
    .language_version:
      - 2
      - 0
    .max_flat_workgroup_size: 192
    .name:           _ZN7rocprim17ROCPRIM_400000_NS6detail17trampoline_kernelINS0_14default_configENS1_25partition_config_selectorILNS1_17partition_subalgoE5ElNS0_10empty_typeEbEEZZNS1_14partition_implILS5_5ELb0ES3_mN6hipcub16HIPCUB_304000_NS21CountingInputIteratorIllEEPS6_NSA_22TransformInputIteratorIb7NonZeroIsEPslEENS0_5tupleIJPlS6_EEENSJ_IJSD_SD_EEES6_SK_JS6_EEE10hipError_tPvRmT3_T4_T5_T6_T7_T9_mT8_P12ihipStream_tbDpT10_ENKUlT_T0_E_clISt17integral_constantIbLb0EES15_IbLb1EEEEDaS11_S12_EUlS11_E_NS1_11comp_targetILNS1_3genE4ELNS1_11target_archE910ELNS1_3gpuE8ELNS1_3repE0EEENS1_30default_config_static_selectorELNS0_4arch9wavefront6targetE1EEEvT1_
    .private_segment_fixed_size: 0
    .sgpr_count:     4
    .sgpr_spill_count: 0
    .symbol:         _ZN7rocprim17ROCPRIM_400000_NS6detail17trampoline_kernelINS0_14default_configENS1_25partition_config_selectorILNS1_17partition_subalgoE5ElNS0_10empty_typeEbEEZZNS1_14partition_implILS5_5ELb0ES3_mN6hipcub16HIPCUB_304000_NS21CountingInputIteratorIllEEPS6_NSA_22TransformInputIteratorIb7NonZeroIsEPslEENS0_5tupleIJPlS6_EEENSJ_IJSD_SD_EEES6_SK_JS6_EEE10hipError_tPvRmT3_T4_T5_T6_T7_T9_mT8_P12ihipStream_tbDpT10_ENKUlT_T0_E_clISt17integral_constantIbLb0EES15_IbLb1EEEEDaS11_S12_EUlS11_E_NS1_11comp_targetILNS1_3genE4ELNS1_11target_archE910ELNS1_3gpuE8ELNS1_3repE0EEENS1_30default_config_static_selectorELNS0_4arch9wavefront6targetE1EEEvT1_.kd
    .uniform_work_group_size: 1
    .uses_dynamic_stack: false
    .vgpr_count:     0
    .vgpr_spill_count: 0
    .wavefront_size: 64
  - .args:
      - .offset:         0
        .size:           136
        .value_kind:     by_value
    .group_segment_fixed_size: 0
    .kernarg_segment_align: 8
    .kernarg_segment_size: 136
    .language:       OpenCL C
    .language_version:
      - 2
      - 0
    .max_flat_workgroup_size: 128
    .name:           _ZN7rocprim17ROCPRIM_400000_NS6detail17trampoline_kernelINS0_14default_configENS1_25partition_config_selectorILNS1_17partition_subalgoE5ElNS0_10empty_typeEbEEZZNS1_14partition_implILS5_5ELb0ES3_mN6hipcub16HIPCUB_304000_NS21CountingInputIteratorIllEEPS6_NSA_22TransformInputIteratorIb7NonZeroIsEPslEENS0_5tupleIJPlS6_EEENSJ_IJSD_SD_EEES6_SK_JS6_EEE10hipError_tPvRmT3_T4_T5_T6_T7_T9_mT8_P12ihipStream_tbDpT10_ENKUlT_T0_E_clISt17integral_constantIbLb0EES15_IbLb1EEEEDaS11_S12_EUlS11_E_NS1_11comp_targetILNS1_3genE3ELNS1_11target_archE908ELNS1_3gpuE7ELNS1_3repE0EEENS1_30default_config_static_selectorELNS0_4arch9wavefront6targetE1EEEvT1_
    .private_segment_fixed_size: 0
    .sgpr_count:     4
    .sgpr_spill_count: 0
    .symbol:         _ZN7rocprim17ROCPRIM_400000_NS6detail17trampoline_kernelINS0_14default_configENS1_25partition_config_selectorILNS1_17partition_subalgoE5ElNS0_10empty_typeEbEEZZNS1_14partition_implILS5_5ELb0ES3_mN6hipcub16HIPCUB_304000_NS21CountingInputIteratorIllEEPS6_NSA_22TransformInputIteratorIb7NonZeroIsEPslEENS0_5tupleIJPlS6_EEENSJ_IJSD_SD_EEES6_SK_JS6_EEE10hipError_tPvRmT3_T4_T5_T6_T7_T9_mT8_P12ihipStream_tbDpT10_ENKUlT_T0_E_clISt17integral_constantIbLb0EES15_IbLb1EEEEDaS11_S12_EUlS11_E_NS1_11comp_targetILNS1_3genE3ELNS1_11target_archE908ELNS1_3gpuE7ELNS1_3repE0EEENS1_30default_config_static_selectorELNS0_4arch9wavefront6targetE1EEEvT1_.kd
    .uniform_work_group_size: 1
    .uses_dynamic_stack: false
    .vgpr_count:     0
    .vgpr_spill_count: 0
    .wavefront_size: 64
  - .args:
      - .offset:         0
        .size:           136
        .value_kind:     by_value
    .group_segment_fixed_size: 14352
    .kernarg_segment_align: 8
    .kernarg_segment_size: 136
    .language:       OpenCL C
    .language_version:
      - 2
      - 0
    .max_flat_workgroup_size: 256
    .name:           _ZN7rocprim17ROCPRIM_400000_NS6detail17trampoline_kernelINS0_14default_configENS1_25partition_config_selectorILNS1_17partition_subalgoE5ElNS0_10empty_typeEbEEZZNS1_14partition_implILS5_5ELb0ES3_mN6hipcub16HIPCUB_304000_NS21CountingInputIteratorIllEEPS6_NSA_22TransformInputIteratorIb7NonZeroIsEPslEENS0_5tupleIJPlS6_EEENSJ_IJSD_SD_EEES6_SK_JS6_EEE10hipError_tPvRmT3_T4_T5_T6_T7_T9_mT8_P12ihipStream_tbDpT10_ENKUlT_T0_E_clISt17integral_constantIbLb0EES15_IbLb1EEEEDaS11_S12_EUlS11_E_NS1_11comp_targetILNS1_3genE2ELNS1_11target_archE906ELNS1_3gpuE6ELNS1_3repE0EEENS1_30default_config_static_selectorELNS0_4arch9wavefront6targetE1EEEvT1_
    .private_segment_fixed_size: 0
    .sgpr_count:     32
    .sgpr_spill_count: 0
    .symbol:         _ZN7rocprim17ROCPRIM_400000_NS6detail17trampoline_kernelINS0_14default_configENS1_25partition_config_selectorILNS1_17partition_subalgoE5ElNS0_10empty_typeEbEEZZNS1_14partition_implILS5_5ELb0ES3_mN6hipcub16HIPCUB_304000_NS21CountingInputIteratorIllEEPS6_NSA_22TransformInputIteratorIb7NonZeroIsEPslEENS0_5tupleIJPlS6_EEENSJ_IJSD_SD_EEES6_SK_JS6_EEE10hipError_tPvRmT3_T4_T5_T6_T7_T9_mT8_P12ihipStream_tbDpT10_ENKUlT_T0_E_clISt17integral_constantIbLb0EES15_IbLb1EEEEDaS11_S12_EUlS11_E_NS1_11comp_targetILNS1_3genE2ELNS1_11target_archE906ELNS1_3gpuE6ELNS1_3repE0EEENS1_30default_config_static_selectorELNS0_4arch9wavefront6targetE1EEEvT1_.kd
    .uniform_work_group_size: 1
    .uses_dynamic_stack: false
    .vgpr_count:     59
    .vgpr_spill_count: 0
    .wavefront_size: 64
  - .args:
      - .offset:         0
        .size:           136
        .value_kind:     by_value
    .group_segment_fixed_size: 0
    .kernarg_segment_align: 8
    .kernarg_segment_size: 136
    .language:       OpenCL C
    .language_version:
      - 2
      - 0
    .max_flat_workgroup_size: 256
    .name:           _ZN7rocprim17ROCPRIM_400000_NS6detail17trampoline_kernelINS0_14default_configENS1_25partition_config_selectorILNS1_17partition_subalgoE5ElNS0_10empty_typeEbEEZZNS1_14partition_implILS5_5ELb0ES3_mN6hipcub16HIPCUB_304000_NS21CountingInputIteratorIllEEPS6_NSA_22TransformInputIteratorIb7NonZeroIsEPslEENS0_5tupleIJPlS6_EEENSJ_IJSD_SD_EEES6_SK_JS6_EEE10hipError_tPvRmT3_T4_T5_T6_T7_T9_mT8_P12ihipStream_tbDpT10_ENKUlT_T0_E_clISt17integral_constantIbLb0EES15_IbLb1EEEEDaS11_S12_EUlS11_E_NS1_11comp_targetILNS1_3genE10ELNS1_11target_archE1200ELNS1_3gpuE4ELNS1_3repE0EEENS1_30default_config_static_selectorELNS0_4arch9wavefront6targetE1EEEvT1_
    .private_segment_fixed_size: 0
    .sgpr_count:     4
    .sgpr_spill_count: 0
    .symbol:         _ZN7rocprim17ROCPRIM_400000_NS6detail17trampoline_kernelINS0_14default_configENS1_25partition_config_selectorILNS1_17partition_subalgoE5ElNS0_10empty_typeEbEEZZNS1_14partition_implILS5_5ELb0ES3_mN6hipcub16HIPCUB_304000_NS21CountingInputIteratorIllEEPS6_NSA_22TransformInputIteratorIb7NonZeroIsEPslEENS0_5tupleIJPlS6_EEENSJ_IJSD_SD_EEES6_SK_JS6_EEE10hipError_tPvRmT3_T4_T5_T6_T7_T9_mT8_P12ihipStream_tbDpT10_ENKUlT_T0_E_clISt17integral_constantIbLb0EES15_IbLb1EEEEDaS11_S12_EUlS11_E_NS1_11comp_targetILNS1_3genE10ELNS1_11target_archE1200ELNS1_3gpuE4ELNS1_3repE0EEENS1_30default_config_static_selectorELNS0_4arch9wavefront6targetE1EEEvT1_.kd
    .uniform_work_group_size: 1
    .uses_dynamic_stack: false
    .vgpr_count:     0
    .vgpr_spill_count: 0
    .wavefront_size: 64
  - .args:
      - .offset:         0
        .size:           136
        .value_kind:     by_value
    .group_segment_fixed_size: 0
    .kernarg_segment_align: 8
    .kernarg_segment_size: 136
    .language:       OpenCL C
    .language_version:
      - 2
      - 0
    .max_flat_workgroup_size: 128
    .name:           _ZN7rocprim17ROCPRIM_400000_NS6detail17trampoline_kernelINS0_14default_configENS1_25partition_config_selectorILNS1_17partition_subalgoE5ElNS0_10empty_typeEbEEZZNS1_14partition_implILS5_5ELb0ES3_mN6hipcub16HIPCUB_304000_NS21CountingInputIteratorIllEEPS6_NSA_22TransformInputIteratorIb7NonZeroIsEPslEENS0_5tupleIJPlS6_EEENSJ_IJSD_SD_EEES6_SK_JS6_EEE10hipError_tPvRmT3_T4_T5_T6_T7_T9_mT8_P12ihipStream_tbDpT10_ENKUlT_T0_E_clISt17integral_constantIbLb0EES15_IbLb1EEEEDaS11_S12_EUlS11_E_NS1_11comp_targetILNS1_3genE9ELNS1_11target_archE1100ELNS1_3gpuE3ELNS1_3repE0EEENS1_30default_config_static_selectorELNS0_4arch9wavefront6targetE1EEEvT1_
    .private_segment_fixed_size: 0
    .sgpr_count:     4
    .sgpr_spill_count: 0
    .symbol:         _ZN7rocprim17ROCPRIM_400000_NS6detail17trampoline_kernelINS0_14default_configENS1_25partition_config_selectorILNS1_17partition_subalgoE5ElNS0_10empty_typeEbEEZZNS1_14partition_implILS5_5ELb0ES3_mN6hipcub16HIPCUB_304000_NS21CountingInputIteratorIllEEPS6_NSA_22TransformInputIteratorIb7NonZeroIsEPslEENS0_5tupleIJPlS6_EEENSJ_IJSD_SD_EEES6_SK_JS6_EEE10hipError_tPvRmT3_T4_T5_T6_T7_T9_mT8_P12ihipStream_tbDpT10_ENKUlT_T0_E_clISt17integral_constantIbLb0EES15_IbLb1EEEEDaS11_S12_EUlS11_E_NS1_11comp_targetILNS1_3genE9ELNS1_11target_archE1100ELNS1_3gpuE3ELNS1_3repE0EEENS1_30default_config_static_selectorELNS0_4arch9wavefront6targetE1EEEvT1_.kd
    .uniform_work_group_size: 1
    .uses_dynamic_stack: false
    .vgpr_count:     0
    .vgpr_spill_count: 0
    .wavefront_size: 64
  - .args:
      - .offset:         0
        .size:           136
        .value_kind:     by_value
    .group_segment_fixed_size: 0
    .kernarg_segment_align: 8
    .kernarg_segment_size: 136
    .language:       OpenCL C
    .language_version:
      - 2
      - 0
    .max_flat_workgroup_size: 512
    .name:           _ZN7rocprim17ROCPRIM_400000_NS6detail17trampoline_kernelINS0_14default_configENS1_25partition_config_selectorILNS1_17partition_subalgoE5ElNS0_10empty_typeEbEEZZNS1_14partition_implILS5_5ELb0ES3_mN6hipcub16HIPCUB_304000_NS21CountingInputIteratorIllEEPS6_NSA_22TransformInputIteratorIb7NonZeroIsEPslEENS0_5tupleIJPlS6_EEENSJ_IJSD_SD_EEES6_SK_JS6_EEE10hipError_tPvRmT3_T4_T5_T6_T7_T9_mT8_P12ihipStream_tbDpT10_ENKUlT_T0_E_clISt17integral_constantIbLb0EES15_IbLb1EEEEDaS11_S12_EUlS11_E_NS1_11comp_targetILNS1_3genE8ELNS1_11target_archE1030ELNS1_3gpuE2ELNS1_3repE0EEENS1_30default_config_static_selectorELNS0_4arch9wavefront6targetE1EEEvT1_
    .private_segment_fixed_size: 0
    .sgpr_count:     4
    .sgpr_spill_count: 0
    .symbol:         _ZN7rocprim17ROCPRIM_400000_NS6detail17trampoline_kernelINS0_14default_configENS1_25partition_config_selectorILNS1_17partition_subalgoE5ElNS0_10empty_typeEbEEZZNS1_14partition_implILS5_5ELb0ES3_mN6hipcub16HIPCUB_304000_NS21CountingInputIteratorIllEEPS6_NSA_22TransformInputIteratorIb7NonZeroIsEPslEENS0_5tupleIJPlS6_EEENSJ_IJSD_SD_EEES6_SK_JS6_EEE10hipError_tPvRmT3_T4_T5_T6_T7_T9_mT8_P12ihipStream_tbDpT10_ENKUlT_T0_E_clISt17integral_constantIbLb0EES15_IbLb1EEEEDaS11_S12_EUlS11_E_NS1_11comp_targetILNS1_3genE8ELNS1_11target_archE1030ELNS1_3gpuE2ELNS1_3repE0EEENS1_30default_config_static_selectorELNS0_4arch9wavefront6targetE1EEEvT1_.kd
    .uniform_work_group_size: 1
    .uses_dynamic_stack: false
    .vgpr_count:     0
    .vgpr_spill_count: 0
    .wavefront_size: 64
  - .args:
      - .offset:         0
        .size:           64
        .value_kind:     by_value
    .group_segment_fixed_size: 0
    .kernarg_segment_align: 8
    .kernarg_segment_size: 64
    .language:       OpenCL C
    .language_version:
      - 2
      - 0
    .max_flat_workgroup_size: 256
    .name:           _ZN7rocprim17ROCPRIM_400000_NS6detail17trampoline_kernelINS0_14default_configENS1_22reduce_config_selectorIlEEZNS1_11reduce_implILb1ES3_PlS7_lN6hipcub16HIPCUB_304000_NS6detail34convert_binary_result_type_wrapperINS9_3SumENS9_22TransformInputIteratorIb7NonZeroIiEPilEElEEEE10hipError_tPvRmT1_T2_T3_mT4_P12ihipStream_tbEUlT_E0_NS1_11comp_targetILNS1_3genE0ELNS1_11target_archE4294967295ELNS1_3gpuE0ELNS1_3repE0EEENS1_30default_config_static_selectorELNS0_4arch9wavefront6targetE1EEEvSM_
    .private_segment_fixed_size: 0
    .sgpr_count:     4
    .sgpr_spill_count: 0
    .symbol:         _ZN7rocprim17ROCPRIM_400000_NS6detail17trampoline_kernelINS0_14default_configENS1_22reduce_config_selectorIlEEZNS1_11reduce_implILb1ES3_PlS7_lN6hipcub16HIPCUB_304000_NS6detail34convert_binary_result_type_wrapperINS9_3SumENS9_22TransformInputIteratorIb7NonZeroIiEPilEElEEEE10hipError_tPvRmT1_T2_T3_mT4_P12ihipStream_tbEUlT_E0_NS1_11comp_targetILNS1_3genE0ELNS1_11target_archE4294967295ELNS1_3gpuE0ELNS1_3repE0EEENS1_30default_config_static_selectorELNS0_4arch9wavefront6targetE1EEEvSM_.kd
    .uniform_work_group_size: 1
    .uses_dynamic_stack: false
    .vgpr_count:     0
    .vgpr_spill_count: 0
    .wavefront_size: 64
  - .args:
      - .offset:         0
        .size:           64
        .value_kind:     by_value
    .group_segment_fixed_size: 0
    .kernarg_segment_align: 8
    .kernarg_segment_size: 64
    .language:       OpenCL C
    .language_version:
      - 2
      - 0
    .max_flat_workgroup_size: 256
    .name:           _ZN7rocprim17ROCPRIM_400000_NS6detail17trampoline_kernelINS0_14default_configENS1_22reduce_config_selectorIlEEZNS1_11reduce_implILb1ES3_PlS7_lN6hipcub16HIPCUB_304000_NS6detail34convert_binary_result_type_wrapperINS9_3SumENS9_22TransformInputIteratorIb7NonZeroIiEPilEElEEEE10hipError_tPvRmT1_T2_T3_mT4_P12ihipStream_tbEUlT_E0_NS1_11comp_targetILNS1_3genE5ELNS1_11target_archE942ELNS1_3gpuE9ELNS1_3repE0EEENS1_30default_config_static_selectorELNS0_4arch9wavefront6targetE1EEEvSM_
    .private_segment_fixed_size: 0
    .sgpr_count:     4
    .sgpr_spill_count: 0
    .symbol:         _ZN7rocprim17ROCPRIM_400000_NS6detail17trampoline_kernelINS0_14default_configENS1_22reduce_config_selectorIlEEZNS1_11reduce_implILb1ES3_PlS7_lN6hipcub16HIPCUB_304000_NS6detail34convert_binary_result_type_wrapperINS9_3SumENS9_22TransformInputIteratorIb7NonZeroIiEPilEElEEEE10hipError_tPvRmT1_T2_T3_mT4_P12ihipStream_tbEUlT_E0_NS1_11comp_targetILNS1_3genE5ELNS1_11target_archE942ELNS1_3gpuE9ELNS1_3repE0EEENS1_30default_config_static_selectorELNS0_4arch9wavefront6targetE1EEEvSM_.kd
    .uniform_work_group_size: 1
    .uses_dynamic_stack: false
    .vgpr_count:     0
    .vgpr_spill_count: 0
    .wavefront_size: 64
  - .args:
      - .offset:         0
        .size:           64
        .value_kind:     by_value
    .group_segment_fixed_size: 0
    .kernarg_segment_align: 8
    .kernarg_segment_size: 64
    .language:       OpenCL C
    .language_version:
      - 2
      - 0
    .max_flat_workgroup_size: 256
    .name:           _ZN7rocprim17ROCPRIM_400000_NS6detail17trampoline_kernelINS0_14default_configENS1_22reduce_config_selectorIlEEZNS1_11reduce_implILb1ES3_PlS7_lN6hipcub16HIPCUB_304000_NS6detail34convert_binary_result_type_wrapperINS9_3SumENS9_22TransformInputIteratorIb7NonZeroIiEPilEElEEEE10hipError_tPvRmT1_T2_T3_mT4_P12ihipStream_tbEUlT_E0_NS1_11comp_targetILNS1_3genE4ELNS1_11target_archE910ELNS1_3gpuE8ELNS1_3repE0EEENS1_30default_config_static_selectorELNS0_4arch9wavefront6targetE1EEEvSM_
    .private_segment_fixed_size: 0
    .sgpr_count:     4
    .sgpr_spill_count: 0
    .symbol:         _ZN7rocprim17ROCPRIM_400000_NS6detail17trampoline_kernelINS0_14default_configENS1_22reduce_config_selectorIlEEZNS1_11reduce_implILb1ES3_PlS7_lN6hipcub16HIPCUB_304000_NS6detail34convert_binary_result_type_wrapperINS9_3SumENS9_22TransformInputIteratorIb7NonZeroIiEPilEElEEEE10hipError_tPvRmT1_T2_T3_mT4_P12ihipStream_tbEUlT_E0_NS1_11comp_targetILNS1_3genE4ELNS1_11target_archE910ELNS1_3gpuE8ELNS1_3repE0EEENS1_30default_config_static_selectorELNS0_4arch9wavefront6targetE1EEEvSM_.kd
    .uniform_work_group_size: 1
    .uses_dynamic_stack: false
    .vgpr_count:     0
    .vgpr_spill_count: 0
    .wavefront_size: 64
  - .args:
      - .offset:         0
        .size:           64
        .value_kind:     by_value
    .group_segment_fixed_size: 0
    .kernarg_segment_align: 8
    .kernarg_segment_size: 64
    .language:       OpenCL C
    .language_version:
      - 2
      - 0
    .max_flat_workgroup_size: 256
    .name:           _ZN7rocprim17ROCPRIM_400000_NS6detail17trampoline_kernelINS0_14default_configENS1_22reduce_config_selectorIlEEZNS1_11reduce_implILb1ES3_PlS7_lN6hipcub16HIPCUB_304000_NS6detail34convert_binary_result_type_wrapperINS9_3SumENS9_22TransformInputIteratorIb7NonZeroIiEPilEElEEEE10hipError_tPvRmT1_T2_T3_mT4_P12ihipStream_tbEUlT_E0_NS1_11comp_targetILNS1_3genE3ELNS1_11target_archE908ELNS1_3gpuE7ELNS1_3repE0EEENS1_30default_config_static_selectorELNS0_4arch9wavefront6targetE1EEEvSM_
    .private_segment_fixed_size: 0
    .sgpr_count:     4
    .sgpr_spill_count: 0
    .symbol:         _ZN7rocprim17ROCPRIM_400000_NS6detail17trampoline_kernelINS0_14default_configENS1_22reduce_config_selectorIlEEZNS1_11reduce_implILb1ES3_PlS7_lN6hipcub16HIPCUB_304000_NS6detail34convert_binary_result_type_wrapperINS9_3SumENS9_22TransformInputIteratorIb7NonZeroIiEPilEElEEEE10hipError_tPvRmT1_T2_T3_mT4_P12ihipStream_tbEUlT_E0_NS1_11comp_targetILNS1_3genE3ELNS1_11target_archE908ELNS1_3gpuE7ELNS1_3repE0EEENS1_30default_config_static_selectorELNS0_4arch9wavefront6targetE1EEEvSM_.kd
    .uniform_work_group_size: 1
    .uses_dynamic_stack: false
    .vgpr_count:     0
    .vgpr_spill_count: 0
    .wavefront_size: 64
  - .args:
      - .offset:         0
        .size:           64
        .value_kind:     by_value
    .group_segment_fixed_size: 64
    .kernarg_segment_align: 8
    .kernarg_segment_size: 64
    .language:       OpenCL C
    .language_version:
      - 2
      - 0
    .max_flat_workgroup_size: 256
    .name:           _ZN7rocprim17ROCPRIM_400000_NS6detail17trampoline_kernelINS0_14default_configENS1_22reduce_config_selectorIlEEZNS1_11reduce_implILb1ES3_PlS7_lN6hipcub16HIPCUB_304000_NS6detail34convert_binary_result_type_wrapperINS9_3SumENS9_22TransformInputIteratorIb7NonZeroIiEPilEElEEEE10hipError_tPvRmT1_T2_T3_mT4_P12ihipStream_tbEUlT_E0_NS1_11comp_targetILNS1_3genE2ELNS1_11target_archE906ELNS1_3gpuE6ELNS1_3repE0EEENS1_30default_config_static_selectorELNS0_4arch9wavefront6targetE1EEEvSM_
    .private_segment_fixed_size: 0
    .sgpr_count:     24
    .sgpr_spill_count: 0
    .symbol:         _ZN7rocprim17ROCPRIM_400000_NS6detail17trampoline_kernelINS0_14default_configENS1_22reduce_config_selectorIlEEZNS1_11reduce_implILb1ES3_PlS7_lN6hipcub16HIPCUB_304000_NS6detail34convert_binary_result_type_wrapperINS9_3SumENS9_22TransformInputIteratorIb7NonZeroIiEPilEElEEEE10hipError_tPvRmT1_T2_T3_mT4_P12ihipStream_tbEUlT_E0_NS1_11comp_targetILNS1_3genE2ELNS1_11target_archE906ELNS1_3gpuE6ELNS1_3repE0EEENS1_30default_config_static_selectorELNS0_4arch9wavefront6targetE1EEEvSM_.kd
    .uniform_work_group_size: 1
    .uses_dynamic_stack: false
    .vgpr_count:     11
    .vgpr_spill_count: 0
    .wavefront_size: 64
  - .args:
      - .offset:         0
        .size:           64
        .value_kind:     by_value
    .group_segment_fixed_size: 0
    .kernarg_segment_align: 8
    .kernarg_segment_size: 64
    .language:       OpenCL C
    .language_version:
      - 2
      - 0
    .max_flat_workgroup_size: 256
    .name:           _ZN7rocprim17ROCPRIM_400000_NS6detail17trampoline_kernelINS0_14default_configENS1_22reduce_config_selectorIlEEZNS1_11reduce_implILb1ES3_PlS7_lN6hipcub16HIPCUB_304000_NS6detail34convert_binary_result_type_wrapperINS9_3SumENS9_22TransformInputIteratorIb7NonZeroIiEPilEElEEEE10hipError_tPvRmT1_T2_T3_mT4_P12ihipStream_tbEUlT_E0_NS1_11comp_targetILNS1_3genE10ELNS1_11target_archE1201ELNS1_3gpuE5ELNS1_3repE0EEENS1_30default_config_static_selectorELNS0_4arch9wavefront6targetE1EEEvSM_
    .private_segment_fixed_size: 0
    .sgpr_count:     4
    .sgpr_spill_count: 0
    .symbol:         _ZN7rocprim17ROCPRIM_400000_NS6detail17trampoline_kernelINS0_14default_configENS1_22reduce_config_selectorIlEEZNS1_11reduce_implILb1ES3_PlS7_lN6hipcub16HIPCUB_304000_NS6detail34convert_binary_result_type_wrapperINS9_3SumENS9_22TransformInputIteratorIb7NonZeroIiEPilEElEEEE10hipError_tPvRmT1_T2_T3_mT4_P12ihipStream_tbEUlT_E0_NS1_11comp_targetILNS1_3genE10ELNS1_11target_archE1201ELNS1_3gpuE5ELNS1_3repE0EEENS1_30default_config_static_selectorELNS0_4arch9wavefront6targetE1EEEvSM_.kd
    .uniform_work_group_size: 1
    .uses_dynamic_stack: false
    .vgpr_count:     0
    .vgpr_spill_count: 0
    .wavefront_size: 64
  - .args:
      - .offset:         0
        .size:           64
        .value_kind:     by_value
    .group_segment_fixed_size: 0
    .kernarg_segment_align: 8
    .kernarg_segment_size: 64
    .language:       OpenCL C
    .language_version:
      - 2
      - 0
    .max_flat_workgroup_size: 256
    .name:           _ZN7rocprim17ROCPRIM_400000_NS6detail17trampoline_kernelINS0_14default_configENS1_22reduce_config_selectorIlEEZNS1_11reduce_implILb1ES3_PlS7_lN6hipcub16HIPCUB_304000_NS6detail34convert_binary_result_type_wrapperINS9_3SumENS9_22TransformInputIteratorIb7NonZeroIiEPilEElEEEE10hipError_tPvRmT1_T2_T3_mT4_P12ihipStream_tbEUlT_E0_NS1_11comp_targetILNS1_3genE10ELNS1_11target_archE1200ELNS1_3gpuE4ELNS1_3repE0EEENS1_30default_config_static_selectorELNS0_4arch9wavefront6targetE1EEEvSM_
    .private_segment_fixed_size: 0
    .sgpr_count:     4
    .sgpr_spill_count: 0
    .symbol:         _ZN7rocprim17ROCPRIM_400000_NS6detail17trampoline_kernelINS0_14default_configENS1_22reduce_config_selectorIlEEZNS1_11reduce_implILb1ES3_PlS7_lN6hipcub16HIPCUB_304000_NS6detail34convert_binary_result_type_wrapperINS9_3SumENS9_22TransformInputIteratorIb7NonZeroIiEPilEElEEEE10hipError_tPvRmT1_T2_T3_mT4_P12ihipStream_tbEUlT_E0_NS1_11comp_targetILNS1_3genE10ELNS1_11target_archE1200ELNS1_3gpuE4ELNS1_3repE0EEENS1_30default_config_static_selectorELNS0_4arch9wavefront6targetE1EEEvSM_.kd
    .uniform_work_group_size: 1
    .uses_dynamic_stack: false
    .vgpr_count:     0
    .vgpr_spill_count: 0
    .wavefront_size: 64
  - .args:
      - .offset:         0
        .size:           64
        .value_kind:     by_value
    .group_segment_fixed_size: 0
    .kernarg_segment_align: 8
    .kernarg_segment_size: 64
    .language:       OpenCL C
    .language_version:
      - 2
      - 0
    .max_flat_workgroup_size: 256
    .name:           _ZN7rocprim17ROCPRIM_400000_NS6detail17trampoline_kernelINS0_14default_configENS1_22reduce_config_selectorIlEEZNS1_11reduce_implILb1ES3_PlS7_lN6hipcub16HIPCUB_304000_NS6detail34convert_binary_result_type_wrapperINS9_3SumENS9_22TransformInputIteratorIb7NonZeroIiEPilEElEEEE10hipError_tPvRmT1_T2_T3_mT4_P12ihipStream_tbEUlT_E0_NS1_11comp_targetILNS1_3genE9ELNS1_11target_archE1100ELNS1_3gpuE3ELNS1_3repE0EEENS1_30default_config_static_selectorELNS0_4arch9wavefront6targetE1EEEvSM_
    .private_segment_fixed_size: 0
    .sgpr_count:     4
    .sgpr_spill_count: 0
    .symbol:         _ZN7rocprim17ROCPRIM_400000_NS6detail17trampoline_kernelINS0_14default_configENS1_22reduce_config_selectorIlEEZNS1_11reduce_implILb1ES3_PlS7_lN6hipcub16HIPCUB_304000_NS6detail34convert_binary_result_type_wrapperINS9_3SumENS9_22TransformInputIteratorIb7NonZeroIiEPilEElEEEE10hipError_tPvRmT1_T2_T3_mT4_P12ihipStream_tbEUlT_E0_NS1_11comp_targetILNS1_3genE9ELNS1_11target_archE1100ELNS1_3gpuE3ELNS1_3repE0EEENS1_30default_config_static_selectorELNS0_4arch9wavefront6targetE1EEEvSM_.kd
    .uniform_work_group_size: 1
    .uses_dynamic_stack: false
    .vgpr_count:     0
    .vgpr_spill_count: 0
    .wavefront_size: 64
  - .args:
      - .offset:         0
        .size:           64
        .value_kind:     by_value
    .group_segment_fixed_size: 0
    .kernarg_segment_align: 8
    .kernarg_segment_size: 64
    .language:       OpenCL C
    .language_version:
      - 2
      - 0
    .max_flat_workgroup_size: 256
    .name:           _ZN7rocprim17ROCPRIM_400000_NS6detail17trampoline_kernelINS0_14default_configENS1_22reduce_config_selectorIlEEZNS1_11reduce_implILb1ES3_PlS7_lN6hipcub16HIPCUB_304000_NS6detail34convert_binary_result_type_wrapperINS9_3SumENS9_22TransformInputIteratorIb7NonZeroIiEPilEElEEEE10hipError_tPvRmT1_T2_T3_mT4_P12ihipStream_tbEUlT_E0_NS1_11comp_targetILNS1_3genE8ELNS1_11target_archE1030ELNS1_3gpuE2ELNS1_3repE0EEENS1_30default_config_static_selectorELNS0_4arch9wavefront6targetE1EEEvSM_
    .private_segment_fixed_size: 0
    .sgpr_count:     4
    .sgpr_spill_count: 0
    .symbol:         _ZN7rocprim17ROCPRIM_400000_NS6detail17trampoline_kernelINS0_14default_configENS1_22reduce_config_selectorIlEEZNS1_11reduce_implILb1ES3_PlS7_lN6hipcub16HIPCUB_304000_NS6detail34convert_binary_result_type_wrapperINS9_3SumENS9_22TransformInputIteratorIb7NonZeroIiEPilEElEEEE10hipError_tPvRmT1_T2_T3_mT4_P12ihipStream_tbEUlT_E0_NS1_11comp_targetILNS1_3genE8ELNS1_11target_archE1030ELNS1_3gpuE2ELNS1_3repE0EEENS1_30default_config_static_selectorELNS0_4arch9wavefront6targetE1EEEvSM_.kd
    .uniform_work_group_size: 1
    .uses_dynamic_stack: false
    .vgpr_count:     0
    .vgpr_spill_count: 0
    .wavefront_size: 64
  - .args:
      - .offset:         0
        .size:           48
        .value_kind:     by_value
    .group_segment_fixed_size: 0
    .kernarg_segment_align: 8
    .kernarg_segment_size: 48
    .language:       OpenCL C
    .language_version:
      - 2
      - 0
    .max_flat_workgroup_size: 256
    .name:           _ZN7rocprim17ROCPRIM_400000_NS6detail17trampoline_kernelINS0_14default_configENS1_22reduce_config_selectorIlEEZNS1_11reduce_implILb1ES3_PlS7_lN6hipcub16HIPCUB_304000_NS6detail34convert_binary_result_type_wrapperINS9_3SumENS9_22TransformInputIteratorIb7NonZeroIiEPilEElEEEE10hipError_tPvRmT1_T2_T3_mT4_P12ihipStream_tbEUlT_E1_NS1_11comp_targetILNS1_3genE0ELNS1_11target_archE4294967295ELNS1_3gpuE0ELNS1_3repE0EEENS1_30default_config_static_selectorELNS0_4arch9wavefront6targetE1EEEvSM_
    .private_segment_fixed_size: 0
    .sgpr_count:     4
    .sgpr_spill_count: 0
    .symbol:         _ZN7rocprim17ROCPRIM_400000_NS6detail17trampoline_kernelINS0_14default_configENS1_22reduce_config_selectorIlEEZNS1_11reduce_implILb1ES3_PlS7_lN6hipcub16HIPCUB_304000_NS6detail34convert_binary_result_type_wrapperINS9_3SumENS9_22TransformInputIteratorIb7NonZeroIiEPilEElEEEE10hipError_tPvRmT1_T2_T3_mT4_P12ihipStream_tbEUlT_E1_NS1_11comp_targetILNS1_3genE0ELNS1_11target_archE4294967295ELNS1_3gpuE0ELNS1_3repE0EEENS1_30default_config_static_selectorELNS0_4arch9wavefront6targetE1EEEvSM_.kd
    .uniform_work_group_size: 1
    .uses_dynamic_stack: false
    .vgpr_count:     0
    .vgpr_spill_count: 0
    .wavefront_size: 64
  - .args:
      - .offset:         0
        .size:           48
        .value_kind:     by_value
    .group_segment_fixed_size: 0
    .kernarg_segment_align: 8
    .kernarg_segment_size: 48
    .language:       OpenCL C
    .language_version:
      - 2
      - 0
    .max_flat_workgroup_size: 256
    .name:           _ZN7rocprim17ROCPRIM_400000_NS6detail17trampoline_kernelINS0_14default_configENS1_22reduce_config_selectorIlEEZNS1_11reduce_implILb1ES3_PlS7_lN6hipcub16HIPCUB_304000_NS6detail34convert_binary_result_type_wrapperINS9_3SumENS9_22TransformInputIteratorIb7NonZeroIiEPilEElEEEE10hipError_tPvRmT1_T2_T3_mT4_P12ihipStream_tbEUlT_E1_NS1_11comp_targetILNS1_3genE5ELNS1_11target_archE942ELNS1_3gpuE9ELNS1_3repE0EEENS1_30default_config_static_selectorELNS0_4arch9wavefront6targetE1EEEvSM_
    .private_segment_fixed_size: 0
    .sgpr_count:     4
    .sgpr_spill_count: 0
    .symbol:         _ZN7rocprim17ROCPRIM_400000_NS6detail17trampoline_kernelINS0_14default_configENS1_22reduce_config_selectorIlEEZNS1_11reduce_implILb1ES3_PlS7_lN6hipcub16HIPCUB_304000_NS6detail34convert_binary_result_type_wrapperINS9_3SumENS9_22TransformInputIteratorIb7NonZeroIiEPilEElEEEE10hipError_tPvRmT1_T2_T3_mT4_P12ihipStream_tbEUlT_E1_NS1_11comp_targetILNS1_3genE5ELNS1_11target_archE942ELNS1_3gpuE9ELNS1_3repE0EEENS1_30default_config_static_selectorELNS0_4arch9wavefront6targetE1EEEvSM_.kd
    .uniform_work_group_size: 1
    .uses_dynamic_stack: false
    .vgpr_count:     0
    .vgpr_spill_count: 0
    .wavefront_size: 64
  - .args:
      - .offset:         0
        .size:           48
        .value_kind:     by_value
    .group_segment_fixed_size: 0
    .kernarg_segment_align: 8
    .kernarg_segment_size: 48
    .language:       OpenCL C
    .language_version:
      - 2
      - 0
    .max_flat_workgroup_size: 256
    .name:           _ZN7rocprim17ROCPRIM_400000_NS6detail17trampoline_kernelINS0_14default_configENS1_22reduce_config_selectorIlEEZNS1_11reduce_implILb1ES3_PlS7_lN6hipcub16HIPCUB_304000_NS6detail34convert_binary_result_type_wrapperINS9_3SumENS9_22TransformInputIteratorIb7NonZeroIiEPilEElEEEE10hipError_tPvRmT1_T2_T3_mT4_P12ihipStream_tbEUlT_E1_NS1_11comp_targetILNS1_3genE4ELNS1_11target_archE910ELNS1_3gpuE8ELNS1_3repE0EEENS1_30default_config_static_selectorELNS0_4arch9wavefront6targetE1EEEvSM_
    .private_segment_fixed_size: 0
    .sgpr_count:     4
    .sgpr_spill_count: 0
    .symbol:         _ZN7rocprim17ROCPRIM_400000_NS6detail17trampoline_kernelINS0_14default_configENS1_22reduce_config_selectorIlEEZNS1_11reduce_implILb1ES3_PlS7_lN6hipcub16HIPCUB_304000_NS6detail34convert_binary_result_type_wrapperINS9_3SumENS9_22TransformInputIteratorIb7NonZeroIiEPilEElEEEE10hipError_tPvRmT1_T2_T3_mT4_P12ihipStream_tbEUlT_E1_NS1_11comp_targetILNS1_3genE4ELNS1_11target_archE910ELNS1_3gpuE8ELNS1_3repE0EEENS1_30default_config_static_selectorELNS0_4arch9wavefront6targetE1EEEvSM_.kd
    .uniform_work_group_size: 1
    .uses_dynamic_stack: false
    .vgpr_count:     0
    .vgpr_spill_count: 0
    .wavefront_size: 64
  - .args:
      - .offset:         0
        .size:           48
        .value_kind:     by_value
    .group_segment_fixed_size: 0
    .kernarg_segment_align: 8
    .kernarg_segment_size: 48
    .language:       OpenCL C
    .language_version:
      - 2
      - 0
    .max_flat_workgroup_size: 256
    .name:           _ZN7rocprim17ROCPRIM_400000_NS6detail17trampoline_kernelINS0_14default_configENS1_22reduce_config_selectorIlEEZNS1_11reduce_implILb1ES3_PlS7_lN6hipcub16HIPCUB_304000_NS6detail34convert_binary_result_type_wrapperINS9_3SumENS9_22TransformInputIteratorIb7NonZeroIiEPilEElEEEE10hipError_tPvRmT1_T2_T3_mT4_P12ihipStream_tbEUlT_E1_NS1_11comp_targetILNS1_3genE3ELNS1_11target_archE908ELNS1_3gpuE7ELNS1_3repE0EEENS1_30default_config_static_selectorELNS0_4arch9wavefront6targetE1EEEvSM_
    .private_segment_fixed_size: 0
    .sgpr_count:     4
    .sgpr_spill_count: 0
    .symbol:         _ZN7rocprim17ROCPRIM_400000_NS6detail17trampoline_kernelINS0_14default_configENS1_22reduce_config_selectorIlEEZNS1_11reduce_implILb1ES3_PlS7_lN6hipcub16HIPCUB_304000_NS6detail34convert_binary_result_type_wrapperINS9_3SumENS9_22TransformInputIteratorIb7NonZeroIiEPilEElEEEE10hipError_tPvRmT1_T2_T3_mT4_P12ihipStream_tbEUlT_E1_NS1_11comp_targetILNS1_3genE3ELNS1_11target_archE908ELNS1_3gpuE7ELNS1_3repE0EEENS1_30default_config_static_selectorELNS0_4arch9wavefront6targetE1EEEvSM_.kd
    .uniform_work_group_size: 1
    .uses_dynamic_stack: false
    .vgpr_count:     0
    .vgpr_spill_count: 0
    .wavefront_size: 64
  - .args:
      - .offset:         0
        .size:           48
        .value_kind:     by_value
    .group_segment_fixed_size: 192
    .kernarg_segment_align: 8
    .kernarg_segment_size: 48
    .language:       OpenCL C
    .language_version:
      - 2
      - 0
    .max_flat_workgroup_size: 256
    .name:           _ZN7rocprim17ROCPRIM_400000_NS6detail17trampoline_kernelINS0_14default_configENS1_22reduce_config_selectorIlEEZNS1_11reduce_implILb1ES3_PlS7_lN6hipcub16HIPCUB_304000_NS6detail34convert_binary_result_type_wrapperINS9_3SumENS9_22TransformInputIteratorIb7NonZeroIiEPilEElEEEE10hipError_tPvRmT1_T2_T3_mT4_P12ihipStream_tbEUlT_E1_NS1_11comp_targetILNS1_3genE2ELNS1_11target_archE906ELNS1_3gpuE6ELNS1_3repE0EEENS1_30default_config_static_selectorELNS0_4arch9wavefront6targetE1EEEvSM_
    .private_segment_fixed_size: 0
    .sgpr_count:     32
    .sgpr_spill_count: 0
    .symbol:         _ZN7rocprim17ROCPRIM_400000_NS6detail17trampoline_kernelINS0_14default_configENS1_22reduce_config_selectorIlEEZNS1_11reduce_implILb1ES3_PlS7_lN6hipcub16HIPCUB_304000_NS6detail34convert_binary_result_type_wrapperINS9_3SumENS9_22TransformInputIteratorIb7NonZeroIiEPilEElEEEE10hipError_tPvRmT1_T2_T3_mT4_P12ihipStream_tbEUlT_E1_NS1_11comp_targetILNS1_3genE2ELNS1_11target_archE906ELNS1_3gpuE6ELNS1_3repE0EEENS1_30default_config_static_selectorELNS0_4arch9wavefront6targetE1EEEvSM_.kd
    .uniform_work_group_size: 1
    .uses_dynamic_stack: false
    .vgpr_count:     34
    .vgpr_spill_count: 0
    .wavefront_size: 64
  - .args:
      - .offset:         0
        .size:           48
        .value_kind:     by_value
    .group_segment_fixed_size: 0
    .kernarg_segment_align: 8
    .kernarg_segment_size: 48
    .language:       OpenCL C
    .language_version:
      - 2
      - 0
    .max_flat_workgroup_size: 256
    .name:           _ZN7rocprim17ROCPRIM_400000_NS6detail17trampoline_kernelINS0_14default_configENS1_22reduce_config_selectorIlEEZNS1_11reduce_implILb1ES3_PlS7_lN6hipcub16HIPCUB_304000_NS6detail34convert_binary_result_type_wrapperINS9_3SumENS9_22TransformInputIteratorIb7NonZeroIiEPilEElEEEE10hipError_tPvRmT1_T2_T3_mT4_P12ihipStream_tbEUlT_E1_NS1_11comp_targetILNS1_3genE10ELNS1_11target_archE1201ELNS1_3gpuE5ELNS1_3repE0EEENS1_30default_config_static_selectorELNS0_4arch9wavefront6targetE1EEEvSM_
    .private_segment_fixed_size: 0
    .sgpr_count:     4
    .sgpr_spill_count: 0
    .symbol:         _ZN7rocprim17ROCPRIM_400000_NS6detail17trampoline_kernelINS0_14default_configENS1_22reduce_config_selectorIlEEZNS1_11reduce_implILb1ES3_PlS7_lN6hipcub16HIPCUB_304000_NS6detail34convert_binary_result_type_wrapperINS9_3SumENS9_22TransformInputIteratorIb7NonZeroIiEPilEElEEEE10hipError_tPvRmT1_T2_T3_mT4_P12ihipStream_tbEUlT_E1_NS1_11comp_targetILNS1_3genE10ELNS1_11target_archE1201ELNS1_3gpuE5ELNS1_3repE0EEENS1_30default_config_static_selectorELNS0_4arch9wavefront6targetE1EEEvSM_.kd
    .uniform_work_group_size: 1
    .uses_dynamic_stack: false
    .vgpr_count:     0
    .vgpr_spill_count: 0
    .wavefront_size: 64
  - .args:
      - .offset:         0
        .size:           48
        .value_kind:     by_value
    .group_segment_fixed_size: 0
    .kernarg_segment_align: 8
    .kernarg_segment_size: 48
    .language:       OpenCL C
    .language_version:
      - 2
      - 0
    .max_flat_workgroup_size: 256
    .name:           _ZN7rocprim17ROCPRIM_400000_NS6detail17trampoline_kernelINS0_14default_configENS1_22reduce_config_selectorIlEEZNS1_11reduce_implILb1ES3_PlS7_lN6hipcub16HIPCUB_304000_NS6detail34convert_binary_result_type_wrapperINS9_3SumENS9_22TransformInputIteratorIb7NonZeroIiEPilEElEEEE10hipError_tPvRmT1_T2_T3_mT4_P12ihipStream_tbEUlT_E1_NS1_11comp_targetILNS1_3genE10ELNS1_11target_archE1200ELNS1_3gpuE4ELNS1_3repE0EEENS1_30default_config_static_selectorELNS0_4arch9wavefront6targetE1EEEvSM_
    .private_segment_fixed_size: 0
    .sgpr_count:     4
    .sgpr_spill_count: 0
    .symbol:         _ZN7rocprim17ROCPRIM_400000_NS6detail17trampoline_kernelINS0_14default_configENS1_22reduce_config_selectorIlEEZNS1_11reduce_implILb1ES3_PlS7_lN6hipcub16HIPCUB_304000_NS6detail34convert_binary_result_type_wrapperINS9_3SumENS9_22TransformInputIteratorIb7NonZeroIiEPilEElEEEE10hipError_tPvRmT1_T2_T3_mT4_P12ihipStream_tbEUlT_E1_NS1_11comp_targetILNS1_3genE10ELNS1_11target_archE1200ELNS1_3gpuE4ELNS1_3repE0EEENS1_30default_config_static_selectorELNS0_4arch9wavefront6targetE1EEEvSM_.kd
    .uniform_work_group_size: 1
    .uses_dynamic_stack: false
    .vgpr_count:     0
    .vgpr_spill_count: 0
    .wavefront_size: 64
  - .args:
      - .offset:         0
        .size:           48
        .value_kind:     by_value
    .group_segment_fixed_size: 0
    .kernarg_segment_align: 8
    .kernarg_segment_size: 48
    .language:       OpenCL C
    .language_version:
      - 2
      - 0
    .max_flat_workgroup_size: 256
    .name:           _ZN7rocprim17ROCPRIM_400000_NS6detail17trampoline_kernelINS0_14default_configENS1_22reduce_config_selectorIlEEZNS1_11reduce_implILb1ES3_PlS7_lN6hipcub16HIPCUB_304000_NS6detail34convert_binary_result_type_wrapperINS9_3SumENS9_22TransformInputIteratorIb7NonZeroIiEPilEElEEEE10hipError_tPvRmT1_T2_T3_mT4_P12ihipStream_tbEUlT_E1_NS1_11comp_targetILNS1_3genE9ELNS1_11target_archE1100ELNS1_3gpuE3ELNS1_3repE0EEENS1_30default_config_static_selectorELNS0_4arch9wavefront6targetE1EEEvSM_
    .private_segment_fixed_size: 0
    .sgpr_count:     4
    .sgpr_spill_count: 0
    .symbol:         _ZN7rocprim17ROCPRIM_400000_NS6detail17trampoline_kernelINS0_14default_configENS1_22reduce_config_selectorIlEEZNS1_11reduce_implILb1ES3_PlS7_lN6hipcub16HIPCUB_304000_NS6detail34convert_binary_result_type_wrapperINS9_3SumENS9_22TransformInputIteratorIb7NonZeroIiEPilEElEEEE10hipError_tPvRmT1_T2_T3_mT4_P12ihipStream_tbEUlT_E1_NS1_11comp_targetILNS1_3genE9ELNS1_11target_archE1100ELNS1_3gpuE3ELNS1_3repE0EEENS1_30default_config_static_selectorELNS0_4arch9wavefront6targetE1EEEvSM_.kd
    .uniform_work_group_size: 1
    .uses_dynamic_stack: false
    .vgpr_count:     0
    .vgpr_spill_count: 0
    .wavefront_size: 64
  - .args:
      - .offset:         0
        .size:           48
        .value_kind:     by_value
    .group_segment_fixed_size: 0
    .kernarg_segment_align: 8
    .kernarg_segment_size: 48
    .language:       OpenCL C
    .language_version:
      - 2
      - 0
    .max_flat_workgroup_size: 256
    .name:           _ZN7rocprim17ROCPRIM_400000_NS6detail17trampoline_kernelINS0_14default_configENS1_22reduce_config_selectorIlEEZNS1_11reduce_implILb1ES3_PlS7_lN6hipcub16HIPCUB_304000_NS6detail34convert_binary_result_type_wrapperINS9_3SumENS9_22TransformInputIteratorIb7NonZeroIiEPilEElEEEE10hipError_tPvRmT1_T2_T3_mT4_P12ihipStream_tbEUlT_E1_NS1_11comp_targetILNS1_3genE8ELNS1_11target_archE1030ELNS1_3gpuE2ELNS1_3repE0EEENS1_30default_config_static_selectorELNS0_4arch9wavefront6targetE1EEEvSM_
    .private_segment_fixed_size: 0
    .sgpr_count:     4
    .sgpr_spill_count: 0
    .symbol:         _ZN7rocprim17ROCPRIM_400000_NS6detail17trampoline_kernelINS0_14default_configENS1_22reduce_config_selectorIlEEZNS1_11reduce_implILb1ES3_PlS7_lN6hipcub16HIPCUB_304000_NS6detail34convert_binary_result_type_wrapperINS9_3SumENS9_22TransformInputIteratorIb7NonZeroIiEPilEElEEEE10hipError_tPvRmT1_T2_T3_mT4_P12ihipStream_tbEUlT_E1_NS1_11comp_targetILNS1_3genE8ELNS1_11target_archE1030ELNS1_3gpuE2ELNS1_3repE0EEENS1_30default_config_static_selectorELNS0_4arch9wavefront6targetE1EEEvSM_.kd
    .uniform_work_group_size: 1
    .uses_dynamic_stack: false
    .vgpr_count:     0
    .vgpr_spill_count: 0
    .wavefront_size: 64
  - .args:
      - .offset:         0
        .size:           72
        .value_kind:     by_value
    .group_segment_fixed_size: 0
    .kernarg_segment_align: 8
    .kernarg_segment_size: 72
    .language:       OpenCL C
    .language_version:
      - 2
      - 0
    .max_flat_workgroup_size: 256
    .name:           _ZN7rocprim17ROCPRIM_400000_NS6detail17trampoline_kernelINS0_14default_configENS1_22reduce_config_selectorIbEEZNS1_11reduce_implILb1ES3_N6hipcub16HIPCUB_304000_NS22TransformInputIteratorIb7NonZeroIiEPilEEPllNS8_6detail34convert_binary_result_type_wrapperINS8_3SumESD_lEEEE10hipError_tPvRmT1_T2_T3_mT4_P12ihipStream_tbEUlT_E0_NS1_11comp_targetILNS1_3genE0ELNS1_11target_archE4294967295ELNS1_3gpuE0ELNS1_3repE0EEENS1_30default_config_static_selectorELNS0_4arch9wavefront6targetE1EEEvSM_
    .private_segment_fixed_size: 0
    .sgpr_count:     4
    .sgpr_spill_count: 0
    .symbol:         _ZN7rocprim17ROCPRIM_400000_NS6detail17trampoline_kernelINS0_14default_configENS1_22reduce_config_selectorIbEEZNS1_11reduce_implILb1ES3_N6hipcub16HIPCUB_304000_NS22TransformInputIteratorIb7NonZeroIiEPilEEPllNS8_6detail34convert_binary_result_type_wrapperINS8_3SumESD_lEEEE10hipError_tPvRmT1_T2_T3_mT4_P12ihipStream_tbEUlT_E0_NS1_11comp_targetILNS1_3genE0ELNS1_11target_archE4294967295ELNS1_3gpuE0ELNS1_3repE0EEENS1_30default_config_static_selectorELNS0_4arch9wavefront6targetE1EEEvSM_.kd
    .uniform_work_group_size: 1
    .uses_dynamic_stack: false
    .vgpr_count:     0
    .vgpr_spill_count: 0
    .wavefront_size: 64
  - .args:
      - .offset:         0
        .size:           72
        .value_kind:     by_value
    .group_segment_fixed_size: 0
    .kernarg_segment_align: 8
    .kernarg_segment_size: 72
    .language:       OpenCL C
    .language_version:
      - 2
      - 0
    .max_flat_workgroup_size: 256
    .name:           _ZN7rocprim17ROCPRIM_400000_NS6detail17trampoline_kernelINS0_14default_configENS1_22reduce_config_selectorIbEEZNS1_11reduce_implILb1ES3_N6hipcub16HIPCUB_304000_NS22TransformInputIteratorIb7NonZeroIiEPilEEPllNS8_6detail34convert_binary_result_type_wrapperINS8_3SumESD_lEEEE10hipError_tPvRmT1_T2_T3_mT4_P12ihipStream_tbEUlT_E0_NS1_11comp_targetILNS1_3genE5ELNS1_11target_archE942ELNS1_3gpuE9ELNS1_3repE0EEENS1_30default_config_static_selectorELNS0_4arch9wavefront6targetE1EEEvSM_
    .private_segment_fixed_size: 0
    .sgpr_count:     4
    .sgpr_spill_count: 0
    .symbol:         _ZN7rocprim17ROCPRIM_400000_NS6detail17trampoline_kernelINS0_14default_configENS1_22reduce_config_selectorIbEEZNS1_11reduce_implILb1ES3_N6hipcub16HIPCUB_304000_NS22TransformInputIteratorIb7NonZeroIiEPilEEPllNS8_6detail34convert_binary_result_type_wrapperINS8_3SumESD_lEEEE10hipError_tPvRmT1_T2_T3_mT4_P12ihipStream_tbEUlT_E0_NS1_11comp_targetILNS1_3genE5ELNS1_11target_archE942ELNS1_3gpuE9ELNS1_3repE0EEENS1_30default_config_static_selectorELNS0_4arch9wavefront6targetE1EEEvSM_.kd
    .uniform_work_group_size: 1
    .uses_dynamic_stack: false
    .vgpr_count:     0
    .vgpr_spill_count: 0
    .wavefront_size: 64
  - .args:
      - .offset:         0
        .size:           72
        .value_kind:     by_value
    .group_segment_fixed_size: 0
    .kernarg_segment_align: 8
    .kernarg_segment_size: 72
    .language:       OpenCL C
    .language_version:
      - 2
      - 0
    .max_flat_workgroup_size: 128
    .name:           _ZN7rocprim17ROCPRIM_400000_NS6detail17trampoline_kernelINS0_14default_configENS1_22reduce_config_selectorIbEEZNS1_11reduce_implILb1ES3_N6hipcub16HIPCUB_304000_NS22TransformInputIteratorIb7NonZeroIiEPilEEPllNS8_6detail34convert_binary_result_type_wrapperINS8_3SumESD_lEEEE10hipError_tPvRmT1_T2_T3_mT4_P12ihipStream_tbEUlT_E0_NS1_11comp_targetILNS1_3genE4ELNS1_11target_archE910ELNS1_3gpuE8ELNS1_3repE0EEENS1_30default_config_static_selectorELNS0_4arch9wavefront6targetE1EEEvSM_
    .private_segment_fixed_size: 0
    .sgpr_count:     4
    .sgpr_spill_count: 0
    .symbol:         _ZN7rocprim17ROCPRIM_400000_NS6detail17trampoline_kernelINS0_14default_configENS1_22reduce_config_selectorIbEEZNS1_11reduce_implILb1ES3_N6hipcub16HIPCUB_304000_NS22TransformInputIteratorIb7NonZeroIiEPilEEPllNS8_6detail34convert_binary_result_type_wrapperINS8_3SumESD_lEEEE10hipError_tPvRmT1_T2_T3_mT4_P12ihipStream_tbEUlT_E0_NS1_11comp_targetILNS1_3genE4ELNS1_11target_archE910ELNS1_3gpuE8ELNS1_3repE0EEENS1_30default_config_static_selectorELNS0_4arch9wavefront6targetE1EEEvSM_.kd
    .uniform_work_group_size: 1
    .uses_dynamic_stack: false
    .vgpr_count:     0
    .vgpr_spill_count: 0
    .wavefront_size: 64
  - .args:
      - .offset:         0
        .size:           72
        .value_kind:     by_value
    .group_segment_fixed_size: 0
    .kernarg_segment_align: 8
    .kernarg_segment_size: 72
    .language:       OpenCL C
    .language_version:
      - 2
      - 0
    .max_flat_workgroup_size: 256
    .name:           _ZN7rocprim17ROCPRIM_400000_NS6detail17trampoline_kernelINS0_14default_configENS1_22reduce_config_selectorIbEEZNS1_11reduce_implILb1ES3_N6hipcub16HIPCUB_304000_NS22TransformInputIteratorIb7NonZeroIiEPilEEPllNS8_6detail34convert_binary_result_type_wrapperINS8_3SumESD_lEEEE10hipError_tPvRmT1_T2_T3_mT4_P12ihipStream_tbEUlT_E0_NS1_11comp_targetILNS1_3genE3ELNS1_11target_archE908ELNS1_3gpuE7ELNS1_3repE0EEENS1_30default_config_static_selectorELNS0_4arch9wavefront6targetE1EEEvSM_
    .private_segment_fixed_size: 0
    .sgpr_count:     4
    .sgpr_spill_count: 0
    .symbol:         _ZN7rocprim17ROCPRIM_400000_NS6detail17trampoline_kernelINS0_14default_configENS1_22reduce_config_selectorIbEEZNS1_11reduce_implILb1ES3_N6hipcub16HIPCUB_304000_NS22TransformInputIteratorIb7NonZeroIiEPilEEPllNS8_6detail34convert_binary_result_type_wrapperINS8_3SumESD_lEEEE10hipError_tPvRmT1_T2_T3_mT4_P12ihipStream_tbEUlT_E0_NS1_11comp_targetILNS1_3genE3ELNS1_11target_archE908ELNS1_3gpuE7ELNS1_3repE0EEENS1_30default_config_static_selectorELNS0_4arch9wavefront6targetE1EEEvSM_.kd
    .uniform_work_group_size: 1
    .uses_dynamic_stack: false
    .vgpr_count:     0
    .vgpr_spill_count: 0
    .wavefront_size: 64
  - .args:
      - .offset:         0
        .size:           72
        .value_kind:     by_value
    .group_segment_fixed_size: 32
    .kernarg_segment_align: 8
    .kernarg_segment_size: 72
    .language:       OpenCL C
    .language_version:
      - 2
      - 0
    .max_flat_workgroup_size: 128
    .name:           _ZN7rocprim17ROCPRIM_400000_NS6detail17trampoline_kernelINS0_14default_configENS1_22reduce_config_selectorIbEEZNS1_11reduce_implILb1ES3_N6hipcub16HIPCUB_304000_NS22TransformInputIteratorIb7NonZeroIiEPilEEPllNS8_6detail34convert_binary_result_type_wrapperINS8_3SumESD_lEEEE10hipError_tPvRmT1_T2_T3_mT4_P12ihipStream_tbEUlT_E0_NS1_11comp_targetILNS1_3genE2ELNS1_11target_archE906ELNS1_3gpuE6ELNS1_3repE0EEENS1_30default_config_static_selectorELNS0_4arch9wavefront6targetE1EEEvSM_
    .private_segment_fixed_size: 0
    .sgpr_count:     24
    .sgpr_spill_count: 0
    .symbol:         _ZN7rocprim17ROCPRIM_400000_NS6detail17trampoline_kernelINS0_14default_configENS1_22reduce_config_selectorIbEEZNS1_11reduce_implILb1ES3_N6hipcub16HIPCUB_304000_NS22TransformInputIteratorIb7NonZeroIiEPilEEPllNS8_6detail34convert_binary_result_type_wrapperINS8_3SumESD_lEEEE10hipError_tPvRmT1_T2_T3_mT4_P12ihipStream_tbEUlT_E0_NS1_11comp_targetILNS1_3genE2ELNS1_11target_archE906ELNS1_3gpuE6ELNS1_3repE0EEENS1_30default_config_static_selectorELNS0_4arch9wavefront6targetE1EEEvSM_.kd
    .uniform_work_group_size: 1
    .uses_dynamic_stack: false
    .vgpr_count:     35
    .vgpr_spill_count: 0
    .wavefront_size: 64
  - .args:
      - .offset:         0
        .size:           72
        .value_kind:     by_value
    .group_segment_fixed_size: 0
    .kernarg_segment_align: 8
    .kernarg_segment_size: 72
    .language:       OpenCL C
    .language_version:
      - 2
      - 0
    .max_flat_workgroup_size: 256
    .name:           _ZN7rocprim17ROCPRIM_400000_NS6detail17trampoline_kernelINS0_14default_configENS1_22reduce_config_selectorIbEEZNS1_11reduce_implILb1ES3_N6hipcub16HIPCUB_304000_NS22TransformInputIteratorIb7NonZeroIiEPilEEPllNS8_6detail34convert_binary_result_type_wrapperINS8_3SumESD_lEEEE10hipError_tPvRmT1_T2_T3_mT4_P12ihipStream_tbEUlT_E0_NS1_11comp_targetILNS1_3genE10ELNS1_11target_archE1201ELNS1_3gpuE5ELNS1_3repE0EEENS1_30default_config_static_selectorELNS0_4arch9wavefront6targetE1EEEvSM_
    .private_segment_fixed_size: 0
    .sgpr_count:     4
    .sgpr_spill_count: 0
    .symbol:         _ZN7rocprim17ROCPRIM_400000_NS6detail17trampoline_kernelINS0_14default_configENS1_22reduce_config_selectorIbEEZNS1_11reduce_implILb1ES3_N6hipcub16HIPCUB_304000_NS22TransformInputIteratorIb7NonZeroIiEPilEEPllNS8_6detail34convert_binary_result_type_wrapperINS8_3SumESD_lEEEE10hipError_tPvRmT1_T2_T3_mT4_P12ihipStream_tbEUlT_E0_NS1_11comp_targetILNS1_3genE10ELNS1_11target_archE1201ELNS1_3gpuE5ELNS1_3repE0EEENS1_30default_config_static_selectorELNS0_4arch9wavefront6targetE1EEEvSM_.kd
    .uniform_work_group_size: 1
    .uses_dynamic_stack: false
    .vgpr_count:     0
    .vgpr_spill_count: 0
    .wavefront_size: 64
  - .args:
      - .offset:         0
        .size:           72
        .value_kind:     by_value
    .group_segment_fixed_size: 0
    .kernarg_segment_align: 8
    .kernarg_segment_size: 72
    .language:       OpenCL C
    .language_version:
      - 2
      - 0
    .max_flat_workgroup_size: 256
    .name:           _ZN7rocprim17ROCPRIM_400000_NS6detail17trampoline_kernelINS0_14default_configENS1_22reduce_config_selectorIbEEZNS1_11reduce_implILb1ES3_N6hipcub16HIPCUB_304000_NS22TransformInputIteratorIb7NonZeroIiEPilEEPllNS8_6detail34convert_binary_result_type_wrapperINS8_3SumESD_lEEEE10hipError_tPvRmT1_T2_T3_mT4_P12ihipStream_tbEUlT_E0_NS1_11comp_targetILNS1_3genE10ELNS1_11target_archE1200ELNS1_3gpuE4ELNS1_3repE0EEENS1_30default_config_static_selectorELNS0_4arch9wavefront6targetE1EEEvSM_
    .private_segment_fixed_size: 0
    .sgpr_count:     4
    .sgpr_spill_count: 0
    .symbol:         _ZN7rocprim17ROCPRIM_400000_NS6detail17trampoline_kernelINS0_14default_configENS1_22reduce_config_selectorIbEEZNS1_11reduce_implILb1ES3_N6hipcub16HIPCUB_304000_NS22TransformInputIteratorIb7NonZeroIiEPilEEPllNS8_6detail34convert_binary_result_type_wrapperINS8_3SumESD_lEEEE10hipError_tPvRmT1_T2_T3_mT4_P12ihipStream_tbEUlT_E0_NS1_11comp_targetILNS1_3genE10ELNS1_11target_archE1200ELNS1_3gpuE4ELNS1_3repE0EEENS1_30default_config_static_selectorELNS0_4arch9wavefront6targetE1EEEvSM_.kd
    .uniform_work_group_size: 1
    .uses_dynamic_stack: false
    .vgpr_count:     0
    .vgpr_spill_count: 0
    .wavefront_size: 64
  - .args:
      - .offset:         0
        .size:           72
        .value_kind:     by_value
    .group_segment_fixed_size: 0
    .kernarg_segment_align: 8
    .kernarg_segment_size: 72
    .language:       OpenCL C
    .language_version:
      - 2
      - 0
    .max_flat_workgroup_size: 128
    .name:           _ZN7rocprim17ROCPRIM_400000_NS6detail17trampoline_kernelINS0_14default_configENS1_22reduce_config_selectorIbEEZNS1_11reduce_implILb1ES3_N6hipcub16HIPCUB_304000_NS22TransformInputIteratorIb7NonZeroIiEPilEEPllNS8_6detail34convert_binary_result_type_wrapperINS8_3SumESD_lEEEE10hipError_tPvRmT1_T2_T3_mT4_P12ihipStream_tbEUlT_E0_NS1_11comp_targetILNS1_3genE9ELNS1_11target_archE1100ELNS1_3gpuE3ELNS1_3repE0EEENS1_30default_config_static_selectorELNS0_4arch9wavefront6targetE1EEEvSM_
    .private_segment_fixed_size: 0
    .sgpr_count:     4
    .sgpr_spill_count: 0
    .symbol:         _ZN7rocprim17ROCPRIM_400000_NS6detail17trampoline_kernelINS0_14default_configENS1_22reduce_config_selectorIbEEZNS1_11reduce_implILb1ES3_N6hipcub16HIPCUB_304000_NS22TransformInputIteratorIb7NonZeroIiEPilEEPllNS8_6detail34convert_binary_result_type_wrapperINS8_3SumESD_lEEEE10hipError_tPvRmT1_T2_T3_mT4_P12ihipStream_tbEUlT_E0_NS1_11comp_targetILNS1_3genE9ELNS1_11target_archE1100ELNS1_3gpuE3ELNS1_3repE0EEENS1_30default_config_static_selectorELNS0_4arch9wavefront6targetE1EEEvSM_.kd
    .uniform_work_group_size: 1
    .uses_dynamic_stack: false
    .vgpr_count:     0
    .vgpr_spill_count: 0
    .wavefront_size: 64
  - .args:
      - .offset:         0
        .size:           72
        .value_kind:     by_value
    .group_segment_fixed_size: 0
    .kernarg_segment_align: 8
    .kernarg_segment_size: 72
    .language:       OpenCL C
    .language_version:
      - 2
      - 0
    .max_flat_workgroup_size: 256
    .name:           _ZN7rocprim17ROCPRIM_400000_NS6detail17trampoline_kernelINS0_14default_configENS1_22reduce_config_selectorIbEEZNS1_11reduce_implILb1ES3_N6hipcub16HIPCUB_304000_NS22TransformInputIteratorIb7NonZeroIiEPilEEPllNS8_6detail34convert_binary_result_type_wrapperINS8_3SumESD_lEEEE10hipError_tPvRmT1_T2_T3_mT4_P12ihipStream_tbEUlT_E0_NS1_11comp_targetILNS1_3genE8ELNS1_11target_archE1030ELNS1_3gpuE2ELNS1_3repE0EEENS1_30default_config_static_selectorELNS0_4arch9wavefront6targetE1EEEvSM_
    .private_segment_fixed_size: 0
    .sgpr_count:     4
    .sgpr_spill_count: 0
    .symbol:         _ZN7rocprim17ROCPRIM_400000_NS6detail17trampoline_kernelINS0_14default_configENS1_22reduce_config_selectorIbEEZNS1_11reduce_implILb1ES3_N6hipcub16HIPCUB_304000_NS22TransformInputIteratorIb7NonZeroIiEPilEEPllNS8_6detail34convert_binary_result_type_wrapperINS8_3SumESD_lEEEE10hipError_tPvRmT1_T2_T3_mT4_P12ihipStream_tbEUlT_E0_NS1_11comp_targetILNS1_3genE8ELNS1_11target_archE1030ELNS1_3gpuE2ELNS1_3repE0EEENS1_30default_config_static_selectorELNS0_4arch9wavefront6targetE1EEEvSM_.kd
    .uniform_work_group_size: 1
    .uses_dynamic_stack: false
    .vgpr_count:     0
    .vgpr_spill_count: 0
    .wavefront_size: 64
  - .args:
      - .offset:         0
        .size:           56
        .value_kind:     by_value
    .group_segment_fixed_size: 0
    .kernarg_segment_align: 8
    .kernarg_segment_size: 56
    .language:       OpenCL C
    .language_version:
      - 2
      - 0
    .max_flat_workgroup_size: 256
    .name:           _ZN7rocprim17ROCPRIM_400000_NS6detail17trampoline_kernelINS0_14default_configENS1_22reduce_config_selectorIbEEZNS1_11reduce_implILb1ES3_N6hipcub16HIPCUB_304000_NS22TransformInputIteratorIb7NonZeroIiEPilEEPllNS8_6detail34convert_binary_result_type_wrapperINS8_3SumESD_lEEEE10hipError_tPvRmT1_T2_T3_mT4_P12ihipStream_tbEUlT_E1_NS1_11comp_targetILNS1_3genE0ELNS1_11target_archE4294967295ELNS1_3gpuE0ELNS1_3repE0EEENS1_30default_config_static_selectorELNS0_4arch9wavefront6targetE1EEEvSM_
    .private_segment_fixed_size: 0
    .sgpr_count:     4
    .sgpr_spill_count: 0
    .symbol:         _ZN7rocprim17ROCPRIM_400000_NS6detail17trampoline_kernelINS0_14default_configENS1_22reduce_config_selectorIbEEZNS1_11reduce_implILb1ES3_N6hipcub16HIPCUB_304000_NS22TransformInputIteratorIb7NonZeroIiEPilEEPllNS8_6detail34convert_binary_result_type_wrapperINS8_3SumESD_lEEEE10hipError_tPvRmT1_T2_T3_mT4_P12ihipStream_tbEUlT_E1_NS1_11comp_targetILNS1_3genE0ELNS1_11target_archE4294967295ELNS1_3gpuE0ELNS1_3repE0EEENS1_30default_config_static_selectorELNS0_4arch9wavefront6targetE1EEEvSM_.kd
    .uniform_work_group_size: 1
    .uses_dynamic_stack: false
    .vgpr_count:     0
    .vgpr_spill_count: 0
    .wavefront_size: 64
  - .args:
      - .offset:         0
        .size:           56
        .value_kind:     by_value
    .group_segment_fixed_size: 0
    .kernarg_segment_align: 8
    .kernarg_segment_size: 56
    .language:       OpenCL C
    .language_version:
      - 2
      - 0
    .max_flat_workgroup_size: 256
    .name:           _ZN7rocprim17ROCPRIM_400000_NS6detail17trampoline_kernelINS0_14default_configENS1_22reduce_config_selectorIbEEZNS1_11reduce_implILb1ES3_N6hipcub16HIPCUB_304000_NS22TransformInputIteratorIb7NonZeroIiEPilEEPllNS8_6detail34convert_binary_result_type_wrapperINS8_3SumESD_lEEEE10hipError_tPvRmT1_T2_T3_mT4_P12ihipStream_tbEUlT_E1_NS1_11comp_targetILNS1_3genE5ELNS1_11target_archE942ELNS1_3gpuE9ELNS1_3repE0EEENS1_30default_config_static_selectorELNS0_4arch9wavefront6targetE1EEEvSM_
    .private_segment_fixed_size: 0
    .sgpr_count:     4
    .sgpr_spill_count: 0
    .symbol:         _ZN7rocprim17ROCPRIM_400000_NS6detail17trampoline_kernelINS0_14default_configENS1_22reduce_config_selectorIbEEZNS1_11reduce_implILb1ES3_N6hipcub16HIPCUB_304000_NS22TransformInputIteratorIb7NonZeroIiEPilEEPllNS8_6detail34convert_binary_result_type_wrapperINS8_3SumESD_lEEEE10hipError_tPvRmT1_T2_T3_mT4_P12ihipStream_tbEUlT_E1_NS1_11comp_targetILNS1_3genE5ELNS1_11target_archE942ELNS1_3gpuE9ELNS1_3repE0EEENS1_30default_config_static_selectorELNS0_4arch9wavefront6targetE1EEEvSM_.kd
    .uniform_work_group_size: 1
    .uses_dynamic_stack: false
    .vgpr_count:     0
    .vgpr_spill_count: 0
    .wavefront_size: 64
  - .args:
      - .offset:         0
        .size:           56
        .value_kind:     by_value
    .group_segment_fixed_size: 0
    .kernarg_segment_align: 8
    .kernarg_segment_size: 56
    .language:       OpenCL C
    .language_version:
      - 2
      - 0
    .max_flat_workgroup_size: 128
    .name:           _ZN7rocprim17ROCPRIM_400000_NS6detail17trampoline_kernelINS0_14default_configENS1_22reduce_config_selectorIbEEZNS1_11reduce_implILb1ES3_N6hipcub16HIPCUB_304000_NS22TransformInputIteratorIb7NonZeroIiEPilEEPllNS8_6detail34convert_binary_result_type_wrapperINS8_3SumESD_lEEEE10hipError_tPvRmT1_T2_T3_mT4_P12ihipStream_tbEUlT_E1_NS1_11comp_targetILNS1_3genE4ELNS1_11target_archE910ELNS1_3gpuE8ELNS1_3repE0EEENS1_30default_config_static_selectorELNS0_4arch9wavefront6targetE1EEEvSM_
    .private_segment_fixed_size: 0
    .sgpr_count:     4
    .sgpr_spill_count: 0
    .symbol:         _ZN7rocprim17ROCPRIM_400000_NS6detail17trampoline_kernelINS0_14default_configENS1_22reduce_config_selectorIbEEZNS1_11reduce_implILb1ES3_N6hipcub16HIPCUB_304000_NS22TransformInputIteratorIb7NonZeroIiEPilEEPllNS8_6detail34convert_binary_result_type_wrapperINS8_3SumESD_lEEEE10hipError_tPvRmT1_T2_T3_mT4_P12ihipStream_tbEUlT_E1_NS1_11comp_targetILNS1_3genE4ELNS1_11target_archE910ELNS1_3gpuE8ELNS1_3repE0EEENS1_30default_config_static_selectorELNS0_4arch9wavefront6targetE1EEEvSM_.kd
    .uniform_work_group_size: 1
    .uses_dynamic_stack: false
    .vgpr_count:     0
    .vgpr_spill_count: 0
    .wavefront_size: 64
  - .args:
      - .offset:         0
        .size:           56
        .value_kind:     by_value
    .group_segment_fixed_size: 0
    .kernarg_segment_align: 8
    .kernarg_segment_size: 56
    .language:       OpenCL C
    .language_version:
      - 2
      - 0
    .max_flat_workgroup_size: 256
    .name:           _ZN7rocprim17ROCPRIM_400000_NS6detail17trampoline_kernelINS0_14default_configENS1_22reduce_config_selectorIbEEZNS1_11reduce_implILb1ES3_N6hipcub16HIPCUB_304000_NS22TransformInputIteratorIb7NonZeroIiEPilEEPllNS8_6detail34convert_binary_result_type_wrapperINS8_3SumESD_lEEEE10hipError_tPvRmT1_T2_T3_mT4_P12ihipStream_tbEUlT_E1_NS1_11comp_targetILNS1_3genE3ELNS1_11target_archE908ELNS1_3gpuE7ELNS1_3repE0EEENS1_30default_config_static_selectorELNS0_4arch9wavefront6targetE1EEEvSM_
    .private_segment_fixed_size: 0
    .sgpr_count:     4
    .sgpr_spill_count: 0
    .symbol:         _ZN7rocprim17ROCPRIM_400000_NS6detail17trampoline_kernelINS0_14default_configENS1_22reduce_config_selectorIbEEZNS1_11reduce_implILb1ES3_N6hipcub16HIPCUB_304000_NS22TransformInputIteratorIb7NonZeroIiEPilEEPllNS8_6detail34convert_binary_result_type_wrapperINS8_3SumESD_lEEEE10hipError_tPvRmT1_T2_T3_mT4_P12ihipStream_tbEUlT_E1_NS1_11comp_targetILNS1_3genE3ELNS1_11target_archE908ELNS1_3gpuE7ELNS1_3repE0EEENS1_30default_config_static_selectorELNS0_4arch9wavefront6targetE1EEEvSM_.kd
    .uniform_work_group_size: 1
    .uses_dynamic_stack: false
    .vgpr_count:     0
    .vgpr_spill_count: 0
    .wavefront_size: 64
  - .args:
      - .offset:         0
        .size:           56
        .value_kind:     by_value
    .group_segment_fixed_size: 144
    .kernarg_segment_align: 8
    .kernarg_segment_size: 56
    .language:       OpenCL C
    .language_version:
      - 2
      - 0
    .max_flat_workgroup_size: 128
    .name:           _ZN7rocprim17ROCPRIM_400000_NS6detail17trampoline_kernelINS0_14default_configENS1_22reduce_config_selectorIbEEZNS1_11reduce_implILb1ES3_N6hipcub16HIPCUB_304000_NS22TransformInputIteratorIb7NonZeroIiEPilEEPllNS8_6detail34convert_binary_result_type_wrapperINS8_3SumESD_lEEEE10hipError_tPvRmT1_T2_T3_mT4_P12ihipStream_tbEUlT_E1_NS1_11comp_targetILNS1_3genE2ELNS1_11target_archE906ELNS1_3gpuE6ELNS1_3repE0EEENS1_30default_config_static_selectorELNS0_4arch9wavefront6targetE1EEEvSM_
    .private_segment_fixed_size: 20
    .sgpr_count:     44
    .sgpr_spill_count: 0
    .symbol:         _ZN7rocprim17ROCPRIM_400000_NS6detail17trampoline_kernelINS0_14default_configENS1_22reduce_config_selectorIbEEZNS1_11reduce_implILb1ES3_N6hipcub16HIPCUB_304000_NS22TransformInputIteratorIb7NonZeroIiEPilEEPllNS8_6detail34convert_binary_result_type_wrapperINS8_3SumESD_lEEEE10hipError_tPvRmT1_T2_T3_mT4_P12ihipStream_tbEUlT_E1_NS1_11comp_targetILNS1_3genE2ELNS1_11target_archE906ELNS1_3gpuE6ELNS1_3repE0EEENS1_30default_config_static_selectorELNS0_4arch9wavefront6targetE1EEEvSM_.kd
    .uniform_work_group_size: 1
    .uses_dynamic_stack: false
    .vgpr_count:     256
    .vgpr_spill_count: 6
    .wavefront_size: 64
  - .args:
      - .offset:         0
        .size:           56
        .value_kind:     by_value
    .group_segment_fixed_size: 0
    .kernarg_segment_align: 8
    .kernarg_segment_size: 56
    .language:       OpenCL C
    .language_version:
      - 2
      - 0
    .max_flat_workgroup_size: 256
    .name:           _ZN7rocprim17ROCPRIM_400000_NS6detail17trampoline_kernelINS0_14default_configENS1_22reduce_config_selectorIbEEZNS1_11reduce_implILb1ES3_N6hipcub16HIPCUB_304000_NS22TransformInputIteratorIb7NonZeroIiEPilEEPllNS8_6detail34convert_binary_result_type_wrapperINS8_3SumESD_lEEEE10hipError_tPvRmT1_T2_T3_mT4_P12ihipStream_tbEUlT_E1_NS1_11comp_targetILNS1_3genE10ELNS1_11target_archE1201ELNS1_3gpuE5ELNS1_3repE0EEENS1_30default_config_static_selectorELNS0_4arch9wavefront6targetE1EEEvSM_
    .private_segment_fixed_size: 0
    .sgpr_count:     4
    .sgpr_spill_count: 0
    .symbol:         _ZN7rocprim17ROCPRIM_400000_NS6detail17trampoline_kernelINS0_14default_configENS1_22reduce_config_selectorIbEEZNS1_11reduce_implILb1ES3_N6hipcub16HIPCUB_304000_NS22TransformInputIteratorIb7NonZeroIiEPilEEPllNS8_6detail34convert_binary_result_type_wrapperINS8_3SumESD_lEEEE10hipError_tPvRmT1_T2_T3_mT4_P12ihipStream_tbEUlT_E1_NS1_11comp_targetILNS1_3genE10ELNS1_11target_archE1201ELNS1_3gpuE5ELNS1_3repE0EEENS1_30default_config_static_selectorELNS0_4arch9wavefront6targetE1EEEvSM_.kd
    .uniform_work_group_size: 1
    .uses_dynamic_stack: false
    .vgpr_count:     0
    .vgpr_spill_count: 0
    .wavefront_size: 64
  - .args:
      - .offset:         0
        .size:           56
        .value_kind:     by_value
    .group_segment_fixed_size: 0
    .kernarg_segment_align: 8
    .kernarg_segment_size: 56
    .language:       OpenCL C
    .language_version:
      - 2
      - 0
    .max_flat_workgroup_size: 256
    .name:           _ZN7rocprim17ROCPRIM_400000_NS6detail17trampoline_kernelINS0_14default_configENS1_22reduce_config_selectorIbEEZNS1_11reduce_implILb1ES3_N6hipcub16HIPCUB_304000_NS22TransformInputIteratorIb7NonZeroIiEPilEEPllNS8_6detail34convert_binary_result_type_wrapperINS8_3SumESD_lEEEE10hipError_tPvRmT1_T2_T3_mT4_P12ihipStream_tbEUlT_E1_NS1_11comp_targetILNS1_3genE10ELNS1_11target_archE1200ELNS1_3gpuE4ELNS1_3repE0EEENS1_30default_config_static_selectorELNS0_4arch9wavefront6targetE1EEEvSM_
    .private_segment_fixed_size: 0
    .sgpr_count:     4
    .sgpr_spill_count: 0
    .symbol:         _ZN7rocprim17ROCPRIM_400000_NS6detail17trampoline_kernelINS0_14default_configENS1_22reduce_config_selectorIbEEZNS1_11reduce_implILb1ES3_N6hipcub16HIPCUB_304000_NS22TransformInputIteratorIb7NonZeroIiEPilEEPllNS8_6detail34convert_binary_result_type_wrapperINS8_3SumESD_lEEEE10hipError_tPvRmT1_T2_T3_mT4_P12ihipStream_tbEUlT_E1_NS1_11comp_targetILNS1_3genE10ELNS1_11target_archE1200ELNS1_3gpuE4ELNS1_3repE0EEENS1_30default_config_static_selectorELNS0_4arch9wavefront6targetE1EEEvSM_.kd
    .uniform_work_group_size: 1
    .uses_dynamic_stack: false
    .vgpr_count:     0
    .vgpr_spill_count: 0
    .wavefront_size: 64
  - .args:
      - .offset:         0
        .size:           56
        .value_kind:     by_value
    .group_segment_fixed_size: 0
    .kernarg_segment_align: 8
    .kernarg_segment_size: 56
    .language:       OpenCL C
    .language_version:
      - 2
      - 0
    .max_flat_workgroup_size: 128
    .name:           _ZN7rocprim17ROCPRIM_400000_NS6detail17trampoline_kernelINS0_14default_configENS1_22reduce_config_selectorIbEEZNS1_11reduce_implILb1ES3_N6hipcub16HIPCUB_304000_NS22TransformInputIteratorIb7NonZeroIiEPilEEPllNS8_6detail34convert_binary_result_type_wrapperINS8_3SumESD_lEEEE10hipError_tPvRmT1_T2_T3_mT4_P12ihipStream_tbEUlT_E1_NS1_11comp_targetILNS1_3genE9ELNS1_11target_archE1100ELNS1_3gpuE3ELNS1_3repE0EEENS1_30default_config_static_selectorELNS0_4arch9wavefront6targetE1EEEvSM_
    .private_segment_fixed_size: 0
    .sgpr_count:     4
    .sgpr_spill_count: 0
    .symbol:         _ZN7rocprim17ROCPRIM_400000_NS6detail17trampoline_kernelINS0_14default_configENS1_22reduce_config_selectorIbEEZNS1_11reduce_implILb1ES3_N6hipcub16HIPCUB_304000_NS22TransformInputIteratorIb7NonZeroIiEPilEEPllNS8_6detail34convert_binary_result_type_wrapperINS8_3SumESD_lEEEE10hipError_tPvRmT1_T2_T3_mT4_P12ihipStream_tbEUlT_E1_NS1_11comp_targetILNS1_3genE9ELNS1_11target_archE1100ELNS1_3gpuE3ELNS1_3repE0EEENS1_30default_config_static_selectorELNS0_4arch9wavefront6targetE1EEEvSM_.kd
    .uniform_work_group_size: 1
    .uses_dynamic_stack: false
    .vgpr_count:     0
    .vgpr_spill_count: 0
    .wavefront_size: 64
  - .args:
      - .offset:         0
        .size:           56
        .value_kind:     by_value
    .group_segment_fixed_size: 0
    .kernarg_segment_align: 8
    .kernarg_segment_size: 56
    .language:       OpenCL C
    .language_version:
      - 2
      - 0
    .max_flat_workgroup_size: 256
    .name:           _ZN7rocprim17ROCPRIM_400000_NS6detail17trampoline_kernelINS0_14default_configENS1_22reduce_config_selectorIbEEZNS1_11reduce_implILb1ES3_N6hipcub16HIPCUB_304000_NS22TransformInputIteratorIb7NonZeroIiEPilEEPllNS8_6detail34convert_binary_result_type_wrapperINS8_3SumESD_lEEEE10hipError_tPvRmT1_T2_T3_mT4_P12ihipStream_tbEUlT_E1_NS1_11comp_targetILNS1_3genE8ELNS1_11target_archE1030ELNS1_3gpuE2ELNS1_3repE0EEENS1_30default_config_static_selectorELNS0_4arch9wavefront6targetE1EEEvSM_
    .private_segment_fixed_size: 0
    .sgpr_count:     4
    .sgpr_spill_count: 0
    .symbol:         _ZN7rocprim17ROCPRIM_400000_NS6detail17trampoline_kernelINS0_14default_configENS1_22reduce_config_selectorIbEEZNS1_11reduce_implILb1ES3_N6hipcub16HIPCUB_304000_NS22TransformInputIteratorIb7NonZeroIiEPilEEPllNS8_6detail34convert_binary_result_type_wrapperINS8_3SumESD_lEEEE10hipError_tPvRmT1_T2_T3_mT4_P12ihipStream_tbEUlT_E1_NS1_11comp_targetILNS1_3genE8ELNS1_11target_archE1030ELNS1_3gpuE2ELNS1_3repE0EEENS1_30default_config_static_selectorELNS0_4arch9wavefront6targetE1EEEvSM_.kd
    .uniform_work_group_size: 1
    .uses_dynamic_stack: false
    .vgpr_count:     0
    .vgpr_spill_count: 0
    .wavefront_size: 64
  - .args:
      - .offset:         0
        .size:           120
        .value_kind:     by_value
    .group_segment_fixed_size: 0
    .kernarg_segment_align: 8
    .kernarg_segment_size: 120
    .language:       OpenCL C
    .language_version:
      - 2
      - 0
    .max_flat_workgroup_size: 128
    .name:           _ZN7rocprim17ROCPRIM_400000_NS6detail17trampoline_kernelINS0_14default_configENS1_25partition_config_selectorILNS1_17partition_subalgoE5ElNS0_10empty_typeEbEEZZNS1_14partition_implILS5_5ELb0ES3_mN6hipcub16HIPCUB_304000_NS21CountingInputIteratorIllEEPS6_NSA_22TransformInputIteratorIb7NonZeroIiEPilEENS0_5tupleIJPlS6_EEENSJ_IJSD_SD_EEES6_SK_JS6_EEE10hipError_tPvRmT3_T4_T5_T6_T7_T9_mT8_P12ihipStream_tbDpT10_ENKUlT_T0_E_clISt17integral_constantIbLb0EES16_EEDaS11_S12_EUlS11_E_NS1_11comp_targetILNS1_3genE0ELNS1_11target_archE4294967295ELNS1_3gpuE0ELNS1_3repE0EEENS1_30default_config_static_selectorELNS0_4arch9wavefront6targetE1EEEvT1_
    .private_segment_fixed_size: 0
    .sgpr_count:     4
    .sgpr_spill_count: 0
    .symbol:         _ZN7rocprim17ROCPRIM_400000_NS6detail17trampoline_kernelINS0_14default_configENS1_25partition_config_selectorILNS1_17partition_subalgoE5ElNS0_10empty_typeEbEEZZNS1_14partition_implILS5_5ELb0ES3_mN6hipcub16HIPCUB_304000_NS21CountingInputIteratorIllEEPS6_NSA_22TransformInputIteratorIb7NonZeroIiEPilEENS0_5tupleIJPlS6_EEENSJ_IJSD_SD_EEES6_SK_JS6_EEE10hipError_tPvRmT3_T4_T5_T6_T7_T9_mT8_P12ihipStream_tbDpT10_ENKUlT_T0_E_clISt17integral_constantIbLb0EES16_EEDaS11_S12_EUlS11_E_NS1_11comp_targetILNS1_3genE0ELNS1_11target_archE4294967295ELNS1_3gpuE0ELNS1_3repE0EEENS1_30default_config_static_selectorELNS0_4arch9wavefront6targetE1EEEvT1_.kd
    .uniform_work_group_size: 1
    .uses_dynamic_stack: false
    .vgpr_count:     0
    .vgpr_spill_count: 0
    .wavefront_size: 64
  - .args:
      - .offset:         0
        .size:           120
        .value_kind:     by_value
    .group_segment_fixed_size: 0
    .kernarg_segment_align: 8
    .kernarg_segment_size: 120
    .language:       OpenCL C
    .language_version:
      - 2
      - 0
    .max_flat_workgroup_size: 512
    .name:           _ZN7rocprim17ROCPRIM_400000_NS6detail17trampoline_kernelINS0_14default_configENS1_25partition_config_selectorILNS1_17partition_subalgoE5ElNS0_10empty_typeEbEEZZNS1_14partition_implILS5_5ELb0ES3_mN6hipcub16HIPCUB_304000_NS21CountingInputIteratorIllEEPS6_NSA_22TransformInputIteratorIb7NonZeroIiEPilEENS0_5tupleIJPlS6_EEENSJ_IJSD_SD_EEES6_SK_JS6_EEE10hipError_tPvRmT3_T4_T5_T6_T7_T9_mT8_P12ihipStream_tbDpT10_ENKUlT_T0_E_clISt17integral_constantIbLb0EES16_EEDaS11_S12_EUlS11_E_NS1_11comp_targetILNS1_3genE5ELNS1_11target_archE942ELNS1_3gpuE9ELNS1_3repE0EEENS1_30default_config_static_selectorELNS0_4arch9wavefront6targetE1EEEvT1_
    .private_segment_fixed_size: 0
    .sgpr_count:     4
    .sgpr_spill_count: 0
    .symbol:         _ZN7rocprim17ROCPRIM_400000_NS6detail17trampoline_kernelINS0_14default_configENS1_25partition_config_selectorILNS1_17partition_subalgoE5ElNS0_10empty_typeEbEEZZNS1_14partition_implILS5_5ELb0ES3_mN6hipcub16HIPCUB_304000_NS21CountingInputIteratorIllEEPS6_NSA_22TransformInputIteratorIb7NonZeroIiEPilEENS0_5tupleIJPlS6_EEENSJ_IJSD_SD_EEES6_SK_JS6_EEE10hipError_tPvRmT3_T4_T5_T6_T7_T9_mT8_P12ihipStream_tbDpT10_ENKUlT_T0_E_clISt17integral_constantIbLb0EES16_EEDaS11_S12_EUlS11_E_NS1_11comp_targetILNS1_3genE5ELNS1_11target_archE942ELNS1_3gpuE9ELNS1_3repE0EEENS1_30default_config_static_selectorELNS0_4arch9wavefront6targetE1EEEvT1_.kd
    .uniform_work_group_size: 1
    .uses_dynamic_stack: false
    .vgpr_count:     0
    .vgpr_spill_count: 0
    .wavefront_size: 64
  - .args:
      - .offset:         0
        .size:           120
        .value_kind:     by_value
    .group_segment_fixed_size: 0
    .kernarg_segment_align: 8
    .kernarg_segment_size: 120
    .language:       OpenCL C
    .language_version:
      - 2
      - 0
    .max_flat_workgroup_size: 192
    .name:           _ZN7rocprim17ROCPRIM_400000_NS6detail17trampoline_kernelINS0_14default_configENS1_25partition_config_selectorILNS1_17partition_subalgoE5ElNS0_10empty_typeEbEEZZNS1_14partition_implILS5_5ELb0ES3_mN6hipcub16HIPCUB_304000_NS21CountingInputIteratorIllEEPS6_NSA_22TransformInputIteratorIb7NonZeroIiEPilEENS0_5tupleIJPlS6_EEENSJ_IJSD_SD_EEES6_SK_JS6_EEE10hipError_tPvRmT3_T4_T5_T6_T7_T9_mT8_P12ihipStream_tbDpT10_ENKUlT_T0_E_clISt17integral_constantIbLb0EES16_EEDaS11_S12_EUlS11_E_NS1_11comp_targetILNS1_3genE4ELNS1_11target_archE910ELNS1_3gpuE8ELNS1_3repE0EEENS1_30default_config_static_selectorELNS0_4arch9wavefront6targetE1EEEvT1_
    .private_segment_fixed_size: 0
    .sgpr_count:     4
    .sgpr_spill_count: 0
    .symbol:         _ZN7rocprim17ROCPRIM_400000_NS6detail17trampoline_kernelINS0_14default_configENS1_25partition_config_selectorILNS1_17partition_subalgoE5ElNS0_10empty_typeEbEEZZNS1_14partition_implILS5_5ELb0ES3_mN6hipcub16HIPCUB_304000_NS21CountingInputIteratorIllEEPS6_NSA_22TransformInputIteratorIb7NonZeroIiEPilEENS0_5tupleIJPlS6_EEENSJ_IJSD_SD_EEES6_SK_JS6_EEE10hipError_tPvRmT3_T4_T5_T6_T7_T9_mT8_P12ihipStream_tbDpT10_ENKUlT_T0_E_clISt17integral_constantIbLb0EES16_EEDaS11_S12_EUlS11_E_NS1_11comp_targetILNS1_3genE4ELNS1_11target_archE910ELNS1_3gpuE8ELNS1_3repE0EEENS1_30default_config_static_selectorELNS0_4arch9wavefront6targetE1EEEvT1_.kd
    .uniform_work_group_size: 1
    .uses_dynamic_stack: false
    .vgpr_count:     0
    .vgpr_spill_count: 0
    .wavefront_size: 64
  - .args:
      - .offset:         0
        .size:           120
        .value_kind:     by_value
    .group_segment_fixed_size: 0
    .kernarg_segment_align: 8
    .kernarg_segment_size: 120
    .language:       OpenCL C
    .language_version:
      - 2
      - 0
    .max_flat_workgroup_size: 128
    .name:           _ZN7rocprim17ROCPRIM_400000_NS6detail17trampoline_kernelINS0_14default_configENS1_25partition_config_selectorILNS1_17partition_subalgoE5ElNS0_10empty_typeEbEEZZNS1_14partition_implILS5_5ELb0ES3_mN6hipcub16HIPCUB_304000_NS21CountingInputIteratorIllEEPS6_NSA_22TransformInputIteratorIb7NonZeroIiEPilEENS0_5tupleIJPlS6_EEENSJ_IJSD_SD_EEES6_SK_JS6_EEE10hipError_tPvRmT3_T4_T5_T6_T7_T9_mT8_P12ihipStream_tbDpT10_ENKUlT_T0_E_clISt17integral_constantIbLb0EES16_EEDaS11_S12_EUlS11_E_NS1_11comp_targetILNS1_3genE3ELNS1_11target_archE908ELNS1_3gpuE7ELNS1_3repE0EEENS1_30default_config_static_selectorELNS0_4arch9wavefront6targetE1EEEvT1_
    .private_segment_fixed_size: 0
    .sgpr_count:     4
    .sgpr_spill_count: 0
    .symbol:         _ZN7rocprim17ROCPRIM_400000_NS6detail17trampoline_kernelINS0_14default_configENS1_25partition_config_selectorILNS1_17partition_subalgoE5ElNS0_10empty_typeEbEEZZNS1_14partition_implILS5_5ELb0ES3_mN6hipcub16HIPCUB_304000_NS21CountingInputIteratorIllEEPS6_NSA_22TransformInputIteratorIb7NonZeroIiEPilEENS0_5tupleIJPlS6_EEENSJ_IJSD_SD_EEES6_SK_JS6_EEE10hipError_tPvRmT3_T4_T5_T6_T7_T9_mT8_P12ihipStream_tbDpT10_ENKUlT_T0_E_clISt17integral_constantIbLb0EES16_EEDaS11_S12_EUlS11_E_NS1_11comp_targetILNS1_3genE3ELNS1_11target_archE908ELNS1_3gpuE7ELNS1_3repE0EEENS1_30default_config_static_selectorELNS0_4arch9wavefront6targetE1EEEvT1_.kd
    .uniform_work_group_size: 1
    .uses_dynamic_stack: false
    .vgpr_count:     0
    .vgpr_spill_count: 0
    .wavefront_size: 64
  - .args:
      - .offset:         0
        .size:           120
        .value_kind:     by_value
    .group_segment_fixed_size: 14352
    .kernarg_segment_align: 8
    .kernarg_segment_size: 120
    .language:       OpenCL C
    .language_version:
      - 2
      - 0
    .max_flat_workgroup_size: 256
    .name:           _ZN7rocprim17ROCPRIM_400000_NS6detail17trampoline_kernelINS0_14default_configENS1_25partition_config_selectorILNS1_17partition_subalgoE5ElNS0_10empty_typeEbEEZZNS1_14partition_implILS5_5ELb0ES3_mN6hipcub16HIPCUB_304000_NS21CountingInputIteratorIllEEPS6_NSA_22TransformInputIteratorIb7NonZeroIiEPilEENS0_5tupleIJPlS6_EEENSJ_IJSD_SD_EEES6_SK_JS6_EEE10hipError_tPvRmT3_T4_T5_T6_T7_T9_mT8_P12ihipStream_tbDpT10_ENKUlT_T0_E_clISt17integral_constantIbLb0EES16_EEDaS11_S12_EUlS11_E_NS1_11comp_targetILNS1_3genE2ELNS1_11target_archE906ELNS1_3gpuE6ELNS1_3repE0EEENS1_30default_config_static_selectorELNS0_4arch9wavefront6targetE1EEEvT1_
    .private_segment_fixed_size: 0
    .sgpr_count:     30
    .sgpr_spill_count: 0
    .symbol:         _ZN7rocprim17ROCPRIM_400000_NS6detail17trampoline_kernelINS0_14default_configENS1_25partition_config_selectorILNS1_17partition_subalgoE5ElNS0_10empty_typeEbEEZZNS1_14partition_implILS5_5ELb0ES3_mN6hipcub16HIPCUB_304000_NS21CountingInputIteratorIllEEPS6_NSA_22TransformInputIteratorIb7NonZeroIiEPilEENS0_5tupleIJPlS6_EEENSJ_IJSD_SD_EEES6_SK_JS6_EEE10hipError_tPvRmT3_T4_T5_T6_T7_T9_mT8_P12ihipStream_tbDpT10_ENKUlT_T0_E_clISt17integral_constantIbLb0EES16_EEDaS11_S12_EUlS11_E_NS1_11comp_targetILNS1_3genE2ELNS1_11target_archE906ELNS1_3gpuE6ELNS1_3repE0EEENS1_30default_config_static_selectorELNS0_4arch9wavefront6targetE1EEEvT1_.kd
    .uniform_work_group_size: 1
    .uses_dynamic_stack: false
    .vgpr_count:     59
    .vgpr_spill_count: 0
    .wavefront_size: 64
  - .args:
      - .offset:         0
        .size:           120
        .value_kind:     by_value
    .group_segment_fixed_size: 0
    .kernarg_segment_align: 8
    .kernarg_segment_size: 120
    .language:       OpenCL C
    .language_version:
      - 2
      - 0
    .max_flat_workgroup_size: 256
    .name:           _ZN7rocprim17ROCPRIM_400000_NS6detail17trampoline_kernelINS0_14default_configENS1_25partition_config_selectorILNS1_17partition_subalgoE5ElNS0_10empty_typeEbEEZZNS1_14partition_implILS5_5ELb0ES3_mN6hipcub16HIPCUB_304000_NS21CountingInputIteratorIllEEPS6_NSA_22TransformInputIteratorIb7NonZeroIiEPilEENS0_5tupleIJPlS6_EEENSJ_IJSD_SD_EEES6_SK_JS6_EEE10hipError_tPvRmT3_T4_T5_T6_T7_T9_mT8_P12ihipStream_tbDpT10_ENKUlT_T0_E_clISt17integral_constantIbLb0EES16_EEDaS11_S12_EUlS11_E_NS1_11comp_targetILNS1_3genE10ELNS1_11target_archE1200ELNS1_3gpuE4ELNS1_3repE0EEENS1_30default_config_static_selectorELNS0_4arch9wavefront6targetE1EEEvT1_
    .private_segment_fixed_size: 0
    .sgpr_count:     4
    .sgpr_spill_count: 0
    .symbol:         _ZN7rocprim17ROCPRIM_400000_NS6detail17trampoline_kernelINS0_14default_configENS1_25partition_config_selectorILNS1_17partition_subalgoE5ElNS0_10empty_typeEbEEZZNS1_14partition_implILS5_5ELb0ES3_mN6hipcub16HIPCUB_304000_NS21CountingInputIteratorIllEEPS6_NSA_22TransformInputIteratorIb7NonZeroIiEPilEENS0_5tupleIJPlS6_EEENSJ_IJSD_SD_EEES6_SK_JS6_EEE10hipError_tPvRmT3_T4_T5_T6_T7_T9_mT8_P12ihipStream_tbDpT10_ENKUlT_T0_E_clISt17integral_constantIbLb0EES16_EEDaS11_S12_EUlS11_E_NS1_11comp_targetILNS1_3genE10ELNS1_11target_archE1200ELNS1_3gpuE4ELNS1_3repE0EEENS1_30default_config_static_selectorELNS0_4arch9wavefront6targetE1EEEvT1_.kd
    .uniform_work_group_size: 1
    .uses_dynamic_stack: false
    .vgpr_count:     0
    .vgpr_spill_count: 0
    .wavefront_size: 64
  - .args:
      - .offset:         0
        .size:           120
        .value_kind:     by_value
    .group_segment_fixed_size: 0
    .kernarg_segment_align: 8
    .kernarg_segment_size: 120
    .language:       OpenCL C
    .language_version:
      - 2
      - 0
    .max_flat_workgroup_size: 128
    .name:           _ZN7rocprim17ROCPRIM_400000_NS6detail17trampoline_kernelINS0_14default_configENS1_25partition_config_selectorILNS1_17partition_subalgoE5ElNS0_10empty_typeEbEEZZNS1_14partition_implILS5_5ELb0ES3_mN6hipcub16HIPCUB_304000_NS21CountingInputIteratorIllEEPS6_NSA_22TransformInputIteratorIb7NonZeroIiEPilEENS0_5tupleIJPlS6_EEENSJ_IJSD_SD_EEES6_SK_JS6_EEE10hipError_tPvRmT3_T4_T5_T6_T7_T9_mT8_P12ihipStream_tbDpT10_ENKUlT_T0_E_clISt17integral_constantIbLb0EES16_EEDaS11_S12_EUlS11_E_NS1_11comp_targetILNS1_3genE9ELNS1_11target_archE1100ELNS1_3gpuE3ELNS1_3repE0EEENS1_30default_config_static_selectorELNS0_4arch9wavefront6targetE1EEEvT1_
    .private_segment_fixed_size: 0
    .sgpr_count:     4
    .sgpr_spill_count: 0
    .symbol:         _ZN7rocprim17ROCPRIM_400000_NS6detail17trampoline_kernelINS0_14default_configENS1_25partition_config_selectorILNS1_17partition_subalgoE5ElNS0_10empty_typeEbEEZZNS1_14partition_implILS5_5ELb0ES3_mN6hipcub16HIPCUB_304000_NS21CountingInputIteratorIllEEPS6_NSA_22TransformInputIteratorIb7NonZeroIiEPilEENS0_5tupleIJPlS6_EEENSJ_IJSD_SD_EEES6_SK_JS6_EEE10hipError_tPvRmT3_T4_T5_T6_T7_T9_mT8_P12ihipStream_tbDpT10_ENKUlT_T0_E_clISt17integral_constantIbLb0EES16_EEDaS11_S12_EUlS11_E_NS1_11comp_targetILNS1_3genE9ELNS1_11target_archE1100ELNS1_3gpuE3ELNS1_3repE0EEENS1_30default_config_static_selectorELNS0_4arch9wavefront6targetE1EEEvT1_.kd
    .uniform_work_group_size: 1
    .uses_dynamic_stack: false
    .vgpr_count:     0
    .vgpr_spill_count: 0
    .wavefront_size: 64
  - .args:
      - .offset:         0
        .size:           120
        .value_kind:     by_value
    .group_segment_fixed_size: 0
    .kernarg_segment_align: 8
    .kernarg_segment_size: 120
    .language:       OpenCL C
    .language_version:
      - 2
      - 0
    .max_flat_workgroup_size: 512
    .name:           _ZN7rocprim17ROCPRIM_400000_NS6detail17trampoline_kernelINS0_14default_configENS1_25partition_config_selectorILNS1_17partition_subalgoE5ElNS0_10empty_typeEbEEZZNS1_14partition_implILS5_5ELb0ES3_mN6hipcub16HIPCUB_304000_NS21CountingInputIteratorIllEEPS6_NSA_22TransformInputIteratorIb7NonZeroIiEPilEENS0_5tupleIJPlS6_EEENSJ_IJSD_SD_EEES6_SK_JS6_EEE10hipError_tPvRmT3_T4_T5_T6_T7_T9_mT8_P12ihipStream_tbDpT10_ENKUlT_T0_E_clISt17integral_constantIbLb0EES16_EEDaS11_S12_EUlS11_E_NS1_11comp_targetILNS1_3genE8ELNS1_11target_archE1030ELNS1_3gpuE2ELNS1_3repE0EEENS1_30default_config_static_selectorELNS0_4arch9wavefront6targetE1EEEvT1_
    .private_segment_fixed_size: 0
    .sgpr_count:     4
    .sgpr_spill_count: 0
    .symbol:         _ZN7rocprim17ROCPRIM_400000_NS6detail17trampoline_kernelINS0_14default_configENS1_25partition_config_selectorILNS1_17partition_subalgoE5ElNS0_10empty_typeEbEEZZNS1_14partition_implILS5_5ELb0ES3_mN6hipcub16HIPCUB_304000_NS21CountingInputIteratorIllEEPS6_NSA_22TransformInputIteratorIb7NonZeroIiEPilEENS0_5tupleIJPlS6_EEENSJ_IJSD_SD_EEES6_SK_JS6_EEE10hipError_tPvRmT3_T4_T5_T6_T7_T9_mT8_P12ihipStream_tbDpT10_ENKUlT_T0_E_clISt17integral_constantIbLb0EES16_EEDaS11_S12_EUlS11_E_NS1_11comp_targetILNS1_3genE8ELNS1_11target_archE1030ELNS1_3gpuE2ELNS1_3repE0EEENS1_30default_config_static_selectorELNS0_4arch9wavefront6targetE1EEEvT1_.kd
    .uniform_work_group_size: 1
    .uses_dynamic_stack: false
    .vgpr_count:     0
    .vgpr_spill_count: 0
    .wavefront_size: 64
  - .args:
      - .offset:         0
        .size:           136
        .value_kind:     by_value
    .group_segment_fixed_size: 0
    .kernarg_segment_align: 8
    .kernarg_segment_size: 136
    .language:       OpenCL C
    .language_version:
      - 2
      - 0
    .max_flat_workgroup_size: 128
    .name:           _ZN7rocprim17ROCPRIM_400000_NS6detail17trampoline_kernelINS0_14default_configENS1_25partition_config_selectorILNS1_17partition_subalgoE5ElNS0_10empty_typeEbEEZZNS1_14partition_implILS5_5ELb0ES3_mN6hipcub16HIPCUB_304000_NS21CountingInputIteratorIllEEPS6_NSA_22TransformInputIteratorIb7NonZeroIiEPilEENS0_5tupleIJPlS6_EEENSJ_IJSD_SD_EEES6_SK_JS6_EEE10hipError_tPvRmT3_T4_T5_T6_T7_T9_mT8_P12ihipStream_tbDpT10_ENKUlT_T0_E_clISt17integral_constantIbLb1EES16_EEDaS11_S12_EUlS11_E_NS1_11comp_targetILNS1_3genE0ELNS1_11target_archE4294967295ELNS1_3gpuE0ELNS1_3repE0EEENS1_30default_config_static_selectorELNS0_4arch9wavefront6targetE1EEEvT1_
    .private_segment_fixed_size: 0
    .sgpr_count:     4
    .sgpr_spill_count: 0
    .symbol:         _ZN7rocprim17ROCPRIM_400000_NS6detail17trampoline_kernelINS0_14default_configENS1_25partition_config_selectorILNS1_17partition_subalgoE5ElNS0_10empty_typeEbEEZZNS1_14partition_implILS5_5ELb0ES3_mN6hipcub16HIPCUB_304000_NS21CountingInputIteratorIllEEPS6_NSA_22TransformInputIteratorIb7NonZeroIiEPilEENS0_5tupleIJPlS6_EEENSJ_IJSD_SD_EEES6_SK_JS6_EEE10hipError_tPvRmT3_T4_T5_T6_T7_T9_mT8_P12ihipStream_tbDpT10_ENKUlT_T0_E_clISt17integral_constantIbLb1EES16_EEDaS11_S12_EUlS11_E_NS1_11comp_targetILNS1_3genE0ELNS1_11target_archE4294967295ELNS1_3gpuE0ELNS1_3repE0EEENS1_30default_config_static_selectorELNS0_4arch9wavefront6targetE1EEEvT1_.kd
    .uniform_work_group_size: 1
    .uses_dynamic_stack: false
    .vgpr_count:     0
    .vgpr_spill_count: 0
    .wavefront_size: 64
  - .args:
      - .offset:         0
        .size:           136
        .value_kind:     by_value
    .group_segment_fixed_size: 0
    .kernarg_segment_align: 8
    .kernarg_segment_size: 136
    .language:       OpenCL C
    .language_version:
      - 2
      - 0
    .max_flat_workgroup_size: 512
    .name:           _ZN7rocprim17ROCPRIM_400000_NS6detail17trampoline_kernelINS0_14default_configENS1_25partition_config_selectorILNS1_17partition_subalgoE5ElNS0_10empty_typeEbEEZZNS1_14partition_implILS5_5ELb0ES3_mN6hipcub16HIPCUB_304000_NS21CountingInputIteratorIllEEPS6_NSA_22TransformInputIteratorIb7NonZeroIiEPilEENS0_5tupleIJPlS6_EEENSJ_IJSD_SD_EEES6_SK_JS6_EEE10hipError_tPvRmT3_T4_T5_T6_T7_T9_mT8_P12ihipStream_tbDpT10_ENKUlT_T0_E_clISt17integral_constantIbLb1EES16_EEDaS11_S12_EUlS11_E_NS1_11comp_targetILNS1_3genE5ELNS1_11target_archE942ELNS1_3gpuE9ELNS1_3repE0EEENS1_30default_config_static_selectorELNS0_4arch9wavefront6targetE1EEEvT1_
    .private_segment_fixed_size: 0
    .sgpr_count:     4
    .sgpr_spill_count: 0
    .symbol:         _ZN7rocprim17ROCPRIM_400000_NS6detail17trampoline_kernelINS0_14default_configENS1_25partition_config_selectorILNS1_17partition_subalgoE5ElNS0_10empty_typeEbEEZZNS1_14partition_implILS5_5ELb0ES3_mN6hipcub16HIPCUB_304000_NS21CountingInputIteratorIllEEPS6_NSA_22TransformInputIteratorIb7NonZeroIiEPilEENS0_5tupleIJPlS6_EEENSJ_IJSD_SD_EEES6_SK_JS6_EEE10hipError_tPvRmT3_T4_T5_T6_T7_T9_mT8_P12ihipStream_tbDpT10_ENKUlT_T0_E_clISt17integral_constantIbLb1EES16_EEDaS11_S12_EUlS11_E_NS1_11comp_targetILNS1_3genE5ELNS1_11target_archE942ELNS1_3gpuE9ELNS1_3repE0EEENS1_30default_config_static_selectorELNS0_4arch9wavefront6targetE1EEEvT1_.kd
    .uniform_work_group_size: 1
    .uses_dynamic_stack: false
    .vgpr_count:     0
    .vgpr_spill_count: 0
    .wavefront_size: 64
  - .args:
      - .offset:         0
        .size:           136
        .value_kind:     by_value
    .group_segment_fixed_size: 0
    .kernarg_segment_align: 8
    .kernarg_segment_size: 136
    .language:       OpenCL C
    .language_version:
      - 2
      - 0
    .max_flat_workgroup_size: 192
    .name:           _ZN7rocprim17ROCPRIM_400000_NS6detail17trampoline_kernelINS0_14default_configENS1_25partition_config_selectorILNS1_17partition_subalgoE5ElNS0_10empty_typeEbEEZZNS1_14partition_implILS5_5ELb0ES3_mN6hipcub16HIPCUB_304000_NS21CountingInputIteratorIllEEPS6_NSA_22TransformInputIteratorIb7NonZeroIiEPilEENS0_5tupleIJPlS6_EEENSJ_IJSD_SD_EEES6_SK_JS6_EEE10hipError_tPvRmT3_T4_T5_T6_T7_T9_mT8_P12ihipStream_tbDpT10_ENKUlT_T0_E_clISt17integral_constantIbLb1EES16_EEDaS11_S12_EUlS11_E_NS1_11comp_targetILNS1_3genE4ELNS1_11target_archE910ELNS1_3gpuE8ELNS1_3repE0EEENS1_30default_config_static_selectorELNS0_4arch9wavefront6targetE1EEEvT1_
    .private_segment_fixed_size: 0
    .sgpr_count:     4
    .sgpr_spill_count: 0
    .symbol:         _ZN7rocprim17ROCPRIM_400000_NS6detail17trampoline_kernelINS0_14default_configENS1_25partition_config_selectorILNS1_17partition_subalgoE5ElNS0_10empty_typeEbEEZZNS1_14partition_implILS5_5ELb0ES3_mN6hipcub16HIPCUB_304000_NS21CountingInputIteratorIllEEPS6_NSA_22TransformInputIteratorIb7NonZeroIiEPilEENS0_5tupleIJPlS6_EEENSJ_IJSD_SD_EEES6_SK_JS6_EEE10hipError_tPvRmT3_T4_T5_T6_T7_T9_mT8_P12ihipStream_tbDpT10_ENKUlT_T0_E_clISt17integral_constantIbLb1EES16_EEDaS11_S12_EUlS11_E_NS1_11comp_targetILNS1_3genE4ELNS1_11target_archE910ELNS1_3gpuE8ELNS1_3repE0EEENS1_30default_config_static_selectorELNS0_4arch9wavefront6targetE1EEEvT1_.kd
    .uniform_work_group_size: 1
    .uses_dynamic_stack: false
    .vgpr_count:     0
    .vgpr_spill_count: 0
    .wavefront_size: 64
  - .args:
      - .offset:         0
        .size:           136
        .value_kind:     by_value
    .group_segment_fixed_size: 0
    .kernarg_segment_align: 8
    .kernarg_segment_size: 136
    .language:       OpenCL C
    .language_version:
      - 2
      - 0
    .max_flat_workgroup_size: 128
    .name:           _ZN7rocprim17ROCPRIM_400000_NS6detail17trampoline_kernelINS0_14default_configENS1_25partition_config_selectorILNS1_17partition_subalgoE5ElNS0_10empty_typeEbEEZZNS1_14partition_implILS5_5ELb0ES3_mN6hipcub16HIPCUB_304000_NS21CountingInputIteratorIllEEPS6_NSA_22TransformInputIteratorIb7NonZeroIiEPilEENS0_5tupleIJPlS6_EEENSJ_IJSD_SD_EEES6_SK_JS6_EEE10hipError_tPvRmT3_T4_T5_T6_T7_T9_mT8_P12ihipStream_tbDpT10_ENKUlT_T0_E_clISt17integral_constantIbLb1EES16_EEDaS11_S12_EUlS11_E_NS1_11comp_targetILNS1_3genE3ELNS1_11target_archE908ELNS1_3gpuE7ELNS1_3repE0EEENS1_30default_config_static_selectorELNS0_4arch9wavefront6targetE1EEEvT1_
    .private_segment_fixed_size: 0
    .sgpr_count:     4
    .sgpr_spill_count: 0
    .symbol:         _ZN7rocprim17ROCPRIM_400000_NS6detail17trampoline_kernelINS0_14default_configENS1_25partition_config_selectorILNS1_17partition_subalgoE5ElNS0_10empty_typeEbEEZZNS1_14partition_implILS5_5ELb0ES3_mN6hipcub16HIPCUB_304000_NS21CountingInputIteratorIllEEPS6_NSA_22TransformInputIteratorIb7NonZeroIiEPilEENS0_5tupleIJPlS6_EEENSJ_IJSD_SD_EEES6_SK_JS6_EEE10hipError_tPvRmT3_T4_T5_T6_T7_T9_mT8_P12ihipStream_tbDpT10_ENKUlT_T0_E_clISt17integral_constantIbLb1EES16_EEDaS11_S12_EUlS11_E_NS1_11comp_targetILNS1_3genE3ELNS1_11target_archE908ELNS1_3gpuE7ELNS1_3repE0EEENS1_30default_config_static_selectorELNS0_4arch9wavefront6targetE1EEEvT1_.kd
    .uniform_work_group_size: 1
    .uses_dynamic_stack: false
    .vgpr_count:     0
    .vgpr_spill_count: 0
    .wavefront_size: 64
  - .args:
      - .offset:         0
        .size:           136
        .value_kind:     by_value
    .group_segment_fixed_size: 0
    .kernarg_segment_align: 8
    .kernarg_segment_size: 136
    .language:       OpenCL C
    .language_version:
      - 2
      - 0
    .max_flat_workgroup_size: 256
    .name:           _ZN7rocprim17ROCPRIM_400000_NS6detail17trampoline_kernelINS0_14default_configENS1_25partition_config_selectorILNS1_17partition_subalgoE5ElNS0_10empty_typeEbEEZZNS1_14partition_implILS5_5ELb0ES3_mN6hipcub16HIPCUB_304000_NS21CountingInputIteratorIllEEPS6_NSA_22TransformInputIteratorIb7NonZeroIiEPilEENS0_5tupleIJPlS6_EEENSJ_IJSD_SD_EEES6_SK_JS6_EEE10hipError_tPvRmT3_T4_T5_T6_T7_T9_mT8_P12ihipStream_tbDpT10_ENKUlT_T0_E_clISt17integral_constantIbLb1EES16_EEDaS11_S12_EUlS11_E_NS1_11comp_targetILNS1_3genE2ELNS1_11target_archE906ELNS1_3gpuE6ELNS1_3repE0EEENS1_30default_config_static_selectorELNS0_4arch9wavefront6targetE1EEEvT1_
    .private_segment_fixed_size: 0
    .sgpr_count:     4
    .sgpr_spill_count: 0
    .symbol:         _ZN7rocprim17ROCPRIM_400000_NS6detail17trampoline_kernelINS0_14default_configENS1_25partition_config_selectorILNS1_17partition_subalgoE5ElNS0_10empty_typeEbEEZZNS1_14partition_implILS5_5ELb0ES3_mN6hipcub16HIPCUB_304000_NS21CountingInputIteratorIllEEPS6_NSA_22TransformInputIteratorIb7NonZeroIiEPilEENS0_5tupleIJPlS6_EEENSJ_IJSD_SD_EEES6_SK_JS6_EEE10hipError_tPvRmT3_T4_T5_T6_T7_T9_mT8_P12ihipStream_tbDpT10_ENKUlT_T0_E_clISt17integral_constantIbLb1EES16_EEDaS11_S12_EUlS11_E_NS1_11comp_targetILNS1_3genE2ELNS1_11target_archE906ELNS1_3gpuE6ELNS1_3repE0EEENS1_30default_config_static_selectorELNS0_4arch9wavefront6targetE1EEEvT1_.kd
    .uniform_work_group_size: 1
    .uses_dynamic_stack: false
    .vgpr_count:     0
    .vgpr_spill_count: 0
    .wavefront_size: 64
  - .args:
      - .offset:         0
        .size:           136
        .value_kind:     by_value
    .group_segment_fixed_size: 0
    .kernarg_segment_align: 8
    .kernarg_segment_size: 136
    .language:       OpenCL C
    .language_version:
      - 2
      - 0
    .max_flat_workgroup_size: 256
    .name:           _ZN7rocprim17ROCPRIM_400000_NS6detail17trampoline_kernelINS0_14default_configENS1_25partition_config_selectorILNS1_17partition_subalgoE5ElNS0_10empty_typeEbEEZZNS1_14partition_implILS5_5ELb0ES3_mN6hipcub16HIPCUB_304000_NS21CountingInputIteratorIllEEPS6_NSA_22TransformInputIteratorIb7NonZeroIiEPilEENS0_5tupleIJPlS6_EEENSJ_IJSD_SD_EEES6_SK_JS6_EEE10hipError_tPvRmT3_T4_T5_T6_T7_T9_mT8_P12ihipStream_tbDpT10_ENKUlT_T0_E_clISt17integral_constantIbLb1EES16_EEDaS11_S12_EUlS11_E_NS1_11comp_targetILNS1_3genE10ELNS1_11target_archE1200ELNS1_3gpuE4ELNS1_3repE0EEENS1_30default_config_static_selectorELNS0_4arch9wavefront6targetE1EEEvT1_
    .private_segment_fixed_size: 0
    .sgpr_count:     4
    .sgpr_spill_count: 0
    .symbol:         _ZN7rocprim17ROCPRIM_400000_NS6detail17trampoline_kernelINS0_14default_configENS1_25partition_config_selectorILNS1_17partition_subalgoE5ElNS0_10empty_typeEbEEZZNS1_14partition_implILS5_5ELb0ES3_mN6hipcub16HIPCUB_304000_NS21CountingInputIteratorIllEEPS6_NSA_22TransformInputIteratorIb7NonZeroIiEPilEENS0_5tupleIJPlS6_EEENSJ_IJSD_SD_EEES6_SK_JS6_EEE10hipError_tPvRmT3_T4_T5_T6_T7_T9_mT8_P12ihipStream_tbDpT10_ENKUlT_T0_E_clISt17integral_constantIbLb1EES16_EEDaS11_S12_EUlS11_E_NS1_11comp_targetILNS1_3genE10ELNS1_11target_archE1200ELNS1_3gpuE4ELNS1_3repE0EEENS1_30default_config_static_selectorELNS0_4arch9wavefront6targetE1EEEvT1_.kd
    .uniform_work_group_size: 1
    .uses_dynamic_stack: false
    .vgpr_count:     0
    .vgpr_spill_count: 0
    .wavefront_size: 64
  - .args:
      - .offset:         0
        .size:           136
        .value_kind:     by_value
    .group_segment_fixed_size: 0
    .kernarg_segment_align: 8
    .kernarg_segment_size: 136
    .language:       OpenCL C
    .language_version:
      - 2
      - 0
    .max_flat_workgroup_size: 128
    .name:           _ZN7rocprim17ROCPRIM_400000_NS6detail17trampoline_kernelINS0_14default_configENS1_25partition_config_selectorILNS1_17partition_subalgoE5ElNS0_10empty_typeEbEEZZNS1_14partition_implILS5_5ELb0ES3_mN6hipcub16HIPCUB_304000_NS21CountingInputIteratorIllEEPS6_NSA_22TransformInputIteratorIb7NonZeroIiEPilEENS0_5tupleIJPlS6_EEENSJ_IJSD_SD_EEES6_SK_JS6_EEE10hipError_tPvRmT3_T4_T5_T6_T7_T9_mT8_P12ihipStream_tbDpT10_ENKUlT_T0_E_clISt17integral_constantIbLb1EES16_EEDaS11_S12_EUlS11_E_NS1_11comp_targetILNS1_3genE9ELNS1_11target_archE1100ELNS1_3gpuE3ELNS1_3repE0EEENS1_30default_config_static_selectorELNS0_4arch9wavefront6targetE1EEEvT1_
    .private_segment_fixed_size: 0
    .sgpr_count:     4
    .sgpr_spill_count: 0
    .symbol:         _ZN7rocprim17ROCPRIM_400000_NS6detail17trampoline_kernelINS0_14default_configENS1_25partition_config_selectorILNS1_17partition_subalgoE5ElNS0_10empty_typeEbEEZZNS1_14partition_implILS5_5ELb0ES3_mN6hipcub16HIPCUB_304000_NS21CountingInputIteratorIllEEPS6_NSA_22TransformInputIteratorIb7NonZeroIiEPilEENS0_5tupleIJPlS6_EEENSJ_IJSD_SD_EEES6_SK_JS6_EEE10hipError_tPvRmT3_T4_T5_T6_T7_T9_mT8_P12ihipStream_tbDpT10_ENKUlT_T0_E_clISt17integral_constantIbLb1EES16_EEDaS11_S12_EUlS11_E_NS1_11comp_targetILNS1_3genE9ELNS1_11target_archE1100ELNS1_3gpuE3ELNS1_3repE0EEENS1_30default_config_static_selectorELNS0_4arch9wavefront6targetE1EEEvT1_.kd
    .uniform_work_group_size: 1
    .uses_dynamic_stack: false
    .vgpr_count:     0
    .vgpr_spill_count: 0
    .wavefront_size: 64
  - .args:
      - .offset:         0
        .size:           136
        .value_kind:     by_value
    .group_segment_fixed_size: 0
    .kernarg_segment_align: 8
    .kernarg_segment_size: 136
    .language:       OpenCL C
    .language_version:
      - 2
      - 0
    .max_flat_workgroup_size: 512
    .name:           _ZN7rocprim17ROCPRIM_400000_NS6detail17trampoline_kernelINS0_14default_configENS1_25partition_config_selectorILNS1_17partition_subalgoE5ElNS0_10empty_typeEbEEZZNS1_14partition_implILS5_5ELb0ES3_mN6hipcub16HIPCUB_304000_NS21CountingInputIteratorIllEEPS6_NSA_22TransformInputIteratorIb7NonZeroIiEPilEENS0_5tupleIJPlS6_EEENSJ_IJSD_SD_EEES6_SK_JS6_EEE10hipError_tPvRmT3_T4_T5_T6_T7_T9_mT8_P12ihipStream_tbDpT10_ENKUlT_T0_E_clISt17integral_constantIbLb1EES16_EEDaS11_S12_EUlS11_E_NS1_11comp_targetILNS1_3genE8ELNS1_11target_archE1030ELNS1_3gpuE2ELNS1_3repE0EEENS1_30default_config_static_selectorELNS0_4arch9wavefront6targetE1EEEvT1_
    .private_segment_fixed_size: 0
    .sgpr_count:     4
    .sgpr_spill_count: 0
    .symbol:         _ZN7rocprim17ROCPRIM_400000_NS6detail17trampoline_kernelINS0_14default_configENS1_25partition_config_selectorILNS1_17partition_subalgoE5ElNS0_10empty_typeEbEEZZNS1_14partition_implILS5_5ELb0ES3_mN6hipcub16HIPCUB_304000_NS21CountingInputIteratorIllEEPS6_NSA_22TransformInputIteratorIb7NonZeroIiEPilEENS0_5tupleIJPlS6_EEENSJ_IJSD_SD_EEES6_SK_JS6_EEE10hipError_tPvRmT3_T4_T5_T6_T7_T9_mT8_P12ihipStream_tbDpT10_ENKUlT_T0_E_clISt17integral_constantIbLb1EES16_EEDaS11_S12_EUlS11_E_NS1_11comp_targetILNS1_3genE8ELNS1_11target_archE1030ELNS1_3gpuE2ELNS1_3repE0EEENS1_30default_config_static_selectorELNS0_4arch9wavefront6targetE1EEEvT1_.kd
    .uniform_work_group_size: 1
    .uses_dynamic_stack: false
    .vgpr_count:     0
    .vgpr_spill_count: 0
    .wavefront_size: 64
  - .args:
      - .offset:         0
        .size:           120
        .value_kind:     by_value
    .group_segment_fixed_size: 0
    .kernarg_segment_align: 8
    .kernarg_segment_size: 120
    .language:       OpenCL C
    .language_version:
      - 2
      - 0
    .max_flat_workgroup_size: 128
    .name:           _ZN7rocprim17ROCPRIM_400000_NS6detail17trampoline_kernelINS0_14default_configENS1_25partition_config_selectorILNS1_17partition_subalgoE5ElNS0_10empty_typeEbEEZZNS1_14partition_implILS5_5ELb0ES3_mN6hipcub16HIPCUB_304000_NS21CountingInputIteratorIllEEPS6_NSA_22TransformInputIteratorIb7NonZeroIiEPilEENS0_5tupleIJPlS6_EEENSJ_IJSD_SD_EEES6_SK_JS6_EEE10hipError_tPvRmT3_T4_T5_T6_T7_T9_mT8_P12ihipStream_tbDpT10_ENKUlT_T0_E_clISt17integral_constantIbLb1EES15_IbLb0EEEEDaS11_S12_EUlS11_E_NS1_11comp_targetILNS1_3genE0ELNS1_11target_archE4294967295ELNS1_3gpuE0ELNS1_3repE0EEENS1_30default_config_static_selectorELNS0_4arch9wavefront6targetE1EEEvT1_
    .private_segment_fixed_size: 0
    .sgpr_count:     4
    .sgpr_spill_count: 0
    .symbol:         _ZN7rocprim17ROCPRIM_400000_NS6detail17trampoline_kernelINS0_14default_configENS1_25partition_config_selectorILNS1_17partition_subalgoE5ElNS0_10empty_typeEbEEZZNS1_14partition_implILS5_5ELb0ES3_mN6hipcub16HIPCUB_304000_NS21CountingInputIteratorIllEEPS6_NSA_22TransformInputIteratorIb7NonZeroIiEPilEENS0_5tupleIJPlS6_EEENSJ_IJSD_SD_EEES6_SK_JS6_EEE10hipError_tPvRmT3_T4_T5_T6_T7_T9_mT8_P12ihipStream_tbDpT10_ENKUlT_T0_E_clISt17integral_constantIbLb1EES15_IbLb0EEEEDaS11_S12_EUlS11_E_NS1_11comp_targetILNS1_3genE0ELNS1_11target_archE4294967295ELNS1_3gpuE0ELNS1_3repE0EEENS1_30default_config_static_selectorELNS0_4arch9wavefront6targetE1EEEvT1_.kd
    .uniform_work_group_size: 1
    .uses_dynamic_stack: false
    .vgpr_count:     0
    .vgpr_spill_count: 0
    .wavefront_size: 64
  - .args:
      - .offset:         0
        .size:           120
        .value_kind:     by_value
    .group_segment_fixed_size: 0
    .kernarg_segment_align: 8
    .kernarg_segment_size: 120
    .language:       OpenCL C
    .language_version:
      - 2
      - 0
    .max_flat_workgroup_size: 512
    .name:           _ZN7rocprim17ROCPRIM_400000_NS6detail17trampoline_kernelINS0_14default_configENS1_25partition_config_selectorILNS1_17partition_subalgoE5ElNS0_10empty_typeEbEEZZNS1_14partition_implILS5_5ELb0ES3_mN6hipcub16HIPCUB_304000_NS21CountingInputIteratorIllEEPS6_NSA_22TransformInputIteratorIb7NonZeroIiEPilEENS0_5tupleIJPlS6_EEENSJ_IJSD_SD_EEES6_SK_JS6_EEE10hipError_tPvRmT3_T4_T5_T6_T7_T9_mT8_P12ihipStream_tbDpT10_ENKUlT_T0_E_clISt17integral_constantIbLb1EES15_IbLb0EEEEDaS11_S12_EUlS11_E_NS1_11comp_targetILNS1_3genE5ELNS1_11target_archE942ELNS1_3gpuE9ELNS1_3repE0EEENS1_30default_config_static_selectorELNS0_4arch9wavefront6targetE1EEEvT1_
    .private_segment_fixed_size: 0
    .sgpr_count:     4
    .sgpr_spill_count: 0
    .symbol:         _ZN7rocprim17ROCPRIM_400000_NS6detail17trampoline_kernelINS0_14default_configENS1_25partition_config_selectorILNS1_17partition_subalgoE5ElNS0_10empty_typeEbEEZZNS1_14partition_implILS5_5ELb0ES3_mN6hipcub16HIPCUB_304000_NS21CountingInputIteratorIllEEPS6_NSA_22TransformInputIteratorIb7NonZeroIiEPilEENS0_5tupleIJPlS6_EEENSJ_IJSD_SD_EEES6_SK_JS6_EEE10hipError_tPvRmT3_T4_T5_T6_T7_T9_mT8_P12ihipStream_tbDpT10_ENKUlT_T0_E_clISt17integral_constantIbLb1EES15_IbLb0EEEEDaS11_S12_EUlS11_E_NS1_11comp_targetILNS1_3genE5ELNS1_11target_archE942ELNS1_3gpuE9ELNS1_3repE0EEENS1_30default_config_static_selectorELNS0_4arch9wavefront6targetE1EEEvT1_.kd
    .uniform_work_group_size: 1
    .uses_dynamic_stack: false
    .vgpr_count:     0
    .vgpr_spill_count: 0
    .wavefront_size: 64
  - .args:
      - .offset:         0
        .size:           120
        .value_kind:     by_value
    .group_segment_fixed_size: 0
    .kernarg_segment_align: 8
    .kernarg_segment_size: 120
    .language:       OpenCL C
    .language_version:
      - 2
      - 0
    .max_flat_workgroup_size: 192
    .name:           _ZN7rocprim17ROCPRIM_400000_NS6detail17trampoline_kernelINS0_14default_configENS1_25partition_config_selectorILNS1_17partition_subalgoE5ElNS0_10empty_typeEbEEZZNS1_14partition_implILS5_5ELb0ES3_mN6hipcub16HIPCUB_304000_NS21CountingInputIteratorIllEEPS6_NSA_22TransformInputIteratorIb7NonZeroIiEPilEENS0_5tupleIJPlS6_EEENSJ_IJSD_SD_EEES6_SK_JS6_EEE10hipError_tPvRmT3_T4_T5_T6_T7_T9_mT8_P12ihipStream_tbDpT10_ENKUlT_T0_E_clISt17integral_constantIbLb1EES15_IbLb0EEEEDaS11_S12_EUlS11_E_NS1_11comp_targetILNS1_3genE4ELNS1_11target_archE910ELNS1_3gpuE8ELNS1_3repE0EEENS1_30default_config_static_selectorELNS0_4arch9wavefront6targetE1EEEvT1_
    .private_segment_fixed_size: 0
    .sgpr_count:     4
    .sgpr_spill_count: 0
    .symbol:         _ZN7rocprim17ROCPRIM_400000_NS6detail17trampoline_kernelINS0_14default_configENS1_25partition_config_selectorILNS1_17partition_subalgoE5ElNS0_10empty_typeEbEEZZNS1_14partition_implILS5_5ELb0ES3_mN6hipcub16HIPCUB_304000_NS21CountingInputIteratorIllEEPS6_NSA_22TransformInputIteratorIb7NonZeroIiEPilEENS0_5tupleIJPlS6_EEENSJ_IJSD_SD_EEES6_SK_JS6_EEE10hipError_tPvRmT3_T4_T5_T6_T7_T9_mT8_P12ihipStream_tbDpT10_ENKUlT_T0_E_clISt17integral_constantIbLb1EES15_IbLb0EEEEDaS11_S12_EUlS11_E_NS1_11comp_targetILNS1_3genE4ELNS1_11target_archE910ELNS1_3gpuE8ELNS1_3repE0EEENS1_30default_config_static_selectorELNS0_4arch9wavefront6targetE1EEEvT1_.kd
    .uniform_work_group_size: 1
    .uses_dynamic_stack: false
    .vgpr_count:     0
    .vgpr_spill_count: 0
    .wavefront_size: 64
  - .args:
      - .offset:         0
        .size:           120
        .value_kind:     by_value
    .group_segment_fixed_size: 0
    .kernarg_segment_align: 8
    .kernarg_segment_size: 120
    .language:       OpenCL C
    .language_version:
      - 2
      - 0
    .max_flat_workgroup_size: 128
    .name:           _ZN7rocprim17ROCPRIM_400000_NS6detail17trampoline_kernelINS0_14default_configENS1_25partition_config_selectorILNS1_17partition_subalgoE5ElNS0_10empty_typeEbEEZZNS1_14partition_implILS5_5ELb0ES3_mN6hipcub16HIPCUB_304000_NS21CountingInputIteratorIllEEPS6_NSA_22TransformInputIteratorIb7NonZeroIiEPilEENS0_5tupleIJPlS6_EEENSJ_IJSD_SD_EEES6_SK_JS6_EEE10hipError_tPvRmT3_T4_T5_T6_T7_T9_mT8_P12ihipStream_tbDpT10_ENKUlT_T0_E_clISt17integral_constantIbLb1EES15_IbLb0EEEEDaS11_S12_EUlS11_E_NS1_11comp_targetILNS1_3genE3ELNS1_11target_archE908ELNS1_3gpuE7ELNS1_3repE0EEENS1_30default_config_static_selectorELNS0_4arch9wavefront6targetE1EEEvT1_
    .private_segment_fixed_size: 0
    .sgpr_count:     4
    .sgpr_spill_count: 0
    .symbol:         _ZN7rocprim17ROCPRIM_400000_NS6detail17trampoline_kernelINS0_14default_configENS1_25partition_config_selectorILNS1_17partition_subalgoE5ElNS0_10empty_typeEbEEZZNS1_14partition_implILS5_5ELb0ES3_mN6hipcub16HIPCUB_304000_NS21CountingInputIteratorIllEEPS6_NSA_22TransformInputIteratorIb7NonZeroIiEPilEENS0_5tupleIJPlS6_EEENSJ_IJSD_SD_EEES6_SK_JS6_EEE10hipError_tPvRmT3_T4_T5_T6_T7_T9_mT8_P12ihipStream_tbDpT10_ENKUlT_T0_E_clISt17integral_constantIbLb1EES15_IbLb0EEEEDaS11_S12_EUlS11_E_NS1_11comp_targetILNS1_3genE3ELNS1_11target_archE908ELNS1_3gpuE7ELNS1_3repE0EEENS1_30default_config_static_selectorELNS0_4arch9wavefront6targetE1EEEvT1_.kd
    .uniform_work_group_size: 1
    .uses_dynamic_stack: false
    .vgpr_count:     0
    .vgpr_spill_count: 0
    .wavefront_size: 64
  - .args:
      - .offset:         0
        .size:           120
        .value_kind:     by_value
    .group_segment_fixed_size: 0
    .kernarg_segment_align: 8
    .kernarg_segment_size: 120
    .language:       OpenCL C
    .language_version:
      - 2
      - 0
    .max_flat_workgroup_size: 256
    .name:           _ZN7rocprim17ROCPRIM_400000_NS6detail17trampoline_kernelINS0_14default_configENS1_25partition_config_selectorILNS1_17partition_subalgoE5ElNS0_10empty_typeEbEEZZNS1_14partition_implILS5_5ELb0ES3_mN6hipcub16HIPCUB_304000_NS21CountingInputIteratorIllEEPS6_NSA_22TransformInputIteratorIb7NonZeroIiEPilEENS0_5tupleIJPlS6_EEENSJ_IJSD_SD_EEES6_SK_JS6_EEE10hipError_tPvRmT3_T4_T5_T6_T7_T9_mT8_P12ihipStream_tbDpT10_ENKUlT_T0_E_clISt17integral_constantIbLb1EES15_IbLb0EEEEDaS11_S12_EUlS11_E_NS1_11comp_targetILNS1_3genE2ELNS1_11target_archE906ELNS1_3gpuE6ELNS1_3repE0EEENS1_30default_config_static_selectorELNS0_4arch9wavefront6targetE1EEEvT1_
    .private_segment_fixed_size: 0
    .sgpr_count:     4
    .sgpr_spill_count: 0
    .symbol:         _ZN7rocprim17ROCPRIM_400000_NS6detail17trampoline_kernelINS0_14default_configENS1_25partition_config_selectorILNS1_17partition_subalgoE5ElNS0_10empty_typeEbEEZZNS1_14partition_implILS5_5ELb0ES3_mN6hipcub16HIPCUB_304000_NS21CountingInputIteratorIllEEPS6_NSA_22TransformInputIteratorIb7NonZeroIiEPilEENS0_5tupleIJPlS6_EEENSJ_IJSD_SD_EEES6_SK_JS6_EEE10hipError_tPvRmT3_T4_T5_T6_T7_T9_mT8_P12ihipStream_tbDpT10_ENKUlT_T0_E_clISt17integral_constantIbLb1EES15_IbLb0EEEEDaS11_S12_EUlS11_E_NS1_11comp_targetILNS1_3genE2ELNS1_11target_archE906ELNS1_3gpuE6ELNS1_3repE0EEENS1_30default_config_static_selectorELNS0_4arch9wavefront6targetE1EEEvT1_.kd
    .uniform_work_group_size: 1
    .uses_dynamic_stack: false
    .vgpr_count:     0
    .vgpr_spill_count: 0
    .wavefront_size: 64
  - .args:
      - .offset:         0
        .size:           120
        .value_kind:     by_value
    .group_segment_fixed_size: 0
    .kernarg_segment_align: 8
    .kernarg_segment_size: 120
    .language:       OpenCL C
    .language_version:
      - 2
      - 0
    .max_flat_workgroup_size: 256
    .name:           _ZN7rocprim17ROCPRIM_400000_NS6detail17trampoline_kernelINS0_14default_configENS1_25partition_config_selectorILNS1_17partition_subalgoE5ElNS0_10empty_typeEbEEZZNS1_14partition_implILS5_5ELb0ES3_mN6hipcub16HIPCUB_304000_NS21CountingInputIteratorIllEEPS6_NSA_22TransformInputIteratorIb7NonZeroIiEPilEENS0_5tupleIJPlS6_EEENSJ_IJSD_SD_EEES6_SK_JS6_EEE10hipError_tPvRmT3_T4_T5_T6_T7_T9_mT8_P12ihipStream_tbDpT10_ENKUlT_T0_E_clISt17integral_constantIbLb1EES15_IbLb0EEEEDaS11_S12_EUlS11_E_NS1_11comp_targetILNS1_3genE10ELNS1_11target_archE1200ELNS1_3gpuE4ELNS1_3repE0EEENS1_30default_config_static_selectorELNS0_4arch9wavefront6targetE1EEEvT1_
    .private_segment_fixed_size: 0
    .sgpr_count:     4
    .sgpr_spill_count: 0
    .symbol:         _ZN7rocprim17ROCPRIM_400000_NS6detail17trampoline_kernelINS0_14default_configENS1_25partition_config_selectorILNS1_17partition_subalgoE5ElNS0_10empty_typeEbEEZZNS1_14partition_implILS5_5ELb0ES3_mN6hipcub16HIPCUB_304000_NS21CountingInputIteratorIllEEPS6_NSA_22TransformInputIteratorIb7NonZeroIiEPilEENS0_5tupleIJPlS6_EEENSJ_IJSD_SD_EEES6_SK_JS6_EEE10hipError_tPvRmT3_T4_T5_T6_T7_T9_mT8_P12ihipStream_tbDpT10_ENKUlT_T0_E_clISt17integral_constantIbLb1EES15_IbLb0EEEEDaS11_S12_EUlS11_E_NS1_11comp_targetILNS1_3genE10ELNS1_11target_archE1200ELNS1_3gpuE4ELNS1_3repE0EEENS1_30default_config_static_selectorELNS0_4arch9wavefront6targetE1EEEvT1_.kd
    .uniform_work_group_size: 1
    .uses_dynamic_stack: false
    .vgpr_count:     0
    .vgpr_spill_count: 0
    .wavefront_size: 64
  - .args:
      - .offset:         0
        .size:           120
        .value_kind:     by_value
    .group_segment_fixed_size: 0
    .kernarg_segment_align: 8
    .kernarg_segment_size: 120
    .language:       OpenCL C
    .language_version:
      - 2
      - 0
    .max_flat_workgroup_size: 128
    .name:           _ZN7rocprim17ROCPRIM_400000_NS6detail17trampoline_kernelINS0_14default_configENS1_25partition_config_selectorILNS1_17partition_subalgoE5ElNS0_10empty_typeEbEEZZNS1_14partition_implILS5_5ELb0ES3_mN6hipcub16HIPCUB_304000_NS21CountingInputIteratorIllEEPS6_NSA_22TransformInputIteratorIb7NonZeroIiEPilEENS0_5tupleIJPlS6_EEENSJ_IJSD_SD_EEES6_SK_JS6_EEE10hipError_tPvRmT3_T4_T5_T6_T7_T9_mT8_P12ihipStream_tbDpT10_ENKUlT_T0_E_clISt17integral_constantIbLb1EES15_IbLb0EEEEDaS11_S12_EUlS11_E_NS1_11comp_targetILNS1_3genE9ELNS1_11target_archE1100ELNS1_3gpuE3ELNS1_3repE0EEENS1_30default_config_static_selectorELNS0_4arch9wavefront6targetE1EEEvT1_
    .private_segment_fixed_size: 0
    .sgpr_count:     4
    .sgpr_spill_count: 0
    .symbol:         _ZN7rocprim17ROCPRIM_400000_NS6detail17trampoline_kernelINS0_14default_configENS1_25partition_config_selectorILNS1_17partition_subalgoE5ElNS0_10empty_typeEbEEZZNS1_14partition_implILS5_5ELb0ES3_mN6hipcub16HIPCUB_304000_NS21CountingInputIteratorIllEEPS6_NSA_22TransformInputIteratorIb7NonZeroIiEPilEENS0_5tupleIJPlS6_EEENSJ_IJSD_SD_EEES6_SK_JS6_EEE10hipError_tPvRmT3_T4_T5_T6_T7_T9_mT8_P12ihipStream_tbDpT10_ENKUlT_T0_E_clISt17integral_constantIbLb1EES15_IbLb0EEEEDaS11_S12_EUlS11_E_NS1_11comp_targetILNS1_3genE9ELNS1_11target_archE1100ELNS1_3gpuE3ELNS1_3repE0EEENS1_30default_config_static_selectorELNS0_4arch9wavefront6targetE1EEEvT1_.kd
    .uniform_work_group_size: 1
    .uses_dynamic_stack: false
    .vgpr_count:     0
    .vgpr_spill_count: 0
    .wavefront_size: 64
  - .args:
      - .offset:         0
        .size:           120
        .value_kind:     by_value
    .group_segment_fixed_size: 0
    .kernarg_segment_align: 8
    .kernarg_segment_size: 120
    .language:       OpenCL C
    .language_version:
      - 2
      - 0
    .max_flat_workgroup_size: 512
    .name:           _ZN7rocprim17ROCPRIM_400000_NS6detail17trampoline_kernelINS0_14default_configENS1_25partition_config_selectorILNS1_17partition_subalgoE5ElNS0_10empty_typeEbEEZZNS1_14partition_implILS5_5ELb0ES3_mN6hipcub16HIPCUB_304000_NS21CountingInputIteratorIllEEPS6_NSA_22TransformInputIteratorIb7NonZeroIiEPilEENS0_5tupleIJPlS6_EEENSJ_IJSD_SD_EEES6_SK_JS6_EEE10hipError_tPvRmT3_T4_T5_T6_T7_T9_mT8_P12ihipStream_tbDpT10_ENKUlT_T0_E_clISt17integral_constantIbLb1EES15_IbLb0EEEEDaS11_S12_EUlS11_E_NS1_11comp_targetILNS1_3genE8ELNS1_11target_archE1030ELNS1_3gpuE2ELNS1_3repE0EEENS1_30default_config_static_selectorELNS0_4arch9wavefront6targetE1EEEvT1_
    .private_segment_fixed_size: 0
    .sgpr_count:     4
    .sgpr_spill_count: 0
    .symbol:         _ZN7rocprim17ROCPRIM_400000_NS6detail17trampoline_kernelINS0_14default_configENS1_25partition_config_selectorILNS1_17partition_subalgoE5ElNS0_10empty_typeEbEEZZNS1_14partition_implILS5_5ELb0ES3_mN6hipcub16HIPCUB_304000_NS21CountingInputIteratorIllEEPS6_NSA_22TransformInputIteratorIb7NonZeroIiEPilEENS0_5tupleIJPlS6_EEENSJ_IJSD_SD_EEES6_SK_JS6_EEE10hipError_tPvRmT3_T4_T5_T6_T7_T9_mT8_P12ihipStream_tbDpT10_ENKUlT_T0_E_clISt17integral_constantIbLb1EES15_IbLb0EEEEDaS11_S12_EUlS11_E_NS1_11comp_targetILNS1_3genE8ELNS1_11target_archE1030ELNS1_3gpuE2ELNS1_3repE0EEENS1_30default_config_static_selectorELNS0_4arch9wavefront6targetE1EEEvT1_.kd
    .uniform_work_group_size: 1
    .uses_dynamic_stack: false
    .vgpr_count:     0
    .vgpr_spill_count: 0
    .wavefront_size: 64
  - .args:
      - .offset:         0
        .size:           136
        .value_kind:     by_value
    .group_segment_fixed_size: 0
    .kernarg_segment_align: 8
    .kernarg_segment_size: 136
    .language:       OpenCL C
    .language_version:
      - 2
      - 0
    .max_flat_workgroup_size: 128
    .name:           _ZN7rocprim17ROCPRIM_400000_NS6detail17trampoline_kernelINS0_14default_configENS1_25partition_config_selectorILNS1_17partition_subalgoE5ElNS0_10empty_typeEbEEZZNS1_14partition_implILS5_5ELb0ES3_mN6hipcub16HIPCUB_304000_NS21CountingInputIteratorIllEEPS6_NSA_22TransformInputIteratorIb7NonZeroIiEPilEENS0_5tupleIJPlS6_EEENSJ_IJSD_SD_EEES6_SK_JS6_EEE10hipError_tPvRmT3_T4_T5_T6_T7_T9_mT8_P12ihipStream_tbDpT10_ENKUlT_T0_E_clISt17integral_constantIbLb0EES15_IbLb1EEEEDaS11_S12_EUlS11_E_NS1_11comp_targetILNS1_3genE0ELNS1_11target_archE4294967295ELNS1_3gpuE0ELNS1_3repE0EEENS1_30default_config_static_selectorELNS0_4arch9wavefront6targetE1EEEvT1_
    .private_segment_fixed_size: 0
    .sgpr_count:     4
    .sgpr_spill_count: 0
    .symbol:         _ZN7rocprim17ROCPRIM_400000_NS6detail17trampoline_kernelINS0_14default_configENS1_25partition_config_selectorILNS1_17partition_subalgoE5ElNS0_10empty_typeEbEEZZNS1_14partition_implILS5_5ELb0ES3_mN6hipcub16HIPCUB_304000_NS21CountingInputIteratorIllEEPS6_NSA_22TransformInputIteratorIb7NonZeroIiEPilEENS0_5tupleIJPlS6_EEENSJ_IJSD_SD_EEES6_SK_JS6_EEE10hipError_tPvRmT3_T4_T5_T6_T7_T9_mT8_P12ihipStream_tbDpT10_ENKUlT_T0_E_clISt17integral_constantIbLb0EES15_IbLb1EEEEDaS11_S12_EUlS11_E_NS1_11comp_targetILNS1_3genE0ELNS1_11target_archE4294967295ELNS1_3gpuE0ELNS1_3repE0EEENS1_30default_config_static_selectorELNS0_4arch9wavefront6targetE1EEEvT1_.kd
    .uniform_work_group_size: 1
    .uses_dynamic_stack: false
    .vgpr_count:     0
    .vgpr_spill_count: 0
    .wavefront_size: 64
  - .args:
      - .offset:         0
        .size:           136
        .value_kind:     by_value
    .group_segment_fixed_size: 0
    .kernarg_segment_align: 8
    .kernarg_segment_size: 136
    .language:       OpenCL C
    .language_version:
      - 2
      - 0
    .max_flat_workgroup_size: 512
    .name:           _ZN7rocprim17ROCPRIM_400000_NS6detail17trampoline_kernelINS0_14default_configENS1_25partition_config_selectorILNS1_17partition_subalgoE5ElNS0_10empty_typeEbEEZZNS1_14partition_implILS5_5ELb0ES3_mN6hipcub16HIPCUB_304000_NS21CountingInputIteratorIllEEPS6_NSA_22TransformInputIteratorIb7NonZeroIiEPilEENS0_5tupleIJPlS6_EEENSJ_IJSD_SD_EEES6_SK_JS6_EEE10hipError_tPvRmT3_T4_T5_T6_T7_T9_mT8_P12ihipStream_tbDpT10_ENKUlT_T0_E_clISt17integral_constantIbLb0EES15_IbLb1EEEEDaS11_S12_EUlS11_E_NS1_11comp_targetILNS1_3genE5ELNS1_11target_archE942ELNS1_3gpuE9ELNS1_3repE0EEENS1_30default_config_static_selectorELNS0_4arch9wavefront6targetE1EEEvT1_
    .private_segment_fixed_size: 0
    .sgpr_count:     4
    .sgpr_spill_count: 0
    .symbol:         _ZN7rocprim17ROCPRIM_400000_NS6detail17trampoline_kernelINS0_14default_configENS1_25partition_config_selectorILNS1_17partition_subalgoE5ElNS0_10empty_typeEbEEZZNS1_14partition_implILS5_5ELb0ES3_mN6hipcub16HIPCUB_304000_NS21CountingInputIteratorIllEEPS6_NSA_22TransformInputIteratorIb7NonZeroIiEPilEENS0_5tupleIJPlS6_EEENSJ_IJSD_SD_EEES6_SK_JS6_EEE10hipError_tPvRmT3_T4_T5_T6_T7_T9_mT8_P12ihipStream_tbDpT10_ENKUlT_T0_E_clISt17integral_constantIbLb0EES15_IbLb1EEEEDaS11_S12_EUlS11_E_NS1_11comp_targetILNS1_3genE5ELNS1_11target_archE942ELNS1_3gpuE9ELNS1_3repE0EEENS1_30default_config_static_selectorELNS0_4arch9wavefront6targetE1EEEvT1_.kd
    .uniform_work_group_size: 1
    .uses_dynamic_stack: false
    .vgpr_count:     0
    .vgpr_spill_count: 0
    .wavefront_size: 64
  - .args:
      - .offset:         0
        .size:           136
        .value_kind:     by_value
    .group_segment_fixed_size: 0
    .kernarg_segment_align: 8
    .kernarg_segment_size: 136
    .language:       OpenCL C
    .language_version:
      - 2
      - 0
    .max_flat_workgroup_size: 192
    .name:           _ZN7rocprim17ROCPRIM_400000_NS6detail17trampoline_kernelINS0_14default_configENS1_25partition_config_selectorILNS1_17partition_subalgoE5ElNS0_10empty_typeEbEEZZNS1_14partition_implILS5_5ELb0ES3_mN6hipcub16HIPCUB_304000_NS21CountingInputIteratorIllEEPS6_NSA_22TransformInputIteratorIb7NonZeroIiEPilEENS0_5tupleIJPlS6_EEENSJ_IJSD_SD_EEES6_SK_JS6_EEE10hipError_tPvRmT3_T4_T5_T6_T7_T9_mT8_P12ihipStream_tbDpT10_ENKUlT_T0_E_clISt17integral_constantIbLb0EES15_IbLb1EEEEDaS11_S12_EUlS11_E_NS1_11comp_targetILNS1_3genE4ELNS1_11target_archE910ELNS1_3gpuE8ELNS1_3repE0EEENS1_30default_config_static_selectorELNS0_4arch9wavefront6targetE1EEEvT1_
    .private_segment_fixed_size: 0
    .sgpr_count:     4
    .sgpr_spill_count: 0
    .symbol:         _ZN7rocprim17ROCPRIM_400000_NS6detail17trampoline_kernelINS0_14default_configENS1_25partition_config_selectorILNS1_17partition_subalgoE5ElNS0_10empty_typeEbEEZZNS1_14partition_implILS5_5ELb0ES3_mN6hipcub16HIPCUB_304000_NS21CountingInputIteratorIllEEPS6_NSA_22TransformInputIteratorIb7NonZeroIiEPilEENS0_5tupleIJPlS6_EEENSJ_IJSD_SD_EEES6_SK_JS6_EEE10hipError_tPvRmT3_T4_T5_T6_T7_T9_mT8_P12ihipStream_tbDpT10_ENKUlT_T0_E_clISt17integral_constantIbLb0EES15_IbLb1EEEEDaS11_S12_EUlS11_E_NS1_11comp_targetILNS1_3genE4ELNS1_11target_archE910ELNS1_3gpuE8ELNS1_3repE0EEENS1_30default_config_static_selectorELNS0_4arch9wavefront6targetE1EEEvT1_.kd
    .uniform_work_group_size: 1
    .uses_dynamic_stack: false
    .vgpr_count:     0
    .vgpr_spill_count: 0
    .wavefront_size: 64
  - .args:
      - .offset:         0
        .size:           136
        .value_kind:     by_value
    .group_segment_fixed_size: 0
    .kernarg_segment_align: 8
    .kernarg_segment_size: 136
    .language:       OpenCL C
    .language_version:
      - 2
      - 0
    .max_flat_workgroup_size: 128
    .name:           _ZN7rocprim17ROCPRIM_400000_NS6detail17trampoline_kernelINS0_14default_configENS1_25partition_config_selectorILNS1_17partition_subalgoE5ElNS0_10empty_typeEbEEZZNS1_14partition_implILS5_5ELb0ES3_mN6hipcub16HIPCUB_304000_NS21CountingInputIteratorIllEEPS6_NSA_22TransformInputIteratorIb7NonZeroIiEPilEENS0_5tupleIJPlS6_EEENSJ_IJSD_SD_EEES6_SK_JS6_EEE10hipError_tPvRmT3_T4_T5_T6_T7_T9_mT8_P12ihipStream_tbDpT10_ENKUlT_T0_E_clISt17integral_constantIbLb0EES15_IbLb1EEEEDaS11_S12_EUlS11_E_NS1_11comp_targetILNS1_3genE3ELNS1_11target_archE908ELNS1_3gpuE7ELNS1_3repE0EEENS1_30default_config_static_selectorELNS0_4arch9wavefront6targetE1EEEvT1_
    .private_segment_fixed_size: 0
    .sgpr_count:     4
    .sgpr_spill_count: 0
    .symbol:         _ZN7rocprim17ROCPRIM_400000_NS6detail17trampoline_kernelINS0_14default_configENS1_25partition_config_selectorILNS1_17partition_subalgoE5ElNS0_10empty_typeEbEEZZNS1_14partition_implILS5_5ELb0ES3_mN6hipcub16HIPCUB_304000_NS21CountingInputIteratorIllEEPS6_NSA_22TransformInputIteratorIb7NonZeroIiEPilEENS0_5tupleIJPlS6_EEENSJ_IJSD_SD_EEES6_SK_JS6_EEE10hipError_tPvRmT3_T4_T5_T6_T7_T9_mT8_P12ihipStream_tbDpT10_ENKUlT_T0_E_clISt17integral_constantIbLb0EES15_IbLb1EEEEDaS11_S12_EUlS11_E_NS1_11comp_targetILNS1_3genE3ELNS1_11target_archE908ELNS1_3gpuE7ELNS1_3repE0EEENS1_30default_config_static_selectorELNS0_4arch9wavefront6targetE1EEEvT1_.kd
    .uniform_work_group_size: 1
    .uses_dynamic_stack: false
    .vgpr_count:     0
    .vgpr_spill_count: 0
    .wavefront_size: 64
  - .args:
      - .offset:         0
        .size:           136
        .value_kind:     by_value
    .group_segment_fixed_size: 14352
    .kernarg_segment_align: 8
    .kernarg_segment_size: 136
    .language:       OpenCL C
    .language_version:
      - 2
      - 0
    .max_flat_workgroup_size: 256
    .name:           _ZN7rocprim17ROCPRIM_400000_NS6detail17trampoline_kernelINS0_14default_configENS1_25partition_config_selectorILNS1_17partition_subalgoE5ElNS0_10empty_typeEbEEZZNS1_14partition_implILS5_5ELb0ES3_mN6hipcub16HIPCUB_304000_NS21CountingInputIteratorIllEEPS6_NSA_22TransformInputIteratorIb7NonZeroIiEPilEENS0_5tupleIJPlS6_EEENSJ_IJSD_SD_EEES6_SK_JS6_EEE10hipError_tPvRmT3_T4_T5_T6_T7_T9_mT8_P12ihipStream_tbDpT10_ENKUlT_T0_E_clISt17integral_constantIbLb0EES15_IbLb1EEEEDaS11_S12_EUlS11_E_NS1_11comp_targetILNS1_3genE2ELNS1_11target_archE906ELNS1_3gpuE6ELNS1_3repE0EEENS1_30default_config_static_selectorELNS0_4arch9wavefront6targetE1EEEvT1_
    .private_segment_fixed_size: 0
    .sgpr_count:     32
    .sgpr_spill_count: 0
    .symbol:         _ZN7rocprim17ROCPRIM_400000_NS6detail17trampoline_kernelINS0_14default_configENS1_25partition_config_selectorILNS1_17partition_subalgoE5ElNS0_10empty_typeEbEEZZNS1_14partition_implILS5_5ELb0ES3_mN6hipcub16HIPCUB_304000_NS21CountingInputIteratorIllEEPS6_NSA_22TransformInputIteratorIb7NonZeroIiEPilEENS0_5tupleIJPlS6_EEENSJ_IJSD_SD_EEES6_SK_JS6_EEE10hipError_tPvRmT3_T4_T5_T6_T7_T9_mT8_P12ihipStream_tbDpT10_ENKUlT_T0_E_clISt17integral_constantIbLb0EES15_IbLb1EEEEDaS11_S12_EUlS11_E_NS1_11comp_targetILNS1_3genE2ELNS1_11target_archE906ELNS1_3gpuE6ELNS1_3repE0EEENS1_30default_config_static_selectorELNS0_4arch9wavefront6targetE1EEEvT1_.kd
    .uniform_work_group_size: 1
    .uses_dynamic_stack: false
    .vgpr_count:     59
    .vgpr_spill_count: 0
    .wavefront_size: 64
  - .args:
      - .offset:         0
        .size:           136
        .value_kind:     by_value
    .group_segment_fixed_size: 0
    .kernarg_segment_align: 8
    .kernarg_segment_size: 136
    .language:       OpenCL C
    .language_version:
      - 2
      - 0
    .max_flat_workgroup_size: 256
    .name:           _ZN7rocprim17ROCPRIM_400000_NS6detail17trampoline_kernelINS0_14default_configENS1_25partition_config_selectorILNS1_17partition_subalgoE5ElNS0_10empty_typeEbEEZZNS1_14partition_implILS5_5ELb0ES3_mN6hipcub16HIPCUB_304000_NS21CountingInputIteratorIllEEPS6_NSA_22TransformInputIteratorIb7NonZeroIiEPilEENS0_5tupleIJPlS6_EEENSJ_IJSD_SD_EEES6_SK_JS6_EEE10hipError_tPvRmT3_T4_T5_T6_T7_T9_mT8_P12ihipStream_tbDpT10_ENKUlT_T0_E_clISt17integral_constantIbLb0EES15_IbLb1EEEEDaS11_S12_EUlS11_E_NS1_11comp_targetILNS1_3genE10ELNS1_11target_archE1200ELNS1_3gpuE4ELNS1_3repE0EEENS1_30default_config_static_selectorELNS0_4arch9wavefront6targetE1EEEvT1_
    .private_segment_fixed_size: 0
    .sgpr_count:     4
    .sgpr_spill_count: 0
    .symbol:         _ZN7rocprim17ROCPRIM_400000_NS6detail17trampoline_kernelINS0_14default_configENS1_25partition_config_selectorILNS1_17partition_subalgoE5ElNS0_10empty_typeEbEEZZNS1_14partition_implILS5_5ELb0ES3_mN6hipcub16HIPCUB_304000_NS21CountingInputIteratorIllEEPS6_NSA_22TransformInputIteratorIb7NonZeroIiEPilEENS0_5tupleIJPlS6_EEENSJ_IJSD_SD_EEES6_SK_JS6_EEE10hipError_tPvRmT3_T4_T5_T6_T7_T9_mT8_P12ihipStream_tbDpT10_ENKUlT_T0_E_clISt17integral_constantIbLb0EES15_IbLb1EEEEDaS11_S12_EUlS11_E_NS1_11comp_targetILNS1_3genE10ELNS1_11target_archE1200ELNS1_3gpuE4ELNS1_3repE0EEENS1_30default_config_static_selectorELNS0_4arch9wavefront6targetE1EEEvT1_.kd
    .uniform_work_group_size: 1
    .uses_dynamic_stack: false
    .vgpr_count:     0
    .vgpr_spill_count: 0
    .wavefront_size: 64
  - .args:
      - .offset:         0
        .size:           136
        .value_kind:     by_value
    .group_segment_fixed_size: 0
    .kernarg_segment_align: 8
    .kernarg_segment_size: 136
    .language:       OpenCL C
    .language_version:
      - 2
      - 0
    .max_flat_workgroup_size: 128
    .name:           _ZN7rocprim17ROCPRIM_400000_NS6detail17trampoline_kernelINS0_14default_configENS1_25partition_config_selectorILNS1_17partition_subalgoE5ElNS0_10empty_typeEbEEZZNS1_14partition_implILS5_5ELb0ES3_mN6hipcub16HIPCUB_304000_NS21CountingInputIteratorIllEEPS6_NSA_22TransformInputIteratorIb7NonZeroIiEPilEENS0_5tupleIJPlS6_EEENSJ_IJSD_SD_EEES6_SK_JS6_EEE10hipError_tPvRmT3_T4_T5_T6_T7_T9_mT8_P12ihipStream_tbDpT10_ENKUlT_T0_E_clISt17integral_constantIbLb0EES15_IbLb1EEEEDaS11_S12_EUlS11_E_NS1_11comp_targetILNS1_3genE9ELNS1_11target_archE1100ELNS1_3gpuE3ELNS1_3repE0EEENS1_30default_config_static_selectorELNS0_4arch9wavefront6targetE1EEEvT1_
    .private_segment_fixed_size: 0
    .sgpr_count:     4
    .sgpr_spill_count: 0
    .symbol:         _ZN7rocprim17ROCPRIM_400000_NS6detail17trampoline_kernelINS0_14default_configENS1_25partition_config_selectorILNS1_17partition_subalgoE5ElNS0_10empty_typeEbEEZZNS1_14partition_implILS5_5ELb0ES3_mN6hipcub16HIPCUB_304000_NS21CountingInputIteratorIllEEPS6_NSA_22TransformInputIteratorIb7NonZeroIiEPilEENS0_5tupleIJPlS6_EEENSJ_IJSD_SD_EEES6_SK_JS6_EEE10hipError_tPvRmT3_T4_T5_T6_T7_T9_mT8_P12ihipStream_tbDpT10_ENKUlT_T0_E_clISt17integral_constantIbLb0EES15_IbLb1EEEEDaS11_S12_EUlS11_E_NS1_11comp_targetILNS1_3genE9ELNS1_11target_archE1100ELNS1_3gpuE3ELNS1_3repE0EEENS1_30default_config_static_selectorELNS0_4arch9wavefront6targetE1EEEvT1_.kd
    .uniform_work_group_size: 1
    .uses_dynamic_stack: false
    .vgpr_count:     0
    .vgpr_spill_count: 0
    .wavefront_size: 64
  - .args:
      - .offset:         0
        .size:           136
        .value_kind:     by_value
    .group_segment_fixed_size: 0
    .kernarg_segment_align: 8
    .kernarg_segment_size: 136
    .language:       OpenCL C
    .language_version:
      - 2
      - 0
    .max_flat_workgroup_size: 512
    .name:           _ZN7rocprim17ROCPRIM_400000_NS6detail17trampoline_kernelINS0_14default_configENS1_25partition_config_selectorILNS1_17partition_subalgoE5ElNS0_10empty_typeEbEEZZNS1_14partition_implILS5_5ELb0ES3_mN6hipcub16HIPCUB_304000_NS21CountingInputIteratorIllEEPS6_NSA_22TransformInputIteratorIb7NonZeroIiEPilEENS0_5tupleIJPlS6_EEENSJ_IJSD_SD_EEES6_SK_JS6_EEE10hipError_tPvRmT3_T4_T5_T6_T7_T9_mT8_P12ihipStream_tbDpT10_ENKUlT_T0_E_clISt17integral_constantIbLb0EES15_IbLb1EEEEDaS11_S12_EUlS11_E_NS1_11comp_targetILNS1_3genE8ELNS1_11target_archE1030ELNS1_3gpuE2ELNS1_3repE0EEENS1_30default_config_static_selectorELNS0_4arch9wavefront6targetE1EEEvT1_
    .private_segment_fixed_size: 0
    .sgpr_count:     4
    .sgpr_spill_count: 0
    .symbol:         _ZN7rocprim17ROCPRIM_400000_NS6detail17trampoline_kernelINS0_14default_configENS1_25partition_config_selectorILNS1_17partition_subalgoE5ElNS0_10empty_typeEbEEZZNS1_14partition_implILS5_5ELb0ES3_mN6hipcub16HIPCUB_304000_NS21CountingInputIteratorIllEEPS6_NSA_22TransformInputIteratorIb7NonZeroIiEPilEENS0_5tupleIJPlS6_EEENSJ_IJSD_SD_EEES6_SK_JS6_EEE10hipError_tPvRmT3_T4_T5_T6_T7_T9_mT8_P12ihipStream_tbDpT10_ENKUlT_T0_E_clISt17integral_constantIbLb0EES15_IbLb1EEEEDaS11_S12_EUlS11_E_NS1_11comp_targetILNS1_3genE8ELNS1_11target_archE1030ELNS1_3gpuE2ELNS1_3repE0EEENS1_30default_config_static_selectorELNS0_4arch9wavefront6targetE1EEEvT1_.kd
    .uniform_work_group_size: 1
    .uses_dynamic_stack: false
    .vgpr_count:     0
    .vgpr_spill_count: 0
    .wavefront_size: 64
  - .args:
      - .offset:         0
        .size:           64
        .value_kind:     by_value
    .group_segment_fixed_size: 0
    .kernarg_segment_align: 8
    .kernarg_segment_size: 64
    .language:       OpenCL C
    .language_version:
      - 2
      - 0
    .max_flat_workgroup_size: 256
    .name:           _ZN7rocprim17ROCPRIM_400000_NS6detail17trampoline_kernelINS0_14default_configENS1_22reduce_config_selectorIlEEZNS1_11reduce_implILb1ES3_PlS7_lN6hipcub16HIPCUB_304000_NS6detail34convert_binary_result_type_wrapperINS9_3SumENS9_22TransformInputIteratorIb7NonZeroIfEPflEElEEEE10hipError_tPvRmT1_T2_T3_mT4_P12ihipStream_tbEUlT_E0_NS1_11comp_targetILNS1_3genE0ELNS1_11target_archE4294967295ELNS1_3gpuE0ELNS1_3repE0EEENS1_30default_config_static_selectorELNS0_4arch9wavefront6targetE1EEEvSM_
    .private_segment_fixed_size: 0
    .sgpr_count:     4
    .sgpr_spill_count: 0
    .symbol:         _ZN7rocprim17ROCPRIM_400000_NS6detail17trampoline_kernelINS0_14default_configENS1_22reduce_config_selectorIlEEZNS1_11reduce_implILb1ES3_PlS7_lN6hipcub16HIPCUB_304000_NS6detail34convert_binary_result_type_wrapperINS9_3SumENS9_22TransformInputIteratorIb7NonZeroIfEPflEElEEEE10hipError_tPvRmT1_T2_T3_mT4_P12ihipStream_tbEUlT_E0_NS1_11comp_targetILNS1_3genE0ELNS1_11target_archE4294967295ELNS1_3gpuE0ELNS1_3repE0EEENS1_30default_config_static_selectorELNS0_4arch9wavefront6targetE1EEEvSM_.kd
    .uniform_work_group_size: 1
    .uses_dynamic_stack: false
    .vgpr_count:     0
    .vgpr_spill_count: 0
    .wavefront_size: 64
  - .args:
      - .offset:         0
        .size:           64
        .value_kind:     by_value
    .group_segment_fixed_size: 0
    .kernarg_segment_align: 8
    .kernarg_segment_size: 64
    .language:       OpenCL C
    .language_version:
      - 2
      - 0
    .max_flat_workgroup_size: 256
    .name:           _ZN7rocprim17ROCPRIM_400000_NS6detail17trampoline_kernelINS0_14default_configENS1_22reduce_config_selectorIlEEZNS1_11reduce_implILb1ES3_PlS7_lN6hipcub16HIPCUB_304000_NS6detail34convert_binary_result_type_wrapperINS9_3SumENS9_22TransformInputIteratorIb7NonZeroIfEPflEElEEEE10hipError_tPvRmT1_T2_T3_mT4_P12ihipStream_tbEUlT_E0_NS1_11comp_targetILNS1_3genE5ELNS1_11target_archE942ELNS1_3gpuE9ELNS1_3repE0EEENS1_30default_config_static_selectorELNS0_4arch9wavefront6targetE1EEEvSM_
    .private_segment_fixed_size: 0
    .sgpr_count:     4
    .sgpr_spill_count: 0
    .symbol:         _ZN7rocprim17ROCPRIM_400000_NS6detail17trampoline_kernelINS0_14default_configENS1_22reduce_config_selectorIlEEZNS1_11reduce_implILb1ES3_PlS7_lN6hipcub16HIPCUB_304000_NS6detail34convert_binary_result_type_wrapperINS9_3SumENS9_22TransformInputIteratorIb7NonZeroIfEPflEElEEEE10hipError_tPvRmT1_T2_T3_mT4_P12ihipStream_tbEUlT_E0_NS1_11comp_targetILNS1_3genE5ELNS1_11target_archE942ELNS1_3gpuE9ELNS1_3repE0EEENS1_30default_config_static_selectorELNS0_4arch9wavefront6targetE1EEEvSM_.kd
    .uniform_work_group_size: 1
    .uses_dynamic_stack: false
    .vgpr_count:     0
    .vgpr_spill_count: 0
    .wavefront_size: 64
  - .args:
      - .offset:         0
        .size:           64
        .value_kind:     by_value
    .group_segment_fixed_size: 0
    .kernarg_segment_align: 8
    .kernarg_segment_size: 64
    .language:       OpenCL C
    .language_version:
      - 2
      - 0
    .max_flat_workgroup_size: 256
    .name:           _ZN7rocprim17ROCPRIM_400000_NS6detail17trampoline_kernelINS0_14default_configENS1_22reduce_config_selectorIlEEZNS1_11reduce_implILb1ES3_PlS7_lN6hipcub16HIPCUB_304000_NS6detail34convert_binary_result_type_wrapperINS9_3SumENS9_22TransformInputIteratorIb7NonZeroIfEPflEElEEEE10hipError_tPvRmT1_T2_T3_mT4_P12ihipStream_tbEUlT_E0_NS1_11comp_targetILNS1_3genE4ELNS1_11target_archE910ELNS1_3gpuE8ELNS1_3repE0EEENS1_30default_config_static_selectorELNS0_4arch9wavefront6targetE1EEEvSM_
    .private_segment_fixed_size: 0
    .sgpr_count:     4
    .sgpr_spill_count: 0
    .symbol:         _ZN7rocprim17ROCPRIM_400000_NS6detail17trampoline_kernelINS0_14default_configENS1_22reduce_config_selectorIlEEZNS1_11reduce_implILb1ES3_PlS7_lN6hipcub16HIPCUB_304000_NS6detail34convert_binary_result_type_wrapperINS9_3SumENS9_22TransformInputIteratorIb7NonZeroIfEPflEElEEEE10hipError_tPvRmT1_T2_T3_mT4_P12ihipStream_tbEUlT_E0_NS1_11comp_targetILNS1_3genE4ELNS1_11target_archE910ELNS1_3gpuE8ELNS1_3repE0EEENS1_30default_config_static_selectorELNS0_4arch9wavefront6targetE1EEEvSM_.kd
    .uniform_work_group_size: 1
    .uses_dynamic_stack: false
    .vgpr_count:     0
    .vgpr_spill_count: 0
    .wavefront_size: 64
  - .args:
      - .offset:         0
        .size:           64
        .value_kind:     by_value
    .group_segment_fixed_size: 0
    .kernarg_segment_align: 8
    .kernarg_segment_size: 64
    .language:       OpenCL C
    .language_version:
      - 2
      - 0
    .max_flat_workgroup_size: 256
    .name:           _ZN7rocprim17ROCPRIM_400000_NS6detail17trampoline_kernelINS0_14default_configENS1_22reduce_config_selectorIlEEZNS1_11reduce_implILb1ES3_PlS7_lN6hipcub16HIPCUB_304000_NS6detail34convert_binary_result_type_wrapperINS9_3SumENS9_22TransformInputIteratorIb7NonZeroIfEPflEElEEEE10hipError_tPvRmT1_T2_T3_mT4_P12ihipStream_tbEUlT_E0_NS1_11comp_targetILNS1_3genE3ELNS1_11target_archE908ELNS1_3gpuE7ELNS1_3repE0EEENS1_30default_config_static_selectorELNS0_4arch9wavefront6targetE1EEEvSM_
    .private_segment_fixed_size: 0
    .sgpr_count:     4
    .sgpr_spill_count: 0
    .symbol:         _ZN7rocprim17ROCPRIM_400000_NS6detail17trampoline_kernelINS0_14default_configENS1_22reduce_config_selectorIlEEZNS1_11reduce_implILb1ES3_PlS7_lN6hipcub16HIPCUB_304000_NS6detail34convert_binary_result_type_wrapperINS9_3SumENS9_22TransformInputIteratorIb7NonZeroIfEPflEElEEEE10hipError_tPvRmT1_T2_T3_mT4_P12ihipStream_tbEUlT_E0_NS1_11comp_targetILNS1_3genE3ELNS1_11target_archE908ELNS1_3gpuE7ELNS1_3repE0EEENS1_30default_config_static_selectorELNS0_4arch9wavefront6targetE1EEEvSM_.kd
    .uniform_work_group_size: 1
    .uses_dynamic_stack: false
    .vgpr_count:     0
    .vgpr_spill_count: 0
    .wavefront_size: 64
  - .args:
      - .offset:         0
        .size:           64
        .value_kind:     by_value
    .group_segment_fixed_size: 64
    .kernarg_segment_align: 8
    .kernarg_segment_size: 64
    .language:       OpenCL C
    .language_version:
      - 2
      - 0
    .max_flat_workgroup_size: 256
    .name:           _ZN7rocprim17ROCPRIM_400000_NS6detail17trampoline_kernelINS0_14default_configENS1_22reduce_config_selectorIlEEZNS1_11reduce_implILb1ES3_PlS7_lN6hipcub16HIPCUB_304000_NS6detail34convert_binary_result_type_wrapperINS9_3SumENS9_22TransformInputIteratorIb7NonZeroIfEPflEElEEEE10hipError_tPvRmT1_T2_T3_mT4_P12ihipStream_tbEUlT_E0_NS1_11comp_targetILNS1_3genE2ELNS1_11target_archE906ELNS1_3gpuE6ELNS1_3repE0EEENS1_30default_config_static_selectorELNS0_4arch9wavefront6targetE1EEEvSM_
    .private_segment_fixed_size: 0
    .sgpr_count:     24
    .sgpr_spill_count: 0
    .symbol:         _ZN7rocprim17ROCPRIM_400000_NS6detail17trampoline_kernelINS0_14default_configENS1_22reduce_config_selectorIlEEZNS1_11reduce_implILb1ES3_PlS7_lN6hipcub16HIPCUB_304000_NS6detail34convert_binary_result_type_wrapperINS9_3SumENS9_22TransformInputIteratorIb7NonZeroIfEPflEElEEEE10hipError_tPvRmT1_T2_T3_mT4_P12ihipStream_tbEUlT_E0_NS1_11comp_targetILNS1_3genE2ELNS1_11target_archE906ELNS1_3gpuE6ELNS1_3repE0EEENS1_30default_config_static_selectorELNS0_4arch9wavefront6targetE1EEEvSM_.kd
    .uniform_work_group_size: 1
    .uses_dynamic_stack: false
    .vgpr_count:     11
    .vgpr_spill_count: 0
    .wavefront_size: 64
  - .args:
      - .offset:         0
        .size:           64
        .value_kind:     by_value
    .group_segment_fixed_size: 0
    .kernarg_segment_align: 8
    .kernarg_segment_size: 64
    .language:       OpenCL C
    .language_version:
      - 2
      - 0
    .max_flat_workgroup_size: 256
    .name:           _ZN7rocprim17ROCPRIM_400000_NS6detail17trampoline_kernelINS0_14default_configENS1_22reduce_config_selectorIlEEZNS1_11reduce_implILb1ES3_PlS7_lN6hipcub16HIPCUB_304000_NS6detail34convert_binary_result_type_wrapperINS9_3SumENS9_22TransformInputIteratorIb7NonZeroIfEPflEElEEEE10hipError_tPvRmT1_T2_T3_mT4_P12ihipStream_tbEUlT_E0_NS1_11comp_targetILNS1_3genE10ELNS1_11target_archE1201ELNS1_3gpuE5ELNS1_3repE0EEENS1_30default_config_static_selectorELNS0_4arch9wavefront6targetE1EEEvSM_
    .private_segment_fixed_size: 0
    .sgpr_count:     4
    .sgpr_spill_count: 0
    .symbol:         _ZN7rocprim17ROCPRIM_400000_NS6detail17trampoline_kernelINS0_14default_configENS1_22reduce_config_selectorIlEEZNS1_11reduce_implILb1ES3_PlS7_lN6hipcub16HIPCUB_304000_NS6detail34convert_binary_result_type_wrapperINS9_3SumENS9_22TransformInputIteratorIb7NonZeroIfEPflEElEEEE10hipError_tPvRmT1_T2_T3_mT4_P12ihipStream_tbEUlT_E0_NS1_11comp_targetILNS1_3genE10ELNS1_11target_archE1201ELNS1_3gpuE5ELNS1_3repE0EEENS1_30default_config_static_selectorELNS0_4arch9wavefront6targetE1EEEvSM_.kd
    .uniform_work_group_size: 1
    .uses_dynamic_stack: false
    .vgpr_count:     0
    .vgpr_spill_count: 0
    .wavefront_size: 64
  - .args:
      - .offset:         0
        .size:           64
        .value_kind:     by_value
    .group_segment_fixed_size: 0
    .kernarg_segment_align: 8
    .kernarg_segment_size: 64
    .language:       OpenCL C
    .language_version:
      - 2
      - 0
    .max_flat_workgroup_size: 256
    .name:           _ZN7rocprim17ROCPRIM_400000_NS6detail17trampoline_kernelINS0_14default_configENS1_22reduce_config_selectorIlEEZNS1_11reduce_implILb1ES3_PlS7_lN6hipcub16HIPCUB_304000_NS6detail34convert_binary_result_type_wrapperINS9_3SumENS9_22TransformInputIteratorIb7NonZeroIfEPflEElEEEE10hipError_tPvRmT1_T2_T3_mT4_P12ihipStream_tbEUlT_E0_NS1_11comp_targetILNS1_3genE10ELNS1_11target_archE1200ELNS1_3gpuE4ELNS1_3repE0EEENS1_30default_config_static_selectorELNS0_4arch9wavefront6targetE1EEEvSM_
    .private_segment_fixed_size: 0
    .sgpr_count:     4
    .sgpr_spill_count: 0
    .symbol:         _ZN7rocprim17ROCPRIM_400000_NS6detail17trampoline_kernelINS0_14default_configENS1_22reduce_config_selectorIlEEZNS1_11reduce_implILb1ES3_PlS7_lN6hipcub16HIPCUB_304000_NS6detail34convert_binary_result_type_wrapperINS9_3SumENS9_22TransformInputIteratorIb7NonZeroIfEPflEElEEEE10hipError_tPvRmT1_T2_T3_mT4_P12ihipStream_tbEUlT_E0_NS1_11comp_targetILNS1_3genE10ELNS1_11target_archE1200ELNS1_3gpuE4ELNS1_3repE0EEENS1_30default_config_static_selectorELNS0_4arch9wavefront6targetE1EEEvSM_.kd
    .uniform_work_group_size: 1
    .uses_dynamic_stack: false
    .vgpr_count:     0
    .vgpr_spill_count: 0
    .wavefront_size: 64
  - .args:
      - .offset:         0
        .size:           64
        .value_kind:     by_value
    .group_segment_fixed_size: 0
    .kernarg_segment_align: 8
    .kernarg_segment_size: 64
    .language:       OpenCL C
    .language_version:
      - 2
      - 0
    .max_flat_workgroup_size: 256
    .name:           _ZN7rocprim17ROCPRIM_400000_NS6detail17trampoline_kernelINS0_14default_configENS1_22reduce_config_selectorIlEEZNS1_11reduce_implILb1ES3_PlS7_lN6hipcub16HIPCUB_304000_NS6detail34convert_binary_result_type_wrapperINS9_3SumENS9_22TransformInputIteratorIb7NonZeroIfEPflEElEEEE10hipError_tPvRmT1_T2_T3_mT4_P12ihipStream_tbEUlT_E0_NS1_11comp_targetILNS1_3genE9ELNS1_11target_archE1100ELNS1_3gpuE3ELNS1_3repE0EEENS1_30default_config_static_selectorELNS0_4arch9wavefront6targetE1EEEvSM_
    .private_segment_fixed_size: 0
    .sgpr_count:     4
    .sgpr_spill_count: 0
    .symbol:         _ZN7rocprim17ROCPRIM_400000_NS6detail17trampoline_kernelINS0_14default_configENS1_22reduce_config_selectorIlEEZNS1_11reduce_implILb1ES3_PlS7_lN6hipcub16HIPCUB_304000_NS6detail34convert_binary_result_type_wrapperINS9_3SumENS9_22TransformInputIteratorIb7NonZeroIfEPflEElEEEE10hipError_tPvRmT1_T2_T3_mT4_P12ihipStream_tbEUlT_E0_NS1_11comp_targetILNS1_3genE9ELNS1_11target_archE1100ELNS1_3gpuE3ELNS1_3repE0EEENS1_30default_config_static_selectorELNS0_4arch9wavefront6targetE1EEEvSM_.kd
    .uniform_work_group_size: 1
    .uses_dynamic_stack: false
    .vgpr_count:     0
    .vgpr_spill_count: 0
    .wavefront_size: 64
  - .args:
      - .offset:         0
        .size:           64
        .value_kind:     by_value
    .group_segment_fixed_size: 0
    .kernarg_segment_align: 8
    .kernarg_segment_size: 64
    .language:       OpenCL C
    .language_version:
      - 2
      - 0
    .max_flat_workgroup_size: 256
    .name:           _ZN7rocprim17ROCPRIM_400000_NS6detail17trampoline_kernelINS0_14default_configENS1_22reduce_config_selectorIlEEZNS1_11reduce_implILb1ES3_PlS7_lN6hipcub16HIPCUB_304000_NS6detail34convert_binary_result_type_wrapperINS9_3SumENS9_22TransformInputIteratorIb7NonZeroIfEPflEElEEEE10hipError_tPvRmT1_T2_T3_mT4_P12ihipStream_tbEUlT_E0_NS1_11comp_targetILNS1_3genE8ELNS1_11target_archE1030ELNS1_3gpuE2ELNS1_3repE0EEENS1_30default_config_static_selectorELNS0_4arch9wavefront6targetE1EEEvSM_
    .private_segment_fixed_size: 0
    .sgpr_count:     4
    .sgpr_spill_count: 0
    .symbol:         _ZN7rocprim17ROCPRIM_400000_NS6detail17trampoline_kernelINS0_14default_configENS1_22reduce_config_selectorIlEEZNS1_11reduce_implILb1ES3_PlS7_lN6hipcub16HIPCUB_304000_NS6detail34convert_binary_result_type_wrapperINS9_3SumENS9_22TransformInputIteratorIb7NonZeroIfEPflEElEEEE10hipError_tPvRmT1_T2_T3_mT4_P12ihipStream_tbEUlT_E0_NS1_11comp_targetILNS1_3genE8ELNS1_11target_archE1030ELNS1_3gpuE2ELNS1_3repE0EEENS1_30default_config_static_selectorELNS0_4arch9wavefront6targetE1EEEvSM_.kd
    .uniform_work_group_size: 1
    .uses_dynamic_stack: false
    .vgpr_count:     0
    .vgpr_spill_count: 0
    .wavefront_size: 64
  - .args:
      - .offset:         0
        .size:           48
        .value_kind:     by_value
    .group_segment_fixed_size: 0
    .kernarg_segment_align: 8
    .kernarg_segment_size: 48
    .language:       OpenCL C
    .language_version:
      - 2
      - 0
    .max_flat_workgroup_size: 256
    .name:           _ZN7rocprim17ROCPRIM_400000_NS6detail17trampoline_kernelINS0_14default_configENS1_22reduce_config_selectorIlEEZNS1_11reduce_implILb1ES3_PlS7_lN6hipcub16HIPCUB_304000_NS6detail34convert_binary_result_type_wrapperINS9_3SumENS9_22TransformInputIteratorIb7NonZeroIfEPflEElEEEE10hipError_tPvRmT1_T2_T3_mT4_P12ihipStream_tbEUlT_E1_NS1_11comp_targetILNS1_3genE0ELNS1_11target_archE4294967295ELNS1_3gpuE0ELNS1_3repE0EEENS1_30default_config_static_selectorELNS0_4arch9wavefront6targetE1EEEvSM_
    .private_segment_fixed_size: 0
    .sgpr_count:     4
    .sgpr_spill_count: 0
    .symbol:         _ZN7rocprim17ROCPRIM_400000_NS6detail17trampoline_kernelINS0_14default_configENS1_22reduce_config_selectorIlEEZNS1_11reduce_implILb1ES3_PlS7_lN6hipcub16HIPCUB_304000_NS6detail34convert_binary_result_type_wrapperINS9_3SumENS9_22TransformInputIteratorIb7NonZeroIfEPflEElEEEE10hipError_tPvRmT1_T2_T3_mT4_P12ihipStream_tbEUlT_E1_NS1_11comp_targetILNS1_3genE0ELNS1_11target_archE4294967295ELNS1_3gpuE0ELNS1_3repE0EEENS1_30default_config_static_selectorELNS0_4arch9wavefront6targetE1EEEvSM_.kd
    .uniform_work_group_size: 1
    .uses_dynamic_stack: false
    .vgpr_count:     0
    .vgpr_spill_count: 0
    .wavefront_size: 64
  - .args:
      - .offset:         0
        .size:           48
        .value_kind:     by_value
    .group_segment_fixed_size: 0
    .kernarg_segment_align: 8
    .kernarg_segment_size: 48
    .language:       OpenCL C
    .language_version:
      - 2
      - 0
    .max_flat_workgroup_size: 256
    .name:           _ZN7rocprim17ROCPRIM_400000_NS6detail17trampoline_kernelINS0_14default_configENS1_22reduce_config_selectorIlEEZNS1_11reduce_implILb1ES3_PlS7_lN6hipcub16HIPCUB_304000_NS6detail34convert_binary_result_type_wrapperINS9_3SumENS9_22TransformInputIteratorIb7NonZeroIfEPflEElEEEE10hipError_tPvRmT1_T2_T3_mT4_P12ihipStream_tbEUlT_E1_NS1_11comp_targetILNS1_3genE5ELNS1_11target_archE942ELNS1_3gpuE9ELNS1_3repE0EEENS1_30default_config_static_selectorELNS0_4arch9wavefront6targetE1EEEvSM_
    .private_segment_fixed_size: 0
    .sgpr_count:     4
    .sgpr_spill_count: 0
    .symbol:         _ZN7rocprim17ROCPRIM_400000_NS6detail17trampoline_kernelINS0_14default_configENS1_22reduce_config_selectorIlEEZNS1_11reduce_implILb1ES3_PlS7_lN6hipcub16HIPCUB_304000_NS6detail34convert_binary_result_type_wrapperINS9_3SumENS9_22TransformInputIteratorIb7NonZeroIfEPflEElEEEE10hipError_tPvRmT1_T2_T3_mT4_P12ihipStream_tbEUlT_E1_NS1_11comp_targetILNS1_3genE5ELNS1_11target_archE942ELNS1_3gpuE9ELNS1_3repE0EEENS1_30default_config_static_selectorELNS0_4arch9wavefront6targetE1EEEvSM_.kd
    .uniform_work_group_size: 1
    .uses_dynamic_stack: false
    .vgpr_count:     0
    .vgpr_spill_count: 0
    .wavefront_size: 64
  - .args:
      - .offset:         0
        .size:           48
        .value_kind:     by_value
    .group_segment_fixed_size: 0
    .kernarg_segment_align: 8
    .kernarg_segment_size: 48
    .language:       OpenCL C
    .language_version:
      - 2
      - 0
    .max_flat_workgroup_size: 256
    .name:           _ZN7rocprim17ROCPRIM_400000_NS6detail17trampoline_kernelINS0_14default_configENS1_22reduce_config_selectorIlEEZNS1_11reduce_implILb1ES3_PlS7_lN6hipcub16HIPCUB_304000_NS6detail34convert_binary_result_type_wrapperINS9_3SumENS9_22TransformInputIteratorIb7NonZeroIfEPflEElEEEE10hipError_tPvRmT1_T2_T3_mT4_P12ihipStream_tbEUlT_E1_NS1_11comp_targetILNS1_3genE4ELNS1_11target_archE910ELNS1_3gpuE8ELNS1_3repE0EEENS1_30default_config_static_selectorELNS0_4arch9wavefront6targetE1EEEvSM_
    .private_segment_fixed_size: 0
    .sgpr_count:     4
    .sgpr_spill_count: 0
    .symbol:         _ZN7rocprim17ROCPRIM_400000_NS6detail17trampoline_kernelINS0_14default_configENS1_22reduce_config_selectorIlEEZNS1_11reduce_implILb1ES3_PlS7_lN6hipcub16HIPCUB_304000_NS6detail34convert_binary_result_type_wrapperINS9_3SumENS9_22TransformInputIteratorIb7NonZeroIfEPflEElEEEE10hipError_tPvRmT1_T2_T3_mT4_P12ihipStream_tbEUlT_E1_NS1_11comp_targetILNS1_3genE4ELNS1_11target_archE910ELNS1_3gpuE8ELNS1_3repE0EEENS1_30default_config_static_selectorELNS0_4arch9wavefront6targetE1EEEvSM_.kd
    .uniform_work_group_size: 1
    .uses_dynamic_stack: false
    .vgpr_count:     0
    .vgpr_spill_count: 0
    .wavefront_size: 64
  - .args:
      - .offset:         0
        .size:           48
        .value_kind:     by_value
    .group_segment_fixed_size: 0
    .kernarg_segment_align: 8
    .kernarg_segment_size: 48
    .language:       OpenCL C
    .language_version:
      - 2
      - 0
    .max_flat_workgroup_size: 256
    .name:           _ZN7rocprim17ROCPRIM_400000_NS6detail17trampoline_kernelINS0_14default_configENS1_22reduce_config_selectorIlEEZNS1_11reduce_implILb1ES3_PlS7_lN6hipcub16HIPCUB_304000_NS6detail34convert_binary_result_type_wrapperINS9_3SumENS9_22TransformInputIteratorIb7NonZeroIfEPflEElEEEE10hipError_tPvRmT1_T2_T3_mT4_P12ihipStream_tbEUlT_E1_NS1_11comp_targetILNS1_3genE3ELNS1_11target_archE908ELNS1_3gpuE7ELNS1_3repE0EEENS1_30default_config_static_selectorELNS0_4arch9wavefront6targetE1EEEvSM_
    .private_segment_fixed_size: 0
    .sgpr_count:     4
    .sgpr_spill_count: 0
    .symbol:         _ZN7rocprim17ROCPRIM_400000_NS6detail17trampoline_kernelINS0_14default_configENS1_22reduce_config_selectorIlEEZNS1_11reduce_implILb1ES3_PlS7_lN6hipcub16HIPCUB_304000_NS6detail34convert_binary_result_type_wrapperINS9_3SumENS9_22TransformInputIteratorIb7NonZeroIfEPflEElEEEE10hipError_tPvRmT1_T2_T3_mT4_P12ihipStream_tbEUlT_E1_NS1_11comp_targetILNS1_3genE3ELNS1_11target_archE908ELNS1_3gpuE7ELNS1_3repE0EEENS1_30default_config_static_selectorELNS0_4arch9wavefront6targetE1EEEvSM_.kd
    .uniform_work_group_size: 1
    .uses_dynamic_stack: false
    .vgpr_count:     0
    .vgpr_spill_count: 0
    .wavefront_size: 64
  - .args:
      - .offset:         0
        .size:           48
        .value_kind:     by_value
    .group_segment_fixed_size: 192
    .kernarg_segment_align: 8
    .kernarg_segment_size: 48
    .language:       OpenCL C
    .language_version:
      - 2
      - 0
    .max_flat_workgroup_size: 256
    .name:           _ZN7rocprim17ROCPRIM_400000_NS6detail17trampoline_kernelINS0_14default_configENS1_22reduce_config_selectorIlEEZNS1_11reduce_implILb1ES3_PlS7_lN6hipcub16HIPCUB_304000_NS6detail34convert_binary_result_type_wrapperINS9_3SumENS9_22TransformInputIteratorIb7NonZeroIfEPflEElEEEE10hipError_tPvRmT1_T2_T3_mT4_P12ihipStream_tbEUlT_E1_NS1_11comp_targetILNS1_3genE2ELNS1_11target_archE906ELNS1_3gpuE6ELNS1_3repE0EEENS1_30default_config_static_selectorELNS0_4arch9wavefront6targetE1EEEvSM_
    .private_segment_fixed_size: 0
    .sgpr_count:     32
    .sgpr_spill_count: 0
    .symbol:         _ZN7rocprim17ROCPRIM_400000_NS6detail17trampoline_kernelINS0_14default_configENS1_22reduce_config_selectorIlEEZNS1_11reduce_implILb1ES3_PlS7_lN6hipcub16HIPCUB_304000_NS6detail34convert_binary_result_type_wrapperINS9_3SumENS9_22TransformInputIteratorIb7NonZeroIfEPflEElEEEE10hipError_tPvRmT1_T2_T3_mT4_P12ihipStream_tbEUlT_E1_NS1_11comp_targetILNS1_3genE2ELNS1_11target_archE906ELNS1_3gpuE6ELNS1_3repE0EEENS1_30default_config_static_selectorELNS0_4arch9wavefront6targetE1EEEvSM_.kd
    .uniform_work_group_size: 1
    .uses_dynamic_stack: false
    .vgpr_count:     34
    .vgpr_spill_count: 0
    .wavefront_size: 64
  - .args:
      - .offset:         0
        .size:           48
        .value_kind:     by_value
    .group_segment_fixed_size: 0
    .kernarg_segment_align: 8
    .kernarg_segment_size: 48
    .language:       OpenCL C
    .language_version:
      - 2
      - 0
    .max_flat_workgroup_size: 256
    .name:           _ZN7rocprim17ROCPRIM_400000_NS6detail17trampoline_kernelINS0_14default_configENS1_22reduce_config_selectorIlEEZNS1_11reduce_implILb1ES3_PlS7_lN6hipcub16HIPCUB_304000_NS6detail34convert_binary_result_type_wrapperINS9_3SumENS9_22TransformInputIteratorIb7NonZeroIfEPflEElEEEE10hipError_tPvRmT1_T2_T3_mT4_P12ihipStream_tbEUlT_E1_NS1_11comp_targetILNS1_3genE10ELNS1_11target_archE1201ELNS1_3gpuE5ELNS1_3repE0EEENS1_30default_config_static_selectorELNS0_4arch9wavefront6targetE1EEEvSM_
    .private_segment_fixed_size: 0
    .sgpr_count:     4
    .sgpr_spill_count: 0
    .symbol:         _ZN7rocprim17ROCPRIM_400000_NS6detail17trampoline_kernelINS0_14default_configENS1_22reduce_config_selectorIlEEZNS1_11reduce_implILb1ES3_PlS7_lN6hipcub16HIPCUB_304000_NS6detail34convert_binary_result_type_wrapperINS9_3SumENS9_22TransformInputIteratorIb7NonZeroIfEPflEElEEEE10hipError_tPvRmT1_T2_T3_mT4_P12ihipStream_tbEUlT_E1_NS1_11comp_targetILNS1_3genE10ELNS1_11target_archE1201ELNS1_3gpuE5ELNS1_3repE0EEENS1_30default_config_static_selectorELNS0_4arch9wavefront6targetE1EEEvSM_.kd
    .uniform_work_group_size: 1
    .uses_dynamic_stack: false
    .vgpr_count:     0
    .vgpr_spill_count: 0
    .wavefront_size: 64
  - .args:
      - .offset:         0
        .size:           48
        .value_kind:     by_value
    .group_segment_fixed_size: 0
    .kernarg_segment_align: 8
    .kernarg_segment_size: 48
    .language:       OpenCL C
    .language_version:
      - 2
      - 0
    .max_flat_workgroup_size: 256
    .name:           _ZN7rocprim17ROCPRIM_400000_NS6detail17trampoline_kernelINS0_14default_configENS1_22reduce_config_selectorIlEEZNS1_11reduce_implILb1ES3_PlS7_lN6hipcub16HIPCUB_304000_NS6detail34convert_binary_result_type_wrapperINS9_3SumENS9_22TransformInputIteratorIb7NonZeroIfEPflEElEEEE10hipError_tPvRmT1_T2_T3_mT4_P12ihipStream_tbEUlT_E1_NS1_11comp_targetILNS1_3genE10ELNS1_11target_archE1200ELNS1_3gpuE4ELNS1_3repE0EEENS1_30default_config_static_selectorELNS0_4arch9wavefront6targetE1EEEvSM_
    .private_segment_fixed_size: 0
    .sgpr_count:     4
    .sgpr_spill_count: 0
    .symbol:         _ZN7rocprim17ROCPRIM_400000_NS6detail17trampoline_kernelINS0_14default_configENS1_22reduce_config_selectorIlEEZNS1_11reduce_implILb1ES3_PlS7_lN6hipcub16HIPCUB_304000_NS6detail34convert_binary_result_type_wrapperINS9_3SumENS9_22TransformInputIteratorIb7NonZeroIfEPflEElEEEE10hipError_tPvRmT1_T2_T3_mT4_P12ihipStream_tbEUlT_E1_NS1_11comp_targetILNS1_3genE10ELNS1_11target_archE1200ELNS1_3gpuE4ELNS1_3repE0EEENS1_30default_config_static_selectorELNS0_4arch9wavefront6targetE1EEEvSM_.kd
    .uniform_work_group_size: 1
    .uses_dynamic_stack: false
    .vgpr_count:     0
    .vgpr_spill_count: 0
    .wavefront_size: 64
  - .args:
      - .offset:         0
        .size:           48
        .value_kind:     by_value
    .group_segment_fixed_size: 0
    .kernarg_segment_align: 8
    .kernarg_segment_size: 48
    .language:       OpenCL C
    .language_version:
      - 2
      - 0
    .max_flat_workgroup_size: 256
    .name:           _ZN7rocprim17ROCPRIM_400000_NS6detail17trampoline_kernelINS0_14default_configENS1_22reduce_config_selectorIlEEZNS1_11reduce_implILb1ES3_PlS7_lN6hipcub16HIPCUB_304000_NS6detail34convert_binary_result_type_wrapperINS9_3SumENS9_22TransformInputIteratorIb7NonZeroIfEPflEElEEEE10hipError_tPvRmT1_T2_T3_mT4_P12ihipStream_tbEUlT_E1_NS1_11comp_targetILNS1_3genE9ELNS1_11target_archE1100ELNS1_3gpuE3ELNS1_3repE0EEENS1_30default_config_static_selectorELNS0_4arch9wavefront6targetE1EEEvSM_
    .private_segment_fixed_size: 0
    .sgpr_count:     4
    .sgpr_spill_count: 0
    .symbol:         _ZN7rocprim17ROCPRIM_400000_NS6detail17trampoline_kernelINS0_14default_configENS1_22reduce_config_selectorIlEEZNS1_11reduce_implILb1ES3_PlS7_lN6hipcub16HIPCUB_304000_NS6detail34convert_binary_result_type_wrapperINS9_3SumENS9_22TransformInputIteratorIb7NonZeroIfEPflEElEEEE10hipError_tPvRmT1_T2_T3_mT4_P12ihipStream_tbEUlT_E1_NS1_11comp_targetILNS1_3genE9ELNS1_11target_archE1100ELNS1_3gpuE3ELNS1_3repE0EEENS1_30default_config_static_selectorELNS0_4arch9wavefront6targetE1EEEvSM_.kd
    .uniform_work_group_size: 1
    .uses_dynamic_stack: false
    .vgpr_count:     0
    .vgpr_spill_count: 0
    .wavefront_size: 64
  - .args:
      - .offset:         0
        .size:           48
        .value_kind:     by_value
    .group_segment_fixed_size: 0
    .kernarg_segment_align: 8
    .kernarg_segment_size: 48
    .language:       OpenCL C
    .language_version:
      - 2
      - 0
    .max_flat_workgroup_size: 256
    .name:           _ZN7rocprim17ROCPRIM_400000_NS6detail17trampoline_kernelINS0_14default_configENS1_22reduce_config_selectorIlEEZNS1_11reduce_implILb1ES3_PlS7_lN6hipcub16HIPCUB_304000_NS6detail34convert_binary_result_type_wrapperINS9_3SumENS9_22TransformInputIteratorIb7NonZeroIfEPflEElEEEE10hipError_tPvRmT1_T2_T3_mT4_P12ihipStream_tbEUlT_E1_NS1_11comp_targetILNS1_3genE8ELNS1_11target_archE1030ELNS1_3gpuE2ELNS1_3repE0EEENS1_30default_config_static_selectorELNS0_4arch9wavefront6targetE1EEEvSM_
    .private_segment_fixed_size: 0
    .sgpr_count:     4
    .sgpr_spill_count: 0
    .symbol:         _ZN7rocprim17ROCPRIM_400000_NS6detail17trampoline_kernelINS0_14default_configENS1_22reduce_config_selectorIlEEZNS1_11reduce_implILb1ES3_PlS7_lN6hipcub16HIPCUB_304000_NS6detail34convert_binary_result_type_wrapperINS9_3SumENS9_22TransformInputIteratorIb7NonZeroIfEPflEElEEEE10hipError_tPvRmT1_T2_T3_mT4_P12ihipStream_tbEUlT_E1_NS1_11comp_targetILNS1_3genE8ELNS1_11target_archE1030ELNS1_3gpuE2ELNS1_3repE0EEENS1_30default_config_static_selectorELNS0_4arch9wavefront6targetE1EEEvSM_.kd
    .uniform_work_group_size: 1
    .uses_dynamic_stack: false
    .vgpr_count:     0
    .vgpr_spill_count: 0
    .wavefront_size: 64
  - .args:
      - .offset:         0
        .size:           72
        .value_kind:     by_value
    .group_segment_fixed_size: 0
    .kernarg_segment_align: 8
    .kernarg_segment_size: 72
    .language:       OpenCL C
    .language_version:
      - 2
      - 0
    .max_flat_workgroup_size: 256
    .name:           _ZN7rocprim17ROCPRIM_400000_NS6detail17trampoline_kernelINS0_14default_configENS1_22reduce_config_selectorIbEEZNS1_11reduce_implILb1ES3_N6hipcub16HIPCUB_304000_NS22TransformInputIteratorIb7NonZeroIfEPflEEPllNS8_6detail34convert_binary_result_type_wrapperINS8_3SumESD_lEEEE10hipError_tPvRmT1_T2_T3_mT4_P12ihipStream_tbEUlT_E0_NS1_11comp_targetILNS1_3genE0ELNS1_11target_archE4294967295ELNS1_3gpuE0ELNS1_3repE0EEENS1_30default_config_static_selectorELNS0_4arch9wavefront6targetE1EEEvSM_
    .private_segment_fixed_size: 0
    .sgpr_count:     4
    .sgpr_spill_count: 0
    .symbol:         _ZN7rocprim17ROCPRIM_400000_NS6detail17trampoline_kernelINS0_14default_configENS1_22reduce_config_selectorIbEEZNS1_11reduce_implILb1ES3_N6hipcub16HIPCUB_304000_NS22TransformInputIteratorIb7NonZeroIfEPflEEPllNS8_6detail34convert_binary_result_type_wrapperINS8_3SumESD_lEEEE10hipError_tPvRmT1_T2_T3_mT4_P12ihipStream_tbEUlT_E0_NS1_11comp_targetILNS1_3genE0ELNS1_11target_archE4294967295ELNS1_3gpuE0ELNS1_3repE0EEENS1_30default_config_static_selectorELNS0_4arch9wavefront6targetE1EEEvSM_.kd
    .uniform_work_group_size: 1
    .uses_dynamic_stack: false
    .vgpr_count:     0
    .vgpr_spill_count: 0
    .wavefront_size: 64
  - .args:
      - .offset:         0
        .size:           72
        .value_kind:     by_value
    .group_segment_fixed_size: 0
    .kernarg_segment_align: 8
    .kernarg_segment_size: 72
    .language:       OpenCL C
    .language_version:
      - 2
      - 0
    .max_flat_workgroup_size: 256
    .name:           _ZN7rocprim17ROCPRIM_400000_NS6detail17trampoline_kernelINS0_14default_configENS1_22reduce_config_selectorIbEEZNS1_11reduce_implILb1ES3_N6hipcub16HIPCUB_304000_NS22TransformInputIteratorIb7NonZeroIfEPflEEPllNS8_6detail34convert_binary_result_type_wrapperINS8_3SumESD_lEEEE10hipError_tPvRmT1_T2_T3_mT4_P12ihipStream_tbEUlT_E0_NS1_11comp_targetILNS1_3genE5ELNS1_11target_archE942ELNS1_3gpuE9ELNS1_3repE0EEENS1_30default_config_static_selectorELNS0_4arch9wavefront6targetE1EEEvSM_
    .private_segment_fixed_size: 0
    .sgpr_count:     4
    .sgpr_spill_count: 0
    .symbol:         _ZN7rocprim17ROCPRIM_400000_NS6detail17trampoline_kernelINS0_14default_configENS1_22reduce_config_selectorIbEEZNS1_11reduce_implILb1ES3_N6hipcub16HIPCUB_304000_NS22TransformInputIteratorIb7NonZeroIfEPflEEPllNS8_6detail34convert_binary_result_type_wrapperINS8_3SumESD_lEEEE10hipError_tPvRmT1_T2_T3_mT4_P12ihipStream_tbEUlT_E0_NS1_11comp_targetILNS1_3genE5ELNS1_11target_archE942ELNS1_3gpuE9ELNS1_3repE0EEENS1_30default_config_static_selectorELNS0_4arch9wavefront6targetE1EEEvSM_.kd
    .uniform_work_group_size: 1
    .uses_dynamic_stack: false
    .vgpr_count:     0
    .vgpr_spill_count: 0
    .wavefront_size: 64
  - .args:
      - .offset:         0
        .size:           72
        .value_kind:     by_value
    .group_segment_fixed_size: 0
    .kernarg_segment_align: 8
    .kernarg_segment_size: 72
    .language:       OpenCL C
    .language_version:
      - 2
      - 0
    .max_flat_workgroup_size: 128
    .name:           _ZN7rocprim17ROCPRIM_400000_NS6detail17trampoline_kernelINS0_14default_configENS1_22reduce_config_selectorIbEEZNS1_11reduce_implILb1ES3_N6hipcub16HIPCUB_304000_NS22TransformInputIteratorIb7NonZeroIfEPflEEPllNS8_6detail34convert_binary_result_type_wrapperINS8_3SumESD_lEEEE10hipError_tPvRmT1_T2_T3_mT4_P12ihipStream_tbEUlT_E0_NS1_11comp_targetILNS1_3genE4ELNS1_11target_archE910ELNS1_3gpuE8ELNS1_3repE0EEENS1_30default_config_static_selectorELNS0_4arch9wavefront6targetE1EEEvSM_
    .private_segment_fixed_size: 0
    .sgpr_count:     4
    .sgpr_spill_count: 0
    .symbol:         _ZN7rocprim17ROCPRIM_400000_NS6detail17trampoline_kernelINS0_14default_configENS1_22reduce_config_selectorIbEEZNS1_11reduce_implILb1ES3_N6hipcub16HIPCUB_304000_NS22TransformInputIteratorIb7NonZeroIfEPflEEPllNS8_6detail34convert_binary_result_type_wrapperINS8_3SumESD_lEEEE10hipError_tPvRmT1_T2_T3_mT4_P12ihipStream_tbEUlT_E0_NS1_11comp_targetILNS1_3genE4ELNS1_11target_archE910ELNS1_3gpuE8ELNS1_3repE0EEENS1_30default_config_static_selectorELNS0_4arch9wavefront6targetE1EEEvSM_.kd
    .uniform_work_group_size: 1
    .uses_dynamic_stack: false
    .vgpr_count:     0
    .vgpr_spill_count: 0
    .wavefront_size: 64
  - .args:
      - .offset:         0
        .size:           72
        .value_kind:     by_value
    .group_segment_fixed_size: 0
    .kernarg_segment_align: 8
    .kernarg_segment_size: 72
    .language:       OpenCL C
    .language_version:
      - 2
      - 0
    .max_flat_workgroup_size: 256
    .name:           _ZN7rocprim17ROCPRIM_400000_NS6detail17trampoline_kernelINS0_14default_configENS1_22reduce_config_selectorIbEEZNS1_11reduce_implILb1ES3_N6hipcub16HIPCUB_304000_NS22TransformInputIteratorIb7NonZeroIfEPflEEPllNS8_6detail34convert_binary_result_type_wrapperINS8_3SumESD_lEEEE10hipError_tPvRmT1_T2_T3_mT4_P12ihipStream_tbEUlT_E0_NS1_11comp_targetILNS1_3genE3ELNS1_11target_archE908ELNS1_3gpuE7ELNS1_3repE0EEENS1_30default_config_static_selectorELNS0_4arch9wavefront6targetE1EEEvSM_
    .private_segment_fixed_size: 0
    .sgpr_count:     4
    .sgpr_spill_count: 0
    .symbol:         _ZN7rocprim17ROCPRIM_400000_NS6detail17trampoline_kernelINS0_14default_configENS1_22reduce_config_selectorIbEEZNS1_11reduce_implILb1ES3_N6hipcub16HIPCUB_304000_NS22TransformInputIteratorIb7NonZeroIfEPflEEPllNS8_6detail34convert_binary_result_type_wrapperINS8_3SumESD_lEEEE10hipError_tPvRmT1_T2_T3_mT4_P12ihipStream_tbEUlT_E0_NS1_11comp_targetILNS1_3genE3ELNS1_11target_archE908ELNS1_3gpuE7ELNS1_3repE0EEENS1_30default_config_static_selectorELNS0_4arch9wavefront6targetE1EEEvSM_.kd
    .uniform_work_group_size: 1
    .uses_dynamic_stack: false
    .vgpr_count:     0
    .vgpr_spill_count: 0
    .wavefront_size: 64
  - .args:
      - .offset:         0
        .size:           72
        .value_kind:     by_value
    .group_segment_fixed_size: 32
    .kernarg_segment_align: 8
    .kernarg_segment_size: 72
    .language:       OpenCL C
    .language_version:
      - 2
      - 0
    .max_flat_workgroup_size: 128
    .name:           _ZN7rocprim17ROCPRIM_400000_NS6detail17trampoline_kernelINS0_14default_configENS1_22reduce_config_selectorIbEEZNS1_11reduce_implILb1ES3_N6hipcub16HIPCUB_304000_NS22TransformInputIteratorIb7NonZeroIfEPflEEPllNS8_6detail34convert_binary_result_type_wrapperINS8_3SumESD_lEEEE10hipError_tPvRmT1_T2_T3_mT4_P12ihipStream_tbEUlT_E0_NS1_11comp_targetILNS1_3genE2ELNS1_11target_archE906ELNS1_3gpuE6ELNS1_3repE0EEENS1_30default_config_static_selectorELNS0_4arch9wavefront6targetE1EEEvSM_
    .private_segment_fixed_size: 0
    .sgpr_count:     24
    .sgpr_spill_count: 0
    .symbol:         _ZN7rocprim17ROCPRIM_400000_NS6detail17trampoline_kernelINS0_14default_configENS1_22reduce_config_selectorIbEEZNS1_11reduce_implILb1ES3_N6hipcub16HIPCUB_304000_NS22TransformInputIteratorIb7NonZeroIfEPflEEPllNS8_6detail34convert_binary_result_type_wrapperINS8_3SumESD_lEEEE10hipError_tPvRmT1_T2_T3_mT4_P12ihipStream_tbEUlT_E0_NS1_11comp_targetILNS1_3genE2ELNS1_11target_archE906ELNS1_3gpuE6ELNS1_3repE0EEENS1_30default_config_static_selectorELNS0_4arch9wavefront6targetE1EEEvSM_.kd
    .uniform_work_group_size: 1
    .uses_dynamic_stack: false
    .vgpr_count:     35
    .vgpr_spill_count: 0
    .wavefront_size: 64
  - .args:
      - .offset:         0
        .size:           72
        .value_kind:     by_value
    .group_segment_fixed_size: 0
    .kernarg_segment_align: 8
    .kernarg_segment_size: 72
    .language:       OpenCL C
    .language_version:
      - 2
      - 0
    .max_flat_workgroup_size: 256
    .name:           _ZN7rocprim17ROCPRIM_400000_NS6detail17trampoline_kernelINS0_14default_configENS1_22reduce_config_selectorIbEEZNS1_11reduce_implILb1ES3_N6hipcub16HIPCUB_304000_NS22TransformInputIteratorIb7NonZeroIfEPflEEPllNS8_6detail34convert_binary_result_type_wrapperINS8_3SumESD_lEEEE10hipError_tPvRmT1_T2_T3_mT4_P12ihipStream_tbEUlT_E0_NS1_11comp_targetILNS1_3genE10ELNS1_11target_archE1201ELNS1_3gpuE5ELNS1_3repE0EEENS1_30default_config_static_selectorELNS0_4arch9wavefront6targetE1EEEvSM_
    .private_segment_fixed_size: 0
    .sgpr_count:     4
    .sgpr_spill_count: 0
    .symbol:         _ZN7rocprim17ROCPRIM_400000_NS6detail17trampoline_kernelINS0_14default_configENS1_22reduce_config_selectorIbEEZNS1_11reduce_implILb1ES3_N6hipcub16HIPCUB_304000_NS22TransformInputIteratorIb7NonZeroIfEPflEEPllNS8_6detail34convert_binary_result_type_wrapperINS8_3SumESD_lEEEE10hipError_tPvRmT1_T2_T3_mT4_P12ihipStream_tbEUlT_E0_NS1_11comp_targetILNS1_3genE10ELNS1_11target_archE1201ELNS1_3gpuE5ELNS1_3repE0EEENS1_30default_config_static_selectorELNS0_4arch9wavefront6targetE1EEEvSM_.kd
    .uniform_work_group_size: 1
    .uses_dynamic_stack: false
    .vgpr_count:     0
    .vgpr_spill_count: 0
    .wavefront_size: 64
  - .args:
      - .offset:         0
        .size:           72
        .value_kind:     by_value
    .group_segment_fixed_size: 0
    .kernarg_segment_align: 8
    .kernarg_segment_size: 72
    .language:       OpenCL C
    .language_version:
      - 2
      - 0
    .max_flat_workgroup_size: 256
    .name:           _ZN7rocprim17ROCPRIM_400000_NS6detail17trampoline_kernelINS0_14default_configENS1_22reduce_config_selectorIbEEZNS1_11reduce_implILb1ES3_N6hipcub16HIPCUB_304000_NS22TransformInputIteratorIb7NonZeroIfEPflEEPllNS8_6detail34convert_binary_result_type_wrapperINS8_3SumESD_lEEEE10hipError_tPvRmT1_T2_T3_mT4_P12ihipStream_tbEUlT_E0_NS1_11comp_targetILNS1_3genE10ELNS1_11target_archE1200ELNS1_3gpuE4ELNS1_3repE0EEENS1_30default_config_static_selectorELNS0_4arch9wavefront6targetE1EEEvSM_
    .private_segment_fixed_size: 0
    .sgpr_count:     4
    .sgpr_spill_count: 0
    .symbol:         _ZN7rocprim17ROCPRIM_400000_NS6detail17trampoline_kernelINS0_14default_configENS1_22reduce_config_selectorIbEEZNS1_11reduce_implILb1ES3_N6hipcub16HIPCUB_304000_NS22TransformInputIteratorIb7NonZeroIfEPflEEPllNS8_6detail34convert_binary_result_type_wrapperINS8_3SumESD_lEEEE10hipError_tPvRmT1_T2_T3_mT4_P12ihipStream_tbEUlT_E0_NS1_11comp_targetILNS1_3genE10ELNS1_11target_archE1200ELNS1_3gpuE4ELNS1_3repE0EEENS1_30default_config_static_selectorELNS0_4arch9wavefront6targetE1EEEvSM_.kd
    .uniform_work_group_size: 1
    .uses_dynamic_stack: false
    .vgpr_count:     0
    .vgpr_spill_count: 0
    .wavefront_size: 64
  - .args:
      - .offset:         0
        .size:           72
        .value_kind:     by_value
    .group_segment_fixed_size: 0
    .kernarg_segment_align: 8
    .kernarg_segment_size: 72
    .language:       OpenCL C
    .language_version:
      - 2
      - 0
    .max_flat_workgroup_size: 128
    .name:           _ZN7rocprim17ROCPRIM_400000_NS6detail17trampoline_kernelINS0_14default_configENS1_22reduce_config_selectorIbEEZNS1_11reduce_implILb1ES3_N6hipcub16HIPCUB_304000_NS22TransformInputIteratorIb7NonZeroIfEPflEEPllNS8_6detail34convert_binary_result_type_wrapperINS8_3SumESD_lEEEE10hipError_tPvRmT1_T2_T3_mT4_P12ihipStream_tbEUlT_E0_NS1_11comp_targetILNS1_3genE9ELNS1_11target_archE1100ELNS1_3gpuE3ELNS1_3repE0EEENS1_30default_config_static_selectorELNS0_4arch9wavefront6targetE1EEEvSM_
    .private_segment_fixed_size: 0
    .sgpr_count:     4
    .sgpr_spill_count: 0
    .symbol:         _ZN7rocprim17ROCPRIM_400000_NS6detail17trampoline_kernelINS0_14default_configENS1_22reduce_config_selectorIbEEZNS1_11reduce_implILb1ES3_N6hipcub16HIPCUB_304000_NS22TransformInputIteratorIb7NonZeroIfEPflEEPllNS8_6detail34convert_binary_result_type_wrapperINS8_3SumESD_lEEEE10hipError_tPvRmT1_T2_T3_mT4_P12ihipStream_tbEUlT_E0_NS1_11comp_targetILNS1_3genE9ELNS1_11target_archE1100ELNS1_3gpuE3ELNS1_3repE0EEENS1_30default_config_static_selectorELNS0_4arch9wavefront6targetE1EEEvSM_.kd
    .uniform_work_group_size: 1
    .uses_dynamic_stack: false
    .vgpr_count:     0
    .vgpr_spill_count: 0
    .wavefront_size: 64
  - .args:
      - .offset:         0
        .size:           72
        .value_kind:     by_value
    .group_segment_fixed_size: 0
    .kernarg_segment_align: 8
    .kernarg_segment_size: 72
    .language:       OpenCL C
    .language_version:
      - 2
      - 0
    .max_flat_workgroup_size: 256
    .name:           _ZN7rocprim17ROCPRIM_400000_NS6detail17trampoline_kernelINS0_14default_configENS1_22reduce_config_selectorIbEEZNS1_11reduce_implILb1ES3_N6hipcub16HIPCUB_304000_NS22TransformInputIteratorIb7NonZeroIfEPflEEPllNS8_6detail34convert_binary_result_type_wrapperINS8_3SumESD_lEEEE10hipError_tPvRmT1_T2_T3_mT4_P12ihipStream_tbEUlT_E0_NS1_11comp_targetILNS1_3genE8ELNS1_11target_archE1030ELNS1_3gpuE2ELNS1_3repE0EEENS1_30default_config_static_selectorELNS0_4arch9wavefront6targetE1EEEvSM_
    .private_segment_fixed_size: 0
    .sgpr_count:     4
    .sgpr_spill_count: 0
    .symbol:         _ZN7rocprim17ROCPRIM_400000_NS6detail17trampoline_kernelINS0_14default_configENS1_22reduce_config_selectorIbEEZNS1_11reduce_implILb1ES3_N6hipcub16HIPCUB_304000_NS22TransformInputIteratorIb7NonZeroIfEPflEEPllNS8_6detail34convert_binary_result_type_wrapperINS8_3SumESD_lEEEE10hipError_tPvRmT1_T2_T3_mT4_P12ihipStream_tbEUlT_E0_NS1_11comp_targetILNS1_3genE8ELNS1_11target_archE1030ELNS1_3gpuE2ELNS1_3repE0EEENS1_30default_config_static_selectorELNS0_4arch9wavefront6targetE1EEEvSM_.kd
    .uniform_work_group_size: 1
    .uses_dynamic_stack: false
    .vgpr_count:     0
    .vgpr_spill_count: 0
    .wavefront_size: 64
  - .args:
      - .offset:         0
        .size:           56
        .value_kind:     by_value
    .group_segment_fixed_size: 0
    .kernarg_segment_align: 8
    .kernarg_segment_size: 56
    .language:       OpenCL C
    .language_version:
      - 2
      - 0
    .max_flat_workgroup_size: 256
    .name:           _ZN7rocprim17ROCPRIM_400000_NS6detail17trampoline_kernelINS0_14default_configENS1_22reduce_config_selectorIbEEZNS1_11reduce_implILb1ES3_N6hipcub16HIPCUB_304000_NS22TransformInputIteratorIb7NonZeroIfEPflEEPllNS8_6detail34convert_binary_result_type_wrapperINS8_3SumESD_lEEEE10hipError_tPvRmT1_T2_T3_mT4_P12ihipStream_tbEUlT_E1_NS1_11comp_targetILNS1_3genE0ELNS1_11target_archE4294967295ELNS1_3gpuE0ELNS1_3repE0EEENS1_30default_config_static_selectorELNS0_4arch9wavefront6targetE1EEEvSM_
    .private_segment_fixed_size: 0
    .sgpr_count:     4
    .sgpr_spill_count: 0
    .symbol:         _ZN7rocprim17ROCPRIM_400000_NS6detail17trampoline_kernelINS0_14default_configENS1_22reduce_config_selectorIbEEZNS1_11reduce_implILb1ES3_N6hipcub16HIPCUB_304000_NS22TransformInputIteratorIb7NonZeroIfEPflEEPllNS8_6detail34convert_binary_result_type_wrapperINS8_3SumESD_lEEEE10hipError_tPvRmT1_T2_T3_mT4_P12ihipStream_tbEUlT_E1_NS1_11comp_targetILNS1_3genE0ELNS1_11target_archE4294967295ELNS1_3gpuE0ELNS1_3repE0EEENS1_30default_config_static_selectorELNS0_4arch9wavefront6targetE1EEEvSM_.kd
    .uniform_work_group_size: 1
    .uses_dynamic_stack: false
    .vgpr_count:     0
    .vgpr_spill_count: 0
    .wavefront_size: 64
  - .args:
      - .offset:         0
        .size:           56
        .value_kind:     by_value
    .group_segment_fixed_size: 0
    .kernarg_segment_align: 8
    .kernarg_segment_size: 56
    .language:       OpenCL C
    .language_version:
      - 2
      - 0
    .max_flat_workgroup_size: 256
    .name:           _ZN7rocprim17ROCPRIM_400000_NS6detail17trampoline_kernelINS0_14default_configENS1_22reduce_config_selectorIbEEZNS1_11reduce_implILb1ES3_N6hipcub16HIPCUB_304000_NS22TransformInputIteratorIb7NonZeroIfEPflEEPllNS8_6detail34convert_binary_result_type_wrapperINS8_3SumESD_lEEEE10hipError_tPvRmT1_T2_T3_mT4_P12ihipStream_tbEUlT_E1_NS1_11comp_targetILNS1_3genE5ELNS1_11target_archE942ELNS1_3gpuE9ELNS1_3repE0EEENS1_30default_config_static_selectorELNS0_4arch9wavefront6targetE1EEEvSM_
    .private_segment_fixed_size: 0
    .sgpr_count:     4
    .sgpr_spill_count: 0
    .symbol:         _ZN7rocprim17ROCPRIM_400000_NS6detail17trampoline_kernelINS0_14default_configENS1_22reduce_config_selectorIbEEZNS1_11reduce_implILb1ES3_N6hipcub16HIPCUB_304000_NS22TransformInputIteratorIb7NonZeroIfEPflEEPllNS8_6detail34convert_binary_result_type_wrapperINS8_3SumESD_lEEEE10hipError_tPvRmT1_T2_T3_mT4_P12ihipStream_tbEUlT_E1_NS1_11comp_targetILNS1_3genE5ELNS1_11target_archE942ELNS1_3gpuE9ELNS1_3repE0EEENS1_30default_config_static_selectorELNS0_4arch9wavefront6targetE1EEEvSM_.kd
    .uniform_work_group_size: 1
    .uses_dynamic_stack: false
    .vgpr_count:     0
    .vgpr_spill_count: 0
    .wavefront_size: 64
  - .args:
      - .offset:         0
        .size:           56
        .value_kind:     by_value
    .group_segment_fixed_size: 0
    .kernarg_segment_align: 8
    .kernarg_segment_size: 56
    .language:       OpenCL C
    .language_version:
      - 2
      - 0
    .max_flat_workgroup_size: 128
    .name:           _ZN7rocprim17ROCPRIM_400000_NS6detail17trampoline_kernelINS0_14default_configENS1_22reduce_config_selectorIbEEZNS1_11reduce_implILb1ES3_N6hipcub16HIPCUB_304000_NS22TransformInputIteratorIb7NonZeroIfEPflEEPllNS8_6detail34convert_binary_result_type_wrapperINS8_3SumESD_lEEEE10hipError_tPvRmT1_T2_T3_mT4_P12ihipStream_tbEUlT_E1_NS1_11comp_targetILNS1_3genE4ELNS1_11target_archE910ELNS1_3gpuE8ELNS1_3repE0EEENS1_30default_config_static_selectorELNS0_4arch9wavefront6targetE1EEEvSM_
    .private_segment_fixed_size: 0
    .sgpr_count:     4
    .sgpr_spill_count: 0
    .symbol:         _ZN7rocprim17ROCPRIM_400000_NS6detail17trampoline_kernelINS0_14default_configENS1_22reduce_config_selectorIbEEZNS1_11reduce_implILb1ES3_N6hipcub16HIPCUB_304000_NS22TransformInputIteratorIb7NonZeroIfEPflEEPllNS8_6detail34convert_binary_result_type_wrapperINS8_3SumESD_lEEEE10hipError_tPvRmT1_T2_T3_mT4_P12ihipStream_tbEUlT_E1_NS1_11comp_targetILNS1_3genE4ELNS1_11target_archE910ELNS1_3gpuE8ELNS1_3repE0EEENS1_30default_config_static_selectorELNS0_4arch9wavefront6targetE1EEEvSM_.kd
    .uniform_work_group_size: 1
    .uses_dynamic_stack: false
    .vgpr_count:     0
    .vgpr_spill_count: 0
    .wavefront_size: 64
  - .args:
      - .offset:         0
        .size:           56
        .value_kind:     by_value
    .group_segment_fixed_size: 0
    .kernarg_segment_align: 8
    .kernarg_segment_size: 56
    .language:       OpenCL C
    .language_version:
      - 2
      - 0
    .max_flat_workgroup_size: 256
    .name:           _ZN7rocprim17ROCPRIM_400000_NS6detail17trampoline_kernelINS0_14default_configENS1_22reduce_config_selectorIbEEZNS1_11reduce_implILb1ES3_N6hipcub16HIPCUB_304000_NS22TransformInputIteratorIb7NonZeroIfEPflEEPllNS8_6detail34convert_binary_result_type_wrapperINS8_3SumESD_lEEEE10hipError_tPvRmT1_T2_T3_mT4_P12ihipStream_tbEUlT_E1_NS1_11comp_targetILNS1_3genE3ELNS1_11target_archE908ELNS1_3gpuE7ELNS1_3repE0EEENS1_30default_config_static_selectorELNS0_4arch9wavefront6targetE1EEEvSM_
    .private_segment_fixed_size: 0
    .sgpr_count:     4
    .sgpr_spill_count: 0
    .symbol:         _ZN7rocprim17ROCPRIM_400000_NS6detail17trampoline_kernelINS0_14default_configENS1_22reduce_config_selectorIbEEZNS1_11reduce_implILb1ES3_N6hipcub16HIPCUB_304000_NS22TransformInputIteratorIb7NonZeroIfEPflEEPllNS8_6detail34convert_binary_result_type_wrapperINS8_3SumESD_lEEEE10hipError_tPvRmT1_T2_T3_mT4_P12ihipStream_tbEUlT_E1_NS1_11comp_targetILNS1_3genE3ELNS1_11target_archE908ELNS1_3gpuE7ELNS1_3repE0EEENS1_30default_config_static_selectorELNS0_4arch9wavefront6targetE1EEEvSM_.kd
    .uniform_work_group_size: 1
    .uses_dynamic_stack: false
    .vgpr_count:     0
    .vgpr_spill_count: 0
    .wavefront_size: 64
  - .args:
      - .offset:         0
        .size:           56
        .value_kind:     by_value
    .group_segment_fixed_size: 144
    .kernarg_segment_align: 8
    .kernarg_segment_size: 56
    .language:       OpenCL C
    .language_version:
      - 2
      - 0
    .max_flat_workgroup_size: 128
    .name:           _ZN7rocprim17ROCPRIM_400000_NS6detail17trampoline_kernelINS0_14default_configENS1_22reduce_config_selectorIbEEZNS1_11reduce_implILb1ES3_N6hipcub16HIPCUB_304000_NS22TransformInputIteratorIb7NonZeroIfEPflEEPllNS8_6detail34convert_binary_result_type_wrapperINS8_3SumESD_lEEEE10hipError_tPvRmT1_T2_T3_mT4_P12ihipStream_tbEUlT_E1_NS1_11comp_targetILNS1_3genE2ELNS1_11target_archE906ELNS1_3gpuE6ELNS1_3repE0EEENS1_30default_config_static_selectorELNS0_4arch9wavefront6targetE1EEEvSM_
    .private_segment_fixed_size: 20
    .sgpr_count:     44
    .sgpr_spill_count: 0
    .symbol:         _ZN7rocprim17ROCPRIM_400000_NS6detail17trampoline_kernelINS0_14default_configENS1_22reduce_config_selectorIbEEZNS1_11reduce_implILb1ES3_N6hipcub16HIPCUB_304000_NS22TransformInputIteratorIb7NonZeroIfEPflEEPllNS8_6detail34convert_binary_result_type_wrapperINS8_3SumESD_lEEEE10hipError_tPvRmT1_T2_T3_mT4_P12ihipStream_tbEUlT_E1_NS1_11comp_targetILNS1_3genE2ELNS1_11target_archE906ELNS1_3gpuE6ELNS1_3repE0EEENS1_30default_config_static_selectorELNS0_4arch9wavefront6targetE1EEEvSM_.kd
    .uniform_work_group_size: 1
    .uses_dynamic_stack: false
    .vgpr_count:     256
    .vgpr_spill_count: 6
    .wavefront_size: 64
  - .args:
      - .offset:         0
        .size:           56
        .value_kind:     by_value
    .group_segment_fixed_size: 0
    .kernarg_segment_align: 8
    .kernarg_segment_size: 56
    .language:       OpenCL C
    .language_version:
      - 2
      - 0
    .max_flat_workgroup_size: 256
    .name:           _ZN7rocprim17ROCPRIM_400000_NS6detail17trampoline_kernelINS0_14default_configENS1_22reduce_config_selectorIbEEZNS1_11reduce_implILb1ES3_N6hipcub16HIPCUB_304000_NS22TransformInputIteratorIb7NonZeroIfEPflEEPllNS8_6detail34convert_binary_result_type_wrapperINS8_3SumESD_lEEEE10hipError_tPvRmT1_T2_T3_mT4_P12ihipStream_tbEUlT_E1_NS1_11comp_targetILNS1_3genE10ELNS1_11target_archE1201ELNS1_3gpuE5ELNS1_3repE0EEENS1_30default_config_static_selectorELNS0_4arch9wavefront6targetE1EEEvSM_
    .private_segment_fixed_size: 0
    .sgpr_count:     4
    .sgpr_spill_count: 0
    .symbol:         _ZN7rocprim17ROCPRIM_400000_NS6detail17trampoline_kernelINS0_14default_configENS1_22reduce_config_selectorIbEEZNS1_11reduce_implILb1ES3_N6hipcub16HIPCUB_304000_NS22TransformInputIteratorIb7NonZeroIfEPflEEPllNS8_6detail34convert_binary_result_type_wrapperINS8_3SumESD_lEEEE10hipError_tPvRmT1_T2_T3_mT4_P12ihipStream_tbEUlT_E1_NS1_11comp_targetILNS1_3genE10ELNS1_11target_archE1201ELNS1_3gpuE5ELNS1_3repE0EEENS1_30default_config_static_selectorELNS0_4arch9wavefront6targetE1EEEvSM_.kd
    .uniform_work_group_size: 1
    .uses_dynamic_stack: false
    .vgpr_count:     0
    .vgpr_spill_count: 0
    .wavefront_size: 64
  - .args:
      - .offset:         0
        .size:           56
        .value_kind:     by_value
    .group_segment_fixed_size: 0
    .kernarg_segment_align: 8
    .kernarg_segment_size: 56
    .language:       OpenCL C
    .language_version:
      - 2
      - 0
    .max_flat_workgroup_size: 256
    .name:           _ZN7rocprim17ROCPRIM_400000_NS6detail17trampoline_kernelINS0_14default_configENS1_22reduce_config_selectorIbEEZNS1_11reduce_implILb1ES3_N6hipcub16HIPCUB_304000_NS22TransformInputIteratorIb7NonZeroIfEPflEEPllNS8_6detail34convert_binary_result_type_wrapperINS8_3SumESD_lEEEE10hipError_tPvRmT1_T2_T3_mT4_P12ihipStream_tbEUlT_E1_NS1_11comp_targetILNS1_3genE10ELNS1_11target_archE1200ELNS1_3gpuE4ELNS1_3repE0EEENS1_30default_config_static_selectorELNS0_4arch9wavefront6targetE1EEEvSM_
    .private_segment_fixed_size: 0
    .sgpr_count:     4
    .sgpr_spill_count: 0
    .symbol:         _ZN7rocprim17ROCPRIM_400000_NS6detail17trampoline_kernelINS0_14default_configENS1_22reduce_config_selectorIbEEZNS1_11reduce_implILb1ES3_N6hipcub16HIPCUB_304000_NS22TransformInputIteratorIb7NonZeroIfEPflEEPllNS8_6detail34convert_binary_result_type_wrapperINS8_3SumESD_lEEEE10hipError_tPvRmT1_T2_T3_mT4_P12ihipStream_tbEUlT_E1_NS1_11comp_targetILNS1_3genE10ELNS1_11target_archE1200ELNS1_3gpuE4ELNS1_3repE0EEENS1_30default_config_static_selectorELNS0_4arch9wavefront6targetE1EEEvSM_.kd
    .uniform_work_group_size: 1
    .uses_dynamic_stack: false
    .vgpr_count:     0
    .vgpr_spill_count: 0
    .wavefront_size: 64
  - .args:
      - .offset:         0
        .size:           56
        .value_kind:     by_value
    .group_segment_fixed_size: 0
    .kernarg_segment_align: 8
    .kernarg_segment_size: 56
    .language:       OpenCL C
    .language_version:
      - 2
      - 0
    .max_flat_workgroup_size: 128
    .name:           _ZN7rocprim17ROCPRIM_400000_NS6detail17trampoline_kernelINS0_14default_configENS1_22reduce_config_selectorIbEEZNS1_11reduce_implILb1ES3_N6hipcub16HIPCUB_304000_NS22TransformInputIteratorIb7NonZeroIfEPflEEPllNS8_6detail34convert_binary_result_type_wrapperINS8_3SumESD_lEEEE10hipError_tPvRmT1_T2_T3_mT4_P12ihipStream_tbEUlT_E1_NS1_11comp_targetILNS1_3genE9ELNS1_11target_archE1100ELNS1_3gpuE3ELNS1_3repE0EEENS1_30default_config_static_selectorELNS0_4arch9wavefront6targetE1EEEvSM_
    .private_segment_fixed_size: 0
    .sgpr_count:     4
    .sgpr_spill_count: 0
    .symbol:         _ZN7rocprim17ROCPRIM_400000_NS6detail17trampoline_kernelINS0_14default_configENS1_22reduce_config_selectorIbEEZNS1_11reduce_implILb1ES3_N6hipcub16HIPCUB_304000_NS22TransformInputIteratorIb7NonZeroIfEPflEEPllNS8_6detail34convert_binary_result_type_wrapperINS8_3SumESD_lEEEE10hipError_tPvRmT1_T2_T3_mT4_P12ihipStream_tbEUlT_E1_NS1_11comp_targetILNS1_3genE9ELNS1_11target_archE1100ELNS1_3gpuE3ELNS1_3repE0EEENS1_30default_config_static_selectorELNS0_4arch9wavefront6targetE1EEEvSM_.kd
    .uniform_work_group_size: 1
    .uses_dynamic_stack: false
    .vgpr_count:     0
    .vgpr_spill_count: 0
    .wavefront_size: 64
  - .args:
      - .offset:         0
        .size:           56
        .value_kind:     by_value
    .group_segment_fixed_size: 0
    .kernarg_segment_align: 8
    .kernarg_segment_size: 56
    .language:       OpenCL C
    .language_version:
      - 2
      - 0
    .max_flat_workgroup_size: 256
    .name:           _ZN7rocprim17ROCPRIM_400000_NS6detail17trampoline_kernelINS0_14default_configENS1_22reduce_config_selectorIbEEZNS1_11reduce_implILb1ES3_N6hipcub16HIPCUB_304000_NS22TransformInputIteratorIb7NonZeroIfEPflEEPllNS8_6detail34convert_binary_result_type_wrapperINS8_3SumESD_lEEEE10hipError_tPvRmT1_T2_T3_mT4_P12ihipStream_tbEUlT_E1_NS1_11comp_targetILNS1_3genE8ELNS1_11target_archE1030ELNS1_3gpuE2ELNS1_3repE0EEENS1_30default_config_static_selectorELNS0_4arch9wavefront6targetE1EEEvSM_
    .private_segment_fixed_size: 0
    .sgpr_count:     4
    .sgpr_spill_count: 0
    .symbol:         _ZN7rocprim17ROCPRIM_400000_NS6detail17trampoline_kernelINS0_14default_configENS1_22reduce_config_selectorIbEEZNS1_11reduce_implILb1ES3_N6hipcub16HIPCUB_304000_NS22TransformInputIteratorIb7NonZeroIfEPflEEPllNS8_6detail34convert_binary_result_type_wrapperINS8_3SumESD_lEEEE10hipError_tPvRmT1_T2_T3_mT4_P12ihipStream_tbEUlT_E1_NS1_11comp_targetILNS1_3genE8ELNS1_11target_archE1030ELNS1_3gpuE2ELNS1_3repE0EEENS1_30default_config_static_selectorELNS0_4arch9wavefront6targetE1EEEvSM_.kd
    .uniform_work_group_size: 1
    .uses_dynamic_stack: false
    .vgpr_count:     0
    .vgpr_spill_count: 0
    .wavefront_size: 64
  - .args:
      - .offset:         0
        .size:           120
        .value_kind:     by_value
    .group_segment_fixed_size: 0
    .kernarg_segment_align: 8
    .kernarg_segment_size: 120
    .language:       OpenCL C
    .language_version:
      - 2
      - 0
    .max_flat_workgroup_size: 128
    .name:           _ZN7rocprim17ROCPRIM_400000_NS6detail17trampoline_kernelINS0_14default_configENS1_25partition_config_selectorILNS1_17partition_subalgoE5ElNS0_10empty_typeEbEEZZNS1_14partition_implILS5_5ELb0ES3_mN6hipcub16HIPCUB_304000_NS21CountingInputIteratorIllEEPS6_NSA_22TransformInputIteratorIb7NonZeroIfEPflEENS0_5tupleIJPlS6_EEENSJ_IJSD_SD_EEES6_SK_JS6_EEE10hipError_tPvRmT3_T4_T5_T6_T7_T9_mT8_P12ihipStream_tbDpT10_ENKUlT_T0_E_clISt17integral_constantIbLb0EES16_EEDaS11_S12_EUlS11_E_NS1_11comp_targetILNS1_3genE0ELNS1_11target_archE4294967295ELNS1_3gpuE0ELNS1_3repE0EEENS1_30default_config_static_selectorELNS0_4arch9wavefront6targetE1EEEvT1_
    .private_segment_fixed_size: 0
    .sgpr_count:     4
    .sgpr_spill_count: 0
    .symbol:         _ZN7rocprim17ROCPRIM_400000_NS6detail17trampoline_kernelINS0_14default_configENS1_25partition_config_selectorILNS1_17partition_subalgoE5ElNS0_10empty_typeEbEEZZNS1_14partition_implILS5_5ELb0ES3_mN6hipcub16HIPCUB_304000_NS21CountingInputIteratorIllEEPS6_NSA_22TransformInputIteratorIb7NonZeroIfEPflEENS0_5tupleIJPlS6_EEENSJ_IJSD_SD_EEES6_SK_JS6_EEE10hipError_tPvRmT3_T4_T5_T6_T7_T9_mT8_P12ihipStream_tbDpT10_ENKUlT_T0_E_clISt17integral_constantIbLb0EES16_EEDaS11_S12_EUlS11_E_NS1_11comp_targetILNS1_3genE0ELNS1_11target_archE4294967295ELNS1_3gpuE0ELNS1_3repE0EEENS1_30default_config_static_selectorELNS0_4arch9wavefront6targetE1EEEvT1_.kd
    .uniform_work_group_size: 1
    .uses_dynamic_stack: false
    .vgpr_count:     0
    .vgpr_spill_count: 0
    .wavefront_size: 64
  - .args:
      - .offset:         0
        .size:           120
        .value_kind:     by_value
    .group_segment_fixed_size: 0
    .kernarg_segment_align: 8
    .kernarg_segment_size: 120
    .language:       OpenCL C
    .language_version:
      - 2
      - 0
    .max_flat_workgroup_size: 512
    .name:           _ZN7rocprim17ROCPRIM_400000_NS6detail17trampoline_kernelINS0_14default_configENS1_25partition_config_selectorILNS1_17partition_subalgoE5ElNS0_10empty_typeEbEEZZNS1_14partition_implILS5_5ELb0ES3_mN6hipcub16HIPCUB_304000_NS21CountingInputIteratorIllEEPS6_NSA_22TransformInputIteratorIb7NonZeroIfEPflEENS0_5tupleIJPlS6_EEENSJ_IJSD_SD_EEES6_SK_JS6_EEE10hipError_tPvRmT3_T4_T5_T6_T7_T9_mT8_P12ihipStream_tbDpT10_ENKUlT_T0_E_clISt17integral_constantIbLb0EES16_EEDaS11_S12_EUlS11_E_NS1_11comp_targetILNS1_3genE5ELNS1_11target_archE942ELNS1_3gpuE9ELNS1_3repE0EEENS1_30default_config_static_selectorELNS0_4arch9wavefront6targetE1EEEvT1_
    .private_segment_fixed_size: 0
    .sgpr_count:     4
    .sgpr_spill_count: 0
    .symbol:         _ZN7rocprim17ROCPRIM_400000_NS6detail17trampoline_kernelINS0_14default_configENS1_25partition_config_selectorILNS1_17partition_subalgoE5ElNS0_10empty_typeEbEEZZNS1_14partition_implILS5_5ELb0ES3_mN6hipcub16HIPCUB_304000_NS21CountingInputIteratorIllEEPS6_NSA_22TransformInputIteratorIb7NonZeroIfEPflEENS0_5tupleIJPlS6_EEENSJ_IJSD_SD_EEES6_SK_JS6_EEE10hipError_tPvRmT3_T4_T5_T6_T7_T9_mT8_P12ihipStream_tbDpT10_ENKUlT_T0_E_clISt17integral_constantIbLb0EES16_EEDaS11_S12_EUlS11_E_NS1_11comp_targetILNS1_3genE5ELNS1_11target_archE942ELNS1_3gpuE9ELNS1_3repE0EEENS1_30default_config_static_selectorELNS0_4arch9wavefront6targetE1EEEvT1_.kd
    .uniform_work_group_size: 1
    .uses_dynamic_stack: false
    .vgpr_count:     0
    .vgpr_spill_count: 0
    .wavefront_size: 64
  - .args:
      - .offset:         0
        .size:           120
        .value_kind:     by_value
    .group_segment_fixed_size: 0
    .kernarg_segment_align: 8
    .kernarg_segment_size: 120
    .language:       OpenCL C
    .language_version:
      - 2
      - 0
    .max_flat_workgroup_size: 192
    .name:           _ZN7rocprim17ROCPRIM_400000_NS6detail17trampoline_kernelINS0_14default_configENS1_25partition_config_selectorILNS1_17partition_subalgoE5ElNS0_10empty_typeEbEEZZNS1_14partition_implILS5_5ELb0ES3_mN6hipcub16HIPCUB_304000_NS21CountingInputIteratorIllEEPS6_NSA_22TransformInputIteratorIb7NonZeroIfEPflEENS0_5tupleIJPlS6_EEENSJ_IJSD_SD_EEES6_SK_JS6_EEE10hipError_tPvRmT3_T4_T5_T6_T7_T9_mT8_P12ihipStream_tbDpT10_ENKUlT_T0_E_clISt17integral_constantIbLb0EES16_EEDaS11_S12_EUlS11_E_NS1_11comp_targetILNS1_3genE4ELNS1_11target_archE910ELNS1_3gpuE8ELNS1_3repE0EEENS1_30default_config_static_selectorELNS0_4arch9wavefront6targetE1EEEvT1_
    .private_segment_fixed_size: 0
    .sgpr_count:     4
    .sgpr_spill_count: 0
    .symbol:         _ZN7rocprim17ROCPRIM_400000_NS6detail17trampoline_kernelINS0_14default_configENS1_25partition_config_selectorILNS1_17partition_subalgoE5ElNS0_10empty_typeEbEEZZNS1_14partition_implILS5_5ELb0ES3_mN6hipcub16HIPCUB_304000_NS21CountingInputIteratorIllEEPS6_NSA_22TransformInputIteratorIb7NonZeroIfEPflEENS0_5tupleIJPlS6_EEENSJ_IJSD_SD_EEES6_SK_JS6_EEE10hipError_tPvRmT3_T4_T5_T6_T7_T9_mT8_P12ihipStream_tbDpT10_ENKUlT_T0_E_clISt17integral_constantIbLb0EES16_EEDaS11_S12_EUlS11_E_NS1_11comp_targetILNS1_3genE4ELNS1_11target_archE910ELNS1_3gpuE8ELNS1_3repE0EEENS1_30default_config_static_selectorELNS0_4arch9wavefront6targetE1EEEvT1_.kd
    .uniform_work_group_size: 1
    .uses_dynamic_stack: false
    .vgpr_count:     0
    .vgpr_spill_count: 0
    .wavefront_size: 64
  - .args:
      - .offset:         0
        .size:           120
        .value_kind:     by_value
    .group_segment_fixed_size: 0
    .kernarg_segment_align: 8
    .kernarg_segment_size: 120
    .language:       OpenCL C
    .language_version:
      - 2
      - 0
    .max_flat_workgroup_size: 128
    .name:           _ZN7rocprim17ROCPRIM_400000_NS6detail17trampoline_kernelINS0_14default_configENS1_25partition_config_selectorILNS1_17partition_subalgoE5ElNS0_10empty_typeEbEEZZNS1_14partition_implILS5_5ELb0ES3_mN6hipcub16HIPCUB_304000_NS21CountingInputIteratorIllEEPS6_NSA_22TransformInputIteratorIb7NonZeroIfEPflEENS0_5tupleIJPlS6_EEENSJ_IJSD_SD_EEES6_SK_JS6_EEE10hipError_tPvRmT3_T4_T5_T6_T7_T9_mT8_P12ihipStream_tbDpT10_ENKUlT_T0_E_clISt17integral_constantIbLb0EES16_EEDaS11_S12_EUlS11_E_NS1_11comp_targetILNS1_3genE3ELNS1_11target_archE908ELNS1_3gpuE7ELNS1_3repE0EEENS1_30default_config_static_selectorELNS0_4arch9wavefront6targetE1EEEvT1_
    .private_segment_fixed_size: 0
    .sgpr_count:     4
    .sgpr_spill_count: 0
    .symbol:         _ZN7rocprim17ROCPRIM_400000_NS6detail17trampoline_kernelINS0_14default_configENS1_25partition_config_selectorILNS1_17partition_subalgoE5ElNS0_10empty_typeEbEEZZNS1_14partition_implILS5_5ELb0ES3_mN6hipcub16HIPCUB_304000_NS21CountingInputIteratorIllEEPS6_NSA_22TransformInputIteratorIb7NonZeroIfEPflEENS0_5tupleIJPlS6_EEENSJ_IJSD_SD_EEES6_SK_JS6_EEE10hipError_tPvRmT3_T4_T5_T6_T7_T9_mT8_P12ihipStream_tbDpT10_ENKUlT_T0_E_clISt17integral_constantIbLb0EES16_EEDaS11_S12_EUlS11_E_NS1_11comp_targetILNS1_3genE3ELNS1_11target_archE908ELNS1_3gpuE7ELNS1_3repE0EEENS1_30default_config_static_selectorELNS0_4arch9wavefront6targetE1EEEvT1_.kd
    .uniform_work_group_size: 1
    .uses_dynamic_stack: false
    .vgpr_count:     0
    .vgpr_spill_count: 0
    .wavefront_size: 64
  - .args:
      - .offset:         0
        .size:           120
        .value_kind:     by_value
    .group_segment_fixed_size: 14352
    .kernarg_segment_align: 8
    .kernarg_segment_size: 120
    .language:       OpenCL C
    .language_version:
      - 2
      - 0
    .max_flat_workgroup_size: 256
    .name:           _ZN7rocprim17ROCPRIM_400000_NS6detail17trampoline_kernelINS0_14default_configENS1_25partition_config_selectorILNS1_17partition_subalgoE5ElNS0_10empty_typeEbEEZZNS1_14partition_implILS5_5ELb0ES3_mN6hipcub16HIPCUB_304000_NS21CountingInputIteratorIllEEPS6_NSA_22TransformInputIteratorIb7NonZeroIfEPflEENS0_5tupleIJPlS6_EEENSJ_IJSD_SD_EEES6_SK_JS6_EEE10hipError_tPvRmT3_T4_T5_T6_T7_T9_mT8_P12ihipStream_tbDpT10_ENKUlT_T0_E_clISt17integral_constantIbLb0EES16_EEDaS11_S12_EUlS11_E_NS1_11comp_targetILNS1_3genE2ELNS1_11target_archE906ELNS1_3gpuE6ELNS1_3repE0EEENS1_30default_config_static_selectorELNS0_4arch9wavefront6targetE1EEEvT1_
    .private_segment_fixed_size: 0
    .sgpr_count:     30
    .sgpr_spill_count: 0
    .symbol:         _ZN7rocprim17ROCPRIM_400000_NS6detail17trampoline_kernelINS0_14default_configENS1_25partition_config_selectorILNS1_17partition_subalgoE5ElNS0_10empty_typeEbEEZZNS1_14partition_implILS5_5ELb0ES3_mN6hipcub16HIPCUB_304000_NS21CountingInputIteratorIllEEPS6_NSA_22TransformInputIteratorIb7NonZeroIfEPflEENS0_5tupleIJPlS6_EEENSJ_IJSD_SD_EEES6_SK_JS6_EEE10hipError_tPvRmT3_T4_T5_T6_T7_T9_mT8_P12ihipStream_tbDpT10_ENKUlT_T0_E_clISt17integral_constantIbLb0EES16_EEDaS11_S12_EUlS11_E_NS1_11comp_targetILNS1_3genE2ELNS1_11target_archE906ELNS1_3gpuE6ELNS1_3repE0EEENS1_30default_config_static_selectorELNS0_4arch9wavefront6targetE1EEEvT1_.kd
    .uniform_work_group_size: 1
    .uses_dynamic_stack: false
    .vgpr_count:     59
    .vgpr_spill_count: 0
    .wavefront_size: 64
  - .args:
      - .offset:         0
        .size:           120
        .value_kind:     by_value
    .group_segment_fixed_size: 0
    .kernarg_segment_align: 8
    .kernarg_segment_size: 120
    .language:       OpenCL C
    .language_version:
      - 2
      - 0
    .max_flat_workgroup_size: 256
    .name:           _ZN7rocprim17ROCPRIM_400000_NS6detail17trampoline_kernelINS0_14default_configENS1_25partition_config_selectorILNS1_17partition_subalgoE5ElNS0_10empty_typeEbEEZZNS1_14partition_implILS5_5ELb0ES3_mN6hipcub16HIPCUB_304000_NS21CountingInputIteratorIllEEPS6_NSA_22TransformInputIteratorIb7NonZeroIfEPflEENS0_5tupleIJPlS6_EEENSJ_IJSD_SD_EEES6_SK_JS6_EEE10hipError_tPvRmT3_T4_T5_T6_T7_T9_mT8_P12ihipStream_tbDpT10_ENKUlT_T0_E_clISt17integral_constantIbLb0EES16_EEDaS11_S12_EUlS11_E_NS1_11comp_targetILNS1_3genE10ELNS1_11target_archE1200ELNS1_3gpuE4ELNS1_3repE0EEENS1_30default_config_static_selectorELNS0_4arch9wavefront6targetE1EEEvT1_
    .private_segment_fixed_size: 0
    .sgpr_count:     4
    .sgpr_spill_count: 0
    .symbol:         _ZN7rocprim17ROCPRIM_400000_NS6detail17trampoline_kernelINS0_14default_configENS1_25partition_config_selectorILNS1_17partition_subalgoE5ElNS0_10empty_typeEbEEZZNS1_14partition_implILS5_5ELb0ES3_mN6hipcub16HIPCUB_304000_NS21CountingInputIteratorIllEEPS6_NSA_22TransformInputIteratorIb7NonZeroIfEPflEENS0_5tupleIJPlS6_EEENSJ_IJSD_SD_EEES6_SK_JS6_EEE10hipError_tPvRmT3_T4_T5_T6_T7_T9_mT8_P12ihipStream_tbDpT10_ENKUlT_T0_E_clISt17integral_constantIbLb0EES16_EEDaS11_S12_EUlS11_E_NS1_11comp_targetILNS1_3genE10ELNS1_11target_archE1200ELNS1_3gpuE4ELNS1_3repE0EEENS1_30default_config_static_selectorELNS0_4arch9wavefront6targetE1EEEvT1_.kd
    .uniform_work_group_size: 1
    .uses_dynamic_stack: false
    .vgpr_count:     0
    .vgpr_spill_count: 0
    .wavefront_size: 64
  - .args:
      - .offset:         0
        .size:           120
        .value_kind:     by_value
    .group_segment_fixed_size: 0
    .kernarg_segment_align: 8
    .kernarg_segment_size: 120
    .language:       OpenCL C
    .language_version:
      - 2
      - 0
    .max_flat_workgroup_size: 128
    .name:           _ZN7rocprim17ROCPRIM_400000_NS6detail17trampoline_kernelINS0_14default_configENS1_25partition_config_selectorILNS1_17partition_subalgoE5ElNS0_10empty_typeEbEEZZNS1_14partition_implILS5_5ELb0ES3_mN6hipcub16HIPCUB_304000_NS21CountingInputIteratorIllEEPS6_NSA_22TransformInputIteratorIb7NonZeroIfEPflEENS0_5tupleIJPlS6_EEENSJ_IJSD_SD_EEES6_SK_JS6_EEE10hipError_tPvRmT3_T4_T5_T6_T7_T9_mT8_P12ihipStream_tbDpT10_ENKUlT_T0_E_clISt17integral_constantIbLb0EES16_EEDaS11_S12_EUlS11_E_NS1_11comp_targetILNS1_3genE9ELNS1_11target_archE1100ELNS1_3gpuE3ELNS1_3repE0EEENS1_30default_config_static_selectorELNS0_4arch9wavefront6targetE1EEEvT1_
    .private_segment_fixed_size: 0
    .sgpr_count:     4
    .sgpr_spill_count: 0
    .symbol:         _ZN7rocprim17ROCPRIM_400000_NS6detail17trampoline_kernelINS0_14default_configENS1_25partition_config_selectorILNS1_17partition_subalgoE5ElNS0_10empty_typeEbEEZZNS1_14partition_implILS5_5ELb0ES3_mN6hipcub16HIPCUB_304000_NS21CountingInputIteratorIllEEPS6_NSA_22TransformInputIteratorIb7NonZeroIfEPflEENS0_5tupleIJPlS6_EEENSJ_IJSD_SD_EEES6_SK_JS6_EEE10hipError_tPvRmT3_T4_T5_T6_T7_T9_mT8_P12ihipStream_tbDpT10_ENKUlT_T0_E_clISt17integral_constantIbLb0EES16_EEDaS11_S12_EUlS11_E_NS1_11comp_targetILNS1_3genE9ELNS1_11target_archE1100ELNS1_3gpuE3ELNS1_3repE0EEENS1_30default_config_static_selectorELNS0_4arch9wavefront6targetE1EEEvT1_.kd
    .uniform_work_group_size: 1
    .uses_dynamic_stack: false
    .vgpr_count:     0
    .vgpr_spill_count: 0
    .wavefront_size: 64
  - .args:
      - .offset:         0
        .size:           120
        .value_kind:     by_value
    .group_segment_fixed_size: 0
    .kernarg_segment_align: 8
    .kernarg_segment_size: 120
    .language:       OpenCL C
    .language_version:
      - 2
      - 0
    .max_flat_workgroup_size: 512
    .name:           _ZN7rocprim17ROCPRIM_400000_NS6detail17trampoline_kernelINS0_14default_configENS1_25partition_config_selectorILNS1_17partition_subalgoE5ElNS0_10empty_typeEbEEZZNS1_14partition_implILS5_5ELb0ES3_mN6hipcub16HIPCUB_304000_NS21CountingInputIteratorIllEEPS6_NSA_22TransformInputIteratorIb7NonZeroIfEPflEENS0_5tupleIJPlS6_EEENSJ_IJSD_SD_EEES6_SK_JS6_EEE10hipError_tPvRmT3_T4_T5_T6_T7_T9_mT8_P12ihipStream_tbDpT10_ENKUlT_T0_E_clISt17integral_constantIbLb0EES16_EEDaS11_S12_EUlS11_E_NS1_11comp_targetILNS1_3genE8ELNS1_11target_archE1030ELNS1_3gpuE2ELNS1_3repE0EEENS1_30default_config_static_selectorELNS0_4arch9wavefront6targetE1EEEvT1_
    .private_segment_fixed_size: 0
    .sgpr_count:     4
    .sgpr_spill_count: 0
    .symbol:         _ZN7rocprim17ROCPRIM_400000_NS6detail17trampoline_kernelINS0_14default_configENS1_25partition_config_selectorILNS1_17partition_subalgoE5ElNS0_10empty_typeEbEEZZNS1_14partition_implILS5_5ELb0ES3_mN6hipcub16HIPCUB_304000_NS21CountingInputIteratorIllEEPS6_NSA_22TransformInputIteratorIb7NonZeroIfEPflEENS0_5tupleIJPlS6_EEENSJ_IJSD_SD_EEES6_SK_JS6_EEE10hipError_tPvRmT3_T4_T5_T6_T7_T9_mT8_P12ihipStream_tbDpT10_ENKUlT_T0_E_clISt17integral_constantIbLb0EES16_EEDaS11_S12_EUlS11_E_NS1_11comp_targetILNS1_3genE8ELNS1_11target_archE1030ELNS1_3gpuE2ELNS1_3repE0EEENS1_30default_config_static_selectorELNS0_4arch9wavefront6targetE1EEEvT1_.kd
    .uniform_work_group_size: 1
    .uses_dynamic_stack: false
    .vgpr_count:     0
    .vgpr_spill_count: 0
    .wavefront_size: 64
  - .args:
      - .offset:         0
        .size:           136
        .value_kind:     by_value
    .group_segment_fixed_size: 0
    .kernarg_segment_align: 8
    .kernarg_segment_size: 136
    .language:       OpenCL C
    .language_version:
      - 2
      - 0
    .max_flat_workgroup_size: 128
    .name:           _ZN7rocprim17ROCPRIM_400000_NS6detail17trampoline_kernelINS0_14default_configENS1_25partition_config_selectorILNS1_17partition_subalgoE5ElNS0_10empty_typeEbEEZZNS1_14partition_implILS5_5ELb0ES3_mN6hipcub16HIPCUB_304000_NS21CountingInputIteratorIllEEPS6_NSA_22TransformInputIteratorIb7NonZeroIfEPflEENS0_5tupleIJPlS6_EEENSJ_IJSD_SD_EEES6_SK_JS6_EEE10hipError_tPvRmT3_T4_T5_T6_T7_T9_mT8_P12ihipStream_tbDpT10_ENKUlT_T0_E_clISt17integral_constantIbLb1EES16_EEDaS11_S12_EUlS11_E_NS1_11comp_targetILNS1_3genE0ELNS1_11target_archE4294967295ELNS1_3gpuE0ELNS1_3repE0EEENS1_30default_config_static_selectorELNS0_4arch9wavefront6targetE1EEEvT1_
    .private_segment_fixed_size: 0
    .sgpr_count:     4
    .sgpr_spill_count: 0
    .symbol:         _ZN7rocprim17ROCPRIM_400000_NS6detail17trampoline_kernelINS0_14default_configENS1_25partition_config_selectorILNS1_17partition_subalgoE5ElNS0_10empty_typeEbEEZZNS1_14partition_implILS5_5ELb0ES3_mN6hipcub16HIPCUB_304000_NS21CountingInputIteratorIllEEPS6_NSA_22TransformInputIteratorIb7NonZeroIfEPflEENS0_5tupleIJPlS6_EEENSJ_IJSD_SD_EEES6_SK_JS6_EEE10hipError_tPvRmT3_T4_T5_T6_T7_T9_mT8_P12ihipStream_tbDpT10_ENKUlT_T0_E_clISt17integral_constantIbLb1EES16_EEDaS11_S12_EUlS11_E_NS1_11comp_targetILNS1_3genE0ELNS1_11target_archE4294967295ELNS1_3gpuE0ELNS1_3repE0EEENS1_30default_config_static_selectorELNS0_4arch9wavefront6targetE1EEEvT1_.kd
    .uniform_work_group_size: 1
    .uses_dynamic_stack: false
    .vgpr_count:     0
    .vgpr_spill_count: 0
    .wavefront_size: 64
  - .args:
      - .offset:         0
        .size:           136
        .value_kind:     by_value
    .group_segment_fixed_size: 0
    .kernarg_segment_align: 8
    .kernarg_segment_size: 136
    .language:       OpenCL C
    .language_version:
      - 2
      - 0
    .max_flat_workgroup_size: 512
    .name:           _ZN7rocprim17ROCPRIM_400000_NS6detail17trampoline_kernelINS0_14default_configENS1_25partition_config_selectorILNS1_17partition_subalgoE5ElNS0_10empty_typeEbEEZZNS1_14partition_implILS5_5ELb0ES3_mN6hipcub16HIPCUB_304000_NS21CountingInputIteratorIllEEPS6_NSA_22TransformInputIteratorIb7NonZeroIfEPflEENS0_5tupleIJPlS6_EEENSJ_IJSD_SD_EEES6_SK_JS6_EEE10hipError_tPvRmT3_T4_T5_T6_T7_T9_mT8_P12ihipStream_tbDpT10_ENKUlT_T0_E_clISt17integral_constantIbLb1EES16_EEDaS11_S12_EUlS11_E_NS1_11comp_targetILNS1_3genE5ELNS1_11target_archE942ELNS1_3gpuE9ELNS1_3repE0EEENS1_30default_config_static_selectorELNS0_4arch9wavefront6targetE1EEEvT1_
    .private_segment_fixed_size: 0
    .sgpr_count:     4
    .sgpr_spill_count: 0
    .symbol:         _ZN7rocprim17ROCPRIM_400000_NS6detail17trampoline_kernelINS0_14default_configENS1_25partition_config_selectorILNS1_17partition_subalgoE5ElNS0_10empty_typeEbEEZZNS1_14partition_implILS5_5ELb0ES3_mN6hipcub16HIPCUB_304000_NS21CountingInputIteratorIllEEPS6_NSA_22TransformInputIteratorIb7NonZeroIfEPflEENS0_5tupleIJPlS6_EEENSJ_IJSD_SD_EEES6_SK_JS6_EEE10hipError_tPvRmT3_T4_T5_T6_T7_T9_mT8_P12ihipStream_tbDpT10_ENKUlT_T0_E_clISt17integral_constantIbLb1EES16_EEDaS11_S12_EUlS11_E_NS1_11comp_targetILNS1_3genE5ELNS1_11target_archE942ELNS1_3gpuE9ELNS1_3repE0EEENS1_30default_config_static_selectorELNS0_4arch9wavefront6targetE1EEEvT1_.kd
    .uniform_work_group_size: 1
    .uses_dynamic_stack: false
    .vgpr_count:     0
    .vgpr_spill_count: 0
    .wavefront_size: 64
  - .args:
      - .offset:         0
        .size:           136
        .value_kind:     by_value
    .group_segment_fixed_size: 0
    .kernarg_segment_align: 8
    .kernarg_segment_size: 136
    .language:       OpenCL C
    .language_version:
      - 2
      - 0
    .max_flat_workgroup_size: 192
    .name:           _ZN7rocprim17ROCPRIM_400000_NS6detail17trampoline_kernelINS0_14default_configENS1_25partition_config_selectorILNS1_17partition_subalgoE5ElNS0_10empty_typeEbEEZZNS1_14partition_implILS5_5ELb0ES3_mN6hipcub16HIPCUB_304000_NS21CountingInputIteratorIllEEPS6_NSA_22TransformInputIteratorIb7NonZeroIfEPflEENS0_5tupleIJPlS6_EEENSJ_IJSD_SD_EEES6_SK_JS6_EEE10hipError_tPvRmT3_T4_T5_T6_T7_T9_mT8_P12ihipStream_tbDpT10_ENKUlT_T0_E_clISt17integral_constantIbLb1EES16_EEDaS11_S12_EUlS11_E_NS1_11comp_targetILNS1_3genE4ELNS1_11target_archE910ELNS1_3gpuE8ELNS1_3repE0EEENS1_30default_config_static_selectorELNS0_4arch9wavefront6targetE1EEEvT1_
    .private_segment_fixed_size: 0
    .sgpr_count:     4
    .sgpr_spill_count: 0
    .symbol:         _ZN7rocprim17ROCPRIM_400000_NS6detail17trampoline_kernelINS0_14default_configENS1_25partition_config_selectorILNS1_17partition_subalgoE5ElNS0_10empty_typeEbEEZZNS1_14partition_implILS5_5ELb0ES3_mN6hipcub16HIPCUB_304000_NS21CountingInputIteratorIllEEPS6_NSA_22TransformInputIteratorIb7NonZeroIfEPflEENS0_5tupleIJPlS6_EEENSJ_IJSD_SD_EEES6_SK_JS6_EEE10hipError_tPvRmT3_T4_T5_T6_T7_T9_mT8_P12ihipStream_tbDpT10_ENKUlT_T0_E_clISt17integral_constantIbLb1EES16_EEDaS11_S12_EUlS11_E_NS1_11comp_targetILNS1_3genE4ELNS1_11target_archE910ELNS1_3gpuE8ELNS1_3repE0EEENS1_30default_config_static_selectorELNS0_4arch9wavefront6targetE1EEEvT1_.kd
    .uniform_work_group_size: 1
    .uses_dynamic_stack: false
    .vgpr_count:     0
    .vgpr_spill_count: 0
    .wavefront_size: 64
  - .args:
      - .offset:         0
        .size:           136
        .value_kind:     by_value
    .group_segment_fixed_size: 0
    .kernarg_segment_align: 8
    .kernarg_segment_size: 136
    .language:       OpenCL C
    .language_version:
      - 2
      - 0
    .max_flat_workgroup_size: 128
    .name:           _ZN7rocprim17ROCPRIM_400000_NS6detail17trampoline_kernelINS0_14default_configENS1_25partition_config_selectorILNS1_17partition_subalgoE5ElNS0_10empty_typeEbEEZZNS1_14partition_implILS5_5ELb0ES3_mN6hipcub16HIPCUB_304000_NS21CountingInputIteratorIllEEPS6_NSA_22TransformInputIteratorIb7NonZeroIfEPflEENS0_5tupleIJPlS6_EEENSJ_IJSD_SD_EEES6_SK_JS6_EEE10hipError_tPvRmT3_T4_T5_T6_T7_T9_mT8_P12ihipStream_tbDpT10_ENKUlT_T0_E_clISt17integral_constantIbLb1EES16_EEDaS11_S12_EUlS11_E_NS1_11comp_targetILNS1_3genE3ELNS1_11target_archE908ELNS1_3gpuE7ELNS1_3repE0EEENS1_30default_config_static_selectorELNS0_4arch9wavefront6targetE1EEEvT1_
    .private_segment_fixed_size: 0
    .sgpr_count:     4
    .sgpr_spill_count: 0
    .symbol:         _ZN7rocprim17ROCPRIM_400000_NS6detail17trampoline_kernelINS0_14default_configENS1_25partition_config_selectorILNS1_17partition_subalgoE5ElNS0_10empty_typeEbEEZZNS1_14partition_implILS5_5ELb0ES3_mN6hipcub16HIPCUB_304000_NS21CountingInputIteratorIllEEPS6_NSA_22TransformInputIteratorIb7NonZeroIfEPflEENS0_5tupleIJPlS6_EEENSJ_IJSD_SD_EEES6_SK_JS6_EEE10hipError_tPvRmT3_T4_T5_T6_T7_T9_mT8_P12ihipStream_tbDpT10_ENKUlT_T0_E_clISt17integral_constantIbLb1EES16_EEDaS11_S12_EUlS11_E_NS1_11comp_targetILNS1_3genE3ELNS1_11target_archE908ELNS1_3gpuE7ELNS1_3repE0EEENS1_30default_config_static_selectorELNS0_4arch9wavefront6targetE1EEEvT1_.kd
    .uniform_work_group_size: 1
    .uses_dynamic_stack: false
    .vgpr_count:     0
    .vgpr_spill_count: 0
    .wavefront_size: 64
  - .args:
      - .offset:         0
        .size:           136
        .value_kind:     by_value
    .group_segment_fixed_size: 0
    .kernarg_segment_align: 8
    .kernarg_segment_size: 136
    .language:       OpenCL C
    .language_version:
      - 2
      - 0
    .max_flat_workgroup_size: 256
    .name:           _ZN7rocprim17ROCPRIM_400000_NS6detail17trampoline_kernelINS0_14default_configENS1_25partition_config_selectorILNS1_17partition_subalgoE5ElNS0_10empty_typeEbEEZZNS1_14partition_implILS5_5ELb0ES3_mN6hipcub16HIPCUB_304000_NS21CountingInputIteratorIllEEPS6_NSA_22TransformInputIteratorIb7NonZeroIfEPflEENS0_5tupleIJPlS6_EEENSJ_IJSD_SD_EEES6_SK_JS6_EEE10hipError_tPvRmT3_T4_T5_T6_T7_T9_mT8_P12ihipStream_tbDpT10_ENKUlT_T0_E_clISt17integral_constantIbLb1EES16_EEDaS11_S12_EUlS11_E_NS1_11comp_targetILNS1_3genE2ELNS1_11target_archE906ELNS1_3gpuE6ELNS1_3repE0EEENS1_30default_config_static_selectorELNS0_4arch9wavefront6targetE1EEEvT1_
    .private_segment_fixed_size: 0
    .sgpr_count:     4
    .sgpr_spill_count: 0
    .symbol:         _ZN7rocprim17ROCPRIM_400000_NS6detail17trampoline_kernelINS0_14default_configENS1_25partition_config_selectorILNS1_17partition_subalgoE5ElNS0_10empty_typeEbEEZZNS1_14partition_implILS5_5ELb0ES3_mN6hipcub16HIPCUB_304000_NS21CountingInputIteratorIllEEPS6_NSA_22TransformInputIteratorIb7NonZeroIfEPflEENS0_5tupleIJPlS6_EEENSJ_IJSD_SD_EEES6_SK_JS6_EEE10hipError_tPvRmT3_T4_T5_T6_T7_T9_mT8_P12ihipStream_tbDpT10_ENKUlT_T0_E_clISt17integral_constantIbLb1EES16_EEDaS11_S12_EUlS11_E_NS1_11comp_targetILNS1_3genE2ELNS1_11target_archE906ELNS1_3gpuE6ELNS1_3repE0EEENS1_30default_config_static_selectorELNS0_4arch9wavefront6targetE1EEEvT1_.kd
    .uniform_work_group_size: 1
    .uses_dynamic_stack: false
    .vgpr_count:     0
    .vgpr_spill_count: 0
    .wavefront_size: 64
  - .args:
      - .offset:         0
        .size:           136
        .value_kind:     by_value
    .group_segment_fixed_size: 0
    .kernarg_segment_align: 8
    .kernarg_segment_size: 136
    .language:       OpenCL C
    .language_version:
      - 2
      - 0
    .max_flat_workgroup_size: 256
    .name:           _ZN7rocprim17ROCPRIM_400000_NS6detail17trampoline_kernelINS0_14default_configENS1_25partition_config_selectorILNS1_17partition_subalgoE5ElNS0_10empty_typeEbEEZZNS1_14partition_implILS5_5ELb0ES3_mN6hipcub16HIPCUB_304000_NS21CountingInputIteratorIllEEPS6_NSA_22TransformInputIteratorIb7NonZeroIfEPflEENS0_5tupleIJPlS6_EEENSJ_IJSD_SD_EEES6_SK_JS6_EEE10hipError_tPvRmT3_T4_T5_T6_T7_T9_mT8_P12ihipStream_tbDpT10_ENKUlT_T0_E_clISt17integral_constantIbLb1EES16_EEDaS11_S12_EUlS11_E_NS1_11comp_targetILNS1_3genE10ELNS1_11target_archE1200ELNS1_3gpuE4ELNS1_3repE0EEENS1_30default_config_static_selectorELNS0_4arch9wavefront6targetE1EEEvT1_
    .private_segment_fixed_size: 0
    .sgpr_count:     4
    .sgpr_spill_count: 0
    .symbol:         _ZN7rocprim17ROCPRIM_400000_NS6detail17trampoline_kernelINS0_14default_configENS1_25partition_config_selectorILNS1_17partition_subalgoE5ElNS0_10empty_typeEbEEZZNS1_14partition_implILS5_5ELb0ES3_mN6hipcub16HIPCUB_304000_NS21CountingInputIteratorIllEEPS6_NSA_22TransformInputIteratorIb7NonZeroIfEPflEENS0_5tupleIJPlS6_EEENSJ_IJSD_SD_EEES6_SK_JS6_EEE10hipError_tPvRmT3_T4_T5_T6_T7_T9_mT8_P12ihipStream_tbDpT10_ENKUlT_T0_E_clISt17integral_constantIbLb1EES16_EEDaS11_S12_EUlS11_E_NS1_11comp_targetILNS1_3genE10ELNS1_11target_archE1200ELNS1_3gpuE4ELNS1_3repE0EEENS1_30default_config_static_selectorELNS0_4arch9wavefront6targetE1EEEvT1_.kd
    .uniform_work_group_size: 1
    .uses_dynamic_stack: false
    .vgpr_count:     0
    .vgpr_spill_count: 0
    .wavefront_size: 64
  - .args:
      - .offset:         0
        .size:           136
        .value_kind:     by_value
    .group_segment_fixed_size: 0
    .kernarg_segment_align: 8
    .kernarg_segment_size: 136
    .language:       OpenCL C
    .language_version:
      - 2
      - 0
    .max_flat_workgroup_size: 128
    .name:           _ZN7rocprim17ROCPRIM_400000_NS6detail17trampoline_kernelINS0_14default_configENS1_25partition_config_selectorILNS1_17partition_subalgoE5ElNS0_10empty_typeEbEEZZNS1_14partition_implILS5_5ELb0ES3_mN6hipcub16HIPCUB_304000_NS21CountingInputIteratorIllEEPS6_NSA_22TransformInputIteratorIb7NonZeroIfEPflEENS0_5tupleIJPlS6_EEENSJ_IJSD_SD_EEES6_SK_JS6_EEE10hipError_tPvRmT3_T4_T5_T6_T7_T9_mT8_P12ihipStream_tbDpT10_ENKUlT_T0_E_clISt17integral_constantIbLb1EES16_EEDaS11_S12_EUlS11_E_NS1_11comp_targetILNS1_3genE9ELNS1_11target_archE1100ELNS1_3gpuE3ELNS1_3repE0EEENS1_30default_config_static_selectorELNS0_4arch9wavefront6targetE1EEEvT1_
    .private_segment_fixed_size: 0
    .sgpr_count:     4
    .sgpr_spill_count: 0
    .symbol:         _ZN7rocprim17ROCPRIM_400000_NS6detail17trampoline_kernelINS0_14default_configENS1_25partition_config_selectorILNS1_17partition_subalgoE5ElNS0_10empty_typeEbEEZZNS1_14partition_implILS5_5ELb0ES3_mN6hipcub16HIPCUB_304000_NS21CountingInputIteratorIllEEPS6_NSA_22TransformInputIteratorIb7NonZeroIfEPflEENS0_5tupleIJPlS6_EEENSJ_IJSD_SD_EEES6_SK_JS6_EEE10hipError_tPvRmT3_T4_T5_T6_T7_T9_mT8_P12ihipStream_tbDpT10_ENKUlT_T0_E_clISt17integral_constantIbLb1EES16_EEDaS11_S12_EUlS11_E_NS1_11comp_targetILNS1_3genE9ELNS1_11target_archE1100ELNS1_3gpuE3ELNS1_3repE0EEENS1_30default_config_static_selectorELNS0_4arch9wavefront6targetE1EEEvT1_.kd
    .uniform_work_group_size: 1
    .uses_dynamic_stack: false
    .vgpr_count:     0
    .vgpr_spill_count: 0
    .wavefront_size: 64
  - .args:
      - .offset:         0
        .size:           136
        .value_kind:     by_value
    .group_segment_fixed_size: 0
    .kernarg_segment_align: 8
    .kernarg_segment_size: 136
    .language:       OpenCL C
    .language_version:
      - 2
      - 0
    .max_flat_workgroup_size: 512
    .name:           _ZN7rocprim17ROCPRIM_400000_NS6detail17trampoline_kernelINS0_14default_configENS1_25partition_config_selectorILNS1_17partition_subalgoE5ElNS0_10empty_typeEbEEZZNS1_14partition_implILS5_5ELb0ES3_mN6hipcub16HIPCUB_304000_NS21CountingInputIteratorIllEEPS6_NSA_22TransformInputIteratorIb7NonZeroIfEPflEENS0_5tupleIJPlS6_EEENSJ_IJSD_SD_EEES6_SK_JS6_EEE10hipError_tPvRmT3_T4_T5_T6_T7_T9_mT8_P12ihipStream_tbDpT10_ENKUlT_T0_E_clISt17integral_constantIbLb1EES16_EEDaS11_S12_EUlS11_E_NS1_11comp_targetILNS1_3genE8ELNS1_11target_archE1030ELNS1_3gpuE2ELNS1_3repE0EEENS1_30default_config_static_selectorELNS0_4arch9wavefront6targetE1EEEvT1_
    .private_segment_fixed_size: 0
    .sgpr_count:     4
    .sgpr_spill_count: 0
    .symbol:         _ZN7rocprim17ROCPRIM_400000_NS6detail17trampoline_kernelINS0_14default_configENS1_25partition_config_selectorILNS1_17partition_subalgoE5ElNS0_10empty_typeEbEEZZNS1_14partition_implILS5_5ELb0ES3_mN6hipcub16HIPCUB_304000_NS21CountingInputIteratorIllEEPS6_NSA_22TransformInputIteratorIb7NonZeroIfEPflEENS0_5tupleIJPlS6_EEENSJ_IJSD_SD_EEES6_SK_JS6_EEE10hipError_tPvRmT3_T4_T5_T6_T7_T9_mT8_P12ihipStream_tbDpT10_ENKUlT_T0_E_clISt17integral_constantIbLb1EES16_EEDaS11_S12_EUlS11_E_NS1_11comp_targetILNS1_3genE8ELNS1_11target_archE1030ELNS1_3gpuE2ELNS1_3repE0EEENS1_30default_config_static_selectorELNS0_4arch9wavefront6targetE1EEEvT1_.kd
    .uniform_work_group_size: 1
    .uses_dynamic_stack: false
    .vgpr_count:     0
    .vgpr_spill_count: 0
    .wavefront_size: 64
  - .args:
      - .offset:         0
        .size:           120
        .value_kind:     by_value
    .group_segment_fixed_size: 0
    .kernarg_segment_align: 8
    .kernarg_segment_size: 120
    .language:       OpenCL C
    .language_version:
      - 2
      - 0
    .max_flat_workgroup_size: 128
    .name:           _ZN7rocprim17ROCPRIM_400000_NS6detail17trampoline_kernelINS0_14default_configENS1_25partition_config_selectorILNS1_17partition_subalgoE5ElNS0_10empty_typeEbEEZZNS1_14partition_implILS5_5ELb0ES3_mN6hipcub16HIPCUB_304000_NS21CountingInputIteratorIllEEPS6_NSA_22TransformInputIteratorIb7NonZeroIfEPflEENS0_5tupleIJPlS6_EEENSJ_IJSD_SD_EEES6_SK_JS6_EEE10hipError_tPvRmT3_T4_T5_T6_T7_T9_mT8_P12ihipStream_tbDpT10_ENKUlT_T0_E_clISt17integral_constantIbLb1EES15_IbLb0EEEEDaS11_S12_EUlS11_E_NS1_11comp_targetILNS1_3genE0ELNS1_11target_archE4294967295ELNS1_3gpuE0ELNS1_3repE0EEENS1_30default_config_static_selectorELNS0_4arch9wavefront6targetE1EEEvT1_
    .private_segment_fixed_size: 0
    .sgpr_count:     4
    .sgpr_spill_count: 0
    .symbol:         _ZN7rocprim17ROCPRIM_400000_NS6detail17trampoline_kernelINS0_14default_configENS1_25partition_config_selectorILNS1_17partition_subalgoE5ElNS0_10empty_typeEbEEZZNS1_14partition_implILS5_5ELb0ES3_mN6hipcub16HIPCUB_304000_NS21CountingInputIteratorIllEEPS6_NSA_22TransformInputIteratorIb7NonZeroIfEPflEENS0_5tupleIJPlS6_EEENSJ_IJSD_SD_EEES6_SK_JS6_EEE10hipError_tPvRmT3_T4_T5_T6_T7_T9_mT8_P12ihipStream_tbDpT10_ENKUlT_T0_E_clISt17integral_constantIbLb1EES15_IbLb0EEEEDaS11_S12_EUlS11_E_NS1_11comp_targetILNS1_3genE0ELNS1_11target_archE4294967295ELNS1_3gpuE0ELNS1_3repE0EEENS1_30default_config_static_selectorELNS0_4arch9wavefront6targetE1EEEvT1_.kd
    .uniform_work_group_size: 1
    .uses_dynamic_stack: false
    .vgpr_count:     0
    .vgpr_spill_count: 0
    .wavefront_size: 64
  - .args:
      - .offset:         0
        .size:           120
        .value_kind:     by_value
    .group_segment_fixed_size: 0
    .kernarg_segment_align: 8
    .kernarg_segment_size: 120
    .language:       OpenCL C
    .language_version:
      - 2
      - 0
    .max_flat_workgroup_size: 512
    .name:           _ZN7rocprim17ROCPRIM_400000_NS6detail17trampoline_kernelINS0_14default_configENS1_25partition_config_selectorILNS1_17partition_subalgoE5ElNS0_10empty_typeEbEEZZNS1_14partition_implILS5_5ELb0ES3_mN6hipcub16HIPCUB_304000_NS21CountingInputIteratorIllEEPS6_NSA_22TransformInputIteratorIb7NonZeroIfEPflEENS0_5tupleIJPlS6_EEENSJ_IJSD_SD_EEES6_SK_JS6_EEE10hipError_tPvRmT3_T4_T5_T6_T7_T9_mT8_P12ihipStream_tbDpT10_ENKUlT_T0_E_clISt17integral_constantIbLb1EES15_IbLb0EEEEDaS11_S12_EUlS11_E_NS1_11comp_targetILNS1_3genE5ELNS1_11target_archE942ELNS1_3gpuE9ELNS1_3repE0EEENS1_30default_config_static_selectorELNS0_4arch9wavefront6targetE1EEEvT1_
    .private_segment_fixed_size: 0
    .sgpr_count:     4
    .sgpr_spill_count: 0
    .symbol:         _ZN7rocprim17ROCPRIM_400000_NS6detail17trampoline_kernelINS0_14default_configENS1_25partition_config_selectorILNS1_17partition_subalgoE5ElNS0_10empty_typeEbEEZZNS1_14partition_implILS5_5ELb0ES3_mN6hipcub16HIPCUB_304000_NS21CountingInputIteratorIllEEPS6_NSA_22TransformInputIteratorIb7NonZeroIfEPflEENS0_5tupleIJPlS6_EEENSJ_IJSD_SD_EEES6_SK_JS6_EEE10hipError_tPvRmT3_T4_T5_T6_T7_T9_mT8_P12ihipStream_tbDpT10_ENKUlT_T0_E_clISt17integral_constantIbLb1EES15_IbLb0EEEEDaS11_S12_EUlS11_E_NS1_11comp_targetILNS1_3genE5ELNS1_11target_archE942ELNS1_3gpuE9ELNS1_3repE0EEENS1_30default_config_static_selectorELNS0_4arch9wavefront6targetE1EEEvT1_.kd
    .uniform_work_group_size: 1
    .uses_dynamic_stack: false
    .vgpr_count:     0
    .vgpr_spill_count: 0
    .wavefront_size: 64
  - .args:
      - .offset:         0
        .size:           120
        .value_kind:     by_value
    .group_segment_fixed_size: 0
    .kernarg_segment_align: 8
    .kernarg_segment_size: 120
    .language:       OpenCL C
    .language_version:
      - 2
      - 0
    .max_flat_workgroup_size: 192
    .name:           _ZN7rocprim17ROCPRIM_400000_NS6detail17trampoline_kernelINS0_14default_configENS1_25partition_config_selectorILNS1_17partition_subalgoE5ElNS0_10empty_typeEbEEZZNS1_14partition_implILS5_5ELb0ES3_mN6hipcub16HIPCUB_304000_NS21CountingInputIteratorIllEEPS6_NSA_22TransformInputIteratorIb7NonZeroIfEPflEENS0_5tupleIJPlS6_EEENSJ_IJSD_SD_EEES6_SK_JS6_EEE10hipError_tPvRmT3_T4_T5_T6_T7_T9_mT8_P12ihipStream_tbDpT10_ENKUlT_T0_E_clISt17integral_constantIbLb1EES15_IbLb0EEEEDaS11_S12_EUlS11_E_NS1_11comp_targetILNS1_3genE4ELNS1_11target_archE910ELNS1_3gpuE8ELNS1_3repE0EEENS1_30default_config_static_selectorELNS0_4arch9wavefront6targetE1EEEvT1_
    .private_segment_fixed_size: 0
    .sgpr_count:     4
    .sgpr_spill_count: 0
    .symbol:         _ZN7rocprim17ROCPRIM_400000_NS6detail17trampoline_kernelINS0_14default_configENS1_25partition_config_selectorILNS1_17partition_subalgoE5ElNS0_10empty_typeEbEEZZNS1_14partition_implILS5_5ELb0ES3_mN6hipcub16HIPCUB_304000_NS21CountingInputIteratorIllEEPS6_NSA_22TransformInputIteratorIb7NonZeroIfEPflEENS0_5tupleIJPlS6_EEENSJ_IJSD_SD_EEES6_SK_JS6_EEE10hipError_tPvRmT3_T4_T5_T6_T7_T9_mT8_P12ihipStream_tbDpT10_ENKUlT_T0_E_clISt17integral_constantIbLb1EES15_IbLb0EEEEDaS11_S12_EUlS11_E_NS1_11comp_targetILNS1_3genE4ELNS1_11target_archE910ELNS1_3gpuE8ELNS1_3repE0EEENS1_30default_config_static_selectorELNS0_4arch9wavefront6targetE1EEEvT1_.kd
    .uniform_work_group_size: 1
    .uses_dynamic_stack: false
    .vgpr_count:     0
    .vgpr_spill_count: 0
    .wavefront_size: 64
  - .args:
      - .offset:         0
        .size:           120
        .value_kind:     by_value
    .group_segment_fixed_size: 0
    .kernarg_segment_align: 8
    .kernarg_segment_size: 120
    .language:       OpenCL C
    .language_version:
      - 2
      - 0
    .max_flat_workgroup_size: 128
    .name:           _ZN7rocprim17ROCPRIM_400000_NS6detail17trampoline_kernelINS0_14default_configENS1_25partition_config_selectorILNS1_17partition_subalgoE5ElNS0_10empty_typeEbEEZZNS1_14partition_implILS5_5ELb0ES3_mN6hipcub16HIPCUB_304000_NS21CountingInputIteratorIllEEPS6_NSA_22TransformInputIteratorIb7NonZeroIfEPflEENS0_5tupleIJPlS6_EEENSJ_IJSD_SD_EEES6_SK_JS6_EEE10hipError_tPvRmT3_T4_T5_T6_T7_T9_mT8_P12ihipStream_tbDpT10_ENKUlT_T0_E_clISt17integral_constantIbLb1EES15_IbLb0EEEEDaS11_S12_EUlS11_E_NS1_11comp_targetILNS1_3genE3ELNS1_11target_archE908ELNS1_3gpuE7ELNS1_3repE0EEENS1_30default_config_static_selectorELNS0_4arch9wavefront6targetE1EEEvT1_
    .private_segment_fixed_size: 0
    .sgpr_count:     4
    .sgpr_spill_count: 0
    .symbol:         _ZN7rocprim17ROCPRIM_400000_NS6detail17trampoline_kernelINS0_14default_configENS1_25partition_config_selectorILNS1_17partition_subalgoE5ElNS0_10empty_typeEbEEZZNS1_14partition_implILS5_5ELb0ES3_mN6hipcub16HIPCUB_304000_NS21CountingInputIteratorIllEEPS6_NSA_22TransformInputIteratorIb7NonZeroIfEPflEENS0_5tupleIJPlS6_EEENSJ_IJSD_SD_EEES6_SK_JS6_EEE10hipError_tPvRmT3_T4_T5_T6_T7_T9_mT8_P12ihipStream_tbDpT10_ENKUlT_T0_E_clISt17integral_constantIbLb1EES15_IbLb0EEEEDaS11_S12_EUlS11_E_NS1_11comp_targetILNS1_3genE3ELNS1_11target_archE908ELNS1_3gpuE7ELNS1_3repE0EEENS1_30default_config_static_selectorELNS0_4arch9wavefront6targetE1EEEvT1_.kd
    .uniform_work_group_size: 1
    .uses_dynamic_stack: false
    .vgpr_count:     0
    .vgpr_spill_count: 0
    .wavefront_size: 64
  - .args:
      - .offset:         0
        .size:           120
        .value_kind:     by_value
    .group_segment_fixed_size: 0
    .kernarg_segment_align: 8
    .kernarg_segment_size: 120
    .language:       OpenCL C
    .language_version:
      - 2
      - 0
    .max_flat_workgroup_size: 256
    .name:           _ZN7rocprim17ROCPRIM_400000_NS6detail17trampoline_kernelINS0_14default_configENS1_25partition_config_selectorILNS1_17partition_subalgoE5ElNS0_10empty_typeEbEEZZNS1_14partition_implILS5_5ELb0ES3_mN6hipcub16HIPCUB_304000_NS21CountingInputIteratorIllEEPS6_NSA_22TransformInputIteratorIb7NonZeroIfEPflEENS0_5tupleIJPlS6_EEENSJ_IJSD_SD_EEES6_SK_JS6_EEE10hipError_tPvRmT3_T4_T5_T6_T7_T9_mT8_P12ihipStream_tbDpT10_ENKUlT_T0_E_clISt17integral_constantIbLb1EES15_IbLb0EEEEDaS11_S12_EUlS11_E_NS1_11comp_targetILNS1_3genE2ELNS1_11target_archE906ELNS1_3gpuE6ELNS1_3repE0EEENS1_30default_config_static_selectorELNS0_4arch9wavefront6targetE1EEEvT1_
    .private_segment_fixed_size: 0
    .sgpr_count:     4
    .sgpr_spill_count: 0
    .symbol:         _ZN7rocprim17ROCPRIM_400000_NS6detail17trampoline_kernelINS0_14default_configENS1_25partition_config_selectorILNS1_17partition_subalgoE5ElNS0_10empty_typeEbEEZZNS1_14partition_implILS5_5ELb0ES3_mN6hipcub16HIPCUB_304000_NS21CountingInputIteratorIllEEPS6_NSA_22TransformInputIteratorIb7NonZeroIfEPflEENS0_5tupleIJPlS6_EEENSJ_IJSD_SD_EEES6_SK_JS6_EEE10hipError_tPvRmT3_T4_T5_T6_T7_T9_mT8_P12ihipStream_tbDpT10_ENKUlT_T0_E_clISt17integral_constantIbLb1EES15_IbLb0EEEEDaS11_S12_EUlS11_E_NS1_11comp_targetILNS1_3genE2ELNS1_11target_archE906ELNS1_3gpuE6ELNS1_3repE0EEENS1_30default_config_static_selectorELNS0_4arch9wavefront6targetE1EEEvT1_.kd
    .uniform_work_group_size: 1
    .uses_dynamic_stack: false
    .vgpr_count:     0
    .vgpr_spill_count: 0
    .wavefront_size: 64
  - .args:
      - .offset:         0
        .size:           120
        .value_kind:     by_value
    .group_segment_fixed_size: 0
    .kernarg_segment_align: 8
    .kernarg_segment_size: 120
    .language:       OpenCL C
    .language_version:
      - 2
      - 0
    .max_flat_workgroup_size: 256
    .name:           _ZN7rocprim17ROCPRIM_400000_NS6detail17trampoline_kernelINS0_14default_configENS1_25partition_config_selectorILNS1_17partition_subalgoE5ElNS0_10empty_typeEbEEZZNS1_14partition_implILS5_5ELb0ES3_mN6hipcub16HIPCUB_304000_NS21CountingInputIteratorIllEEPS6_NSA_22TransformInputIteratorIb7NonZeroIfEPflEENS0_5tupleIJPlS6_EEENSJ_IJSD_SD_EEES6_SK_JS6_EEE10hipError_tPvRmT3_T4_T5_T6_T7_T9_mT8_P12ihipStream_tbDpT10_ENKUlT_T0_E_clISt17integral_constantIbLb1EES15_IbLb0EEEEDaS11_S12_EUlS11_E_NS1_11comp_targetILNS1_3genE10ELNS1_11target_archE1200ELNS1_3gpuE4ELNS1_3repE0EEENS1_30default_config_static_selectorELNS0_4arch9wavefront6targetE1EEEvT1_
    .private_segment_fixed_size: 0
    .sgpr_count:     4
    .sgpr_spill_count: 0
    .symbol:         _ZN7rocprim17ROCPRIM_400000_NS6detail17trampoline_kernelINS0_14default_configENS1_25partition_config_selectorILNS1_17partition_subalgoE5ElNS0_10empty_typeEbEEZZNS1_14partition_implILS5_5ELb0ES3_mN6hipcub16HIPCUB_304000_NS21CountingInputIteratorIllEEPS6_NSA_22TransformInputIteratorIb7NonZeroIfEPflEENS0_5tupleIJPlS6_EEENSJ_IJSD_SD_EEES6_SK_JS6_EEE10hipError_tPvRmT3_T4_T5_T6_T7_T9_mT8_P12ihipStream_tbDpT10_ENKUlT_T0_E_clISt17integral_constantIbLb1EES15_IbLb0EEEEDaS11_S12_EUlS11_E_NS1_11comp_targetILNS1_3genE10ELNS1_11target_archE1200ELNS1_3gpuE4ELNS1_3repE0EEENS1_30default_config_static_selectorELNS0_4arch9wavefront6targetE1EEEvT1_.kd
    .uniform_work_group_size: 1
    .uses_dynamic_stack: false
    .vgpr_count:     0
    .vgpr_spill_count: 0
    .wavefront_size: 64
  - .args:
      - .offset:         0
        .size:           120
        .value_kind:     by_value
    .group_segment_fixed_size: 0
    .kernarg_segment_align: 8
    .kernarg_segment_size: 120
    .language:       OpenCL C
    .language_version:
      - 2
      - 0
    .max_flat_workgroup_size: 128
    .name:           _ZN7rocprim17ROCPRIM_400000_NS6detail17trampoline_kernelINS0_14default_configENS1_25partition_config_selectorILNS1_17partition_subalgoE5ElNS0_10empty_typeEbEEZZNS1_14partition_implILS5_5ELb0ES3_mN6hipcub16HIPCUB_304000_NS21CountingInputIteratorIllEEPS6_NSA_22TransformInputIteratorIb7NonZeroIfEPflEENS0_5tupleIJPlS6_EEENSJ_IJSD_SD_EEES6_SK_JS6_EEE10hipError_tPvRmT3_T4_T5_T6_T7_T9_mT8_P12ihipStream_tbDpT10_ENKUlT_T0_E_clISt17integral_constantIbLb1EES15_IbLb0EEEEDaS11_S12_EUlS11_E_NS1_11comp_targetILNS1_3genE9ELNS1_11target_archE1100ELNS1_3gpuE3ELNS1_3repE0EEENS1_30default_config_static_selectorELNS0_4arch9wavefront6targetE1EEEvT1_
    .private_segment_fixed_size: 0
    .sgpr_count:     4
    .sgpr_spill_count: 0
    .symbol:         _ZN7rocprim17ROCPRIM_400000_NS6detail17trampoline_kernelINS0_14default_configENS1_25partition_config_selectorILNS1_17partition_subalgoE5ElNS0_10empty_typeEbEEZZNS1_14partition_implILS5_5ELb0ES3_mN6hipcub16HIPCUB_304000_NS21CountingInputIteratorIllEEPS6_NSA_22TransformInputIteratorIb7NonZeroIfEPflEENS0_5tupleIJPlS6_EEENSJ_IJSD_SD_EEES6_SK_JS6_EEE10hipError_tPvRmT3_T4_T5_T6_T7_T9_mT8_P12ihipStream_tbDpT10_ENKUlT_T0_E_clISt17integral_constantIbLb1EES15_IbLb0EEEEDaS11_S12_EUlS11_E_NS1_11comp_targetILNS1_3genE9ELNS1_11target_archE1100ELNS1_3gpuE3ELNS1_3repE0EEENS1_30default_config_static_selectorELNS0_4arch9wavefront6targetE1EEEvT1_.kd
    .uniform_work_group_size: 1
    .uses_dynamic_stack: false
    .vgpr_count:     0
    .vgpr_spill_count: 0
    .wavefront_size: 64
  - .args:
      - .offset:         0
        .size:           120
        .value_kind:     by_value
    .group_segment_fixed_size: 0
    .kernarg_segment_align: 8
    .kernarg_segment_size: 120
    .language:       OpenCL C
    .language_version:
      - 2
      - 0
    .max_flat_workgroup_size: 512
    .name:           _ZN7rocprim17ROCPRIM_400000_NS6detail17trampoline_kernelINS0_14default_configENS1_25partition_config_selectorILNS1_17partition_subalgoE5ElNS0_10empty_typeEbEEZZNS1_14partition_implILS5_5ELb0ES3_mN6hipcub16HIPCUB_304000_NS21CountingInputIteratorIllEEPS6_NSA_22TransformInputIteratorIb7NonZeroIfEPflEENS0_5tupleIJPlS6_EEENSJ_IJSD_SD_EEES6_SK_JS6_EEE10hipError_tPvRmT3_T4_T5_T6_T7_T9_mT8_P12ihipStream_tbDpT10_ENKUlT_T0_E_clISt17integral_constantIbLb1EES15_IbLb0EEEEDaS11_S12_EUlS11_E_NS1_11comp_targetILNS1_3genE8ELNS1_11target_archE1030ELNS1_3gpuE2ELNS1_3repE0EEENS1_30default_config_static_selectorELNS0_4arch9wavefront6targetE1EEEvT1_
    .private_segment_fixed_size: 0
    .sgpr_count:     4
    .sgpr_spill_count: 0
    .symbol:         _ZN7rocprim17ROCPRIM_400000_NS6detail17trampoline_kernelINS0_14default_configENS1_25partition_config_selectorILNS1_17partition_subalgoE5ElNS0_10empty_typeEbEEZZNS1_14partition_implILS5_5ELb0ES3_mN6hipcub16HIPCUB_304000_NS21CountingInputIteratorIllEEPS6_NSA_22TransformInputIteratorIb7NonZeroIfEPflEENS0_5tupleIJPlS6_EEENSJ_IJSD_SD_EEES6_SK_JS6_EEE10hipError_tPvRmT3_T4_T5_T6_T7_T9_mT8_P12ihipStream_tbDpT10_ENKUlT_T0_E_clISt17integral_constantIbLb1EES15_IbLb0EEEEDaS11_S12_EUlS11_E_NS1_11comp_targetILNS1_3genE8ELNS1_11target_archE1030ELNS1_3gpuE2ELNS1_3repE0EEENS1_30default_config_static_selectorELNS0_4arch9wavefront6targetE1EEEvT1_.kd
    .uniform_work_group_size: 1
    .uses_dynamic_stack: false
    .vgpr_count:     0
    .vgpr_spill_count: 0
    .wavefront_size: 64
  - .args:
      - .offset:         0
        .size:           136
        .value_kind:     by_value
    .group_segment_fixed_size: 0
    .kernarg_segment_align: 8
    .kernarg_segment_size: 136
    .language:       OpenCL C
    .language_version:
      - 2
      - 0
    .max_flat_workgroup_size: 128
    .name:           _ZN7rocprim17ROCPRIM_400000_NS6detail17trampoline_kernelINS0_14default_configENS1_25partition_config_selectorILNS1_17partition_subalgoE5ElNS0_10empty_typeEbEEZZNS1_14partition_implILS5_5ELb0ES3_mN6hipcub16HIPCUB_304000_NS21CountingInputIteratorIllEEPS6_NSA_22TransformInputIteratorIb7NonZeroIfEPflEENS0_5tupleIJPlS6_EEENSJ_IJSD_SD_EEES6_SK_JS6_EEE10hipError_tPvRmT3_T4_T5_T6_T7_T9_mT8_P12ihipStream_tbDpT10_ENKUlT_T0_E_clISt17integral_constantIbLb0EES15_IbLb1EEEEDaS11_S12_EUlS11_E_NS1_11comp_targetILNS1_3genE0ELNS1_11target_archE4294967295ELNS1_3gpuE0ELNS1_3repE0EEENS1_30default_config_static_selectorELNS0_4arch9wavefront6targetE1EEEvT1_
    .private_segment_fixed_size: 0
    .sgpr_count:     4
    .sgpr_spill_count: 0
    .symbol:         _ZN7rocprim17ROCPRIM_400000_NS6detail17trampoline_kernelINS0_14default_configENS1_25partition_config_selectorILNS1_17partition_subalgoE5ElNS0_10empty_typeEbEEZZNS1_14partition_implILS5_5ELb0ES3_mN6hipcub16HIPCUB_304000_NS21CountingInputIteratorIllEEPS6_NSA_22TransformInputIteratorIb7NonZeroIfEPflEENS0_5tupleIJPlS6_EEENSJ_IJSD_SD_EEES6_SK_JS6_EEE10hipError_tPvRmT3_T4_T5_T6_T7_T9_mT8_P12ihipStream_tbDpT10_ENKUlT_T0_E_clISt17integral_constantIbLb0EES15_IbLb1EEEEDaS11_S12_EUlS11_E_NS1_11comp_targetILNS1_3genE0ELNS1_11target_archE4294967295ELNS1_3gpuE0ELNS1_3repE0EEENS1_30default_config_static_selectorELNS0_4arch9wavefront6targetE1EEEvT1_.kd
    .uniform_work_group_size: 1
    .uses_dynamic_stack: false
    .vgpr_count:     0
    .vgpr_spill_count: 0
    .wavefront_size: 64
  - .args:
      - .offset:         0
        .size:           136
        .value_kind:     by_value
    .group_segment_fixed_size: 0
    .kernarg_segment_align: 8
    .kernarg_segment_size: 136
    .language:       OpenCL C
    .language_version:
      - 2
      - 0
    .max_flat_workgroup_size: 512
    .name:           _ZN7rocprim17ROCPRIM_400000_NS6detail17trampoline_kernelINS0_14default_configENS1_25partition_config_selectorILNS1_17partition_subalgoE5ElNS0_10empty_typeEbEEZZNS1_14partition_implILS5_5ELb0ES3_mN6hipcub16HIPCUB_304000_NS21CountingInputIteratorIllEEPS6_NSA_22TransformInputIteratorIb7NonZeroIfEPflEENS0_5tupleIJPlS6_EEENSJ_IJSD_SD_EEES6_SK_JS6_EEE10hipError_tPvRmT3_T4_T5_T6_T7_T9_mT8_P12ihipStream_tbDpT10_ENKUlT_T0_E_clISt17integral_constantIbLb0EES15_IbLb1EEEEDaS11_S12_EUlS11_E_NS1_11comp_targetILNS1_3genE5ELNS1_11target_archE942ELNS1_3gpuE9ELNS1_3repE0EEENS1_30default_config_static_selectorELNS0_4arch9wavefront6targetE1EEEvT1_
    .private_segment_fixed_size: 0
    .sgpr_count:     4
    .sgpr_spill_count: 0
    .symbol:         _ZN7rocprim17ROCPRIM_400000_NS6detail17trampoline_kernelINS0_14default_configENS1_25partition_config_selectorILNS1_17partition_subalgoE5ElNS0_10empty_typeEbEEZZNS1_14partition_implILS5_5ELb0ES3_mN6hipcub16HIPCUB_304000_NS21CountingInputIteratorIllEEPS6_NSA_22TransformInputIteratorIb7NonZeroIfEPflEENS0_5tupleIJPlS6_EEENSJ_IJSD_SD_EEES6_SK_JS6_EEE10hipError_tPvRmT3_T4_T5_T6_T7_T9_mT8_P12ihipStream_tbDpT10_ENKUlT_T0_E_clISt17integral_constantIbLb0EES15_IbLb1EEEEDaS11_S12_EUlS11_E_NS1_11comp_targetILNS1_3genE5ELNS1_11target_archE942ELNS1_3gpuE9ELNS1_3repE0EEENS1_30default_config_static_selectorELNS0_4arch9wavefront6targetE1EEEvT1_.kd
    .uniform_work_group_size: 1
    .uses_dynamic_stack: false
    .vgpr_count:     0
    .vgpr_spill_count: 0
    .wavefront_size: 64
  - .args:
      - .offset:         0
        .size:           136
        .value_kind:     by_value
    .group_segment_fixed_size: 0
    .kernarg_segment_align: 8
    .kernarg_segment_size: 136
    .language:       OpenCL C
    .language_version:
      - 2
      - 0
    .max_flat_workgroup_size: 192
    .name:           _ZN7rocprim17ROCPRIM_400000_NS6detail17trampoline_kernelINS0_14default_configENS1_25partition_config_selectorILNS1_17partition_subalgoE5ElNS0_10empty_typeEbEEZZNS1_14partition_implILS5_5ELb0ES3_mN6hipcub16HIPCUB_304000_NS21CountingInputIteratorIllEEPS6_NSA_22TransformInputIteratorIb7NonZeroIfEPflEENS0_5tupleIJPlS6_EEENSJ_IJSD_SD_EEES6_SK_JS6_EEE10hipError_tPvRmT3_T4_T5_T6_T7_T9_mT8_P12ihipStream_tbDpT10_ENKUlT_T0_E_clISt17integral_constantIbLb0EES15_IbLb1EEEEDaS11_S12_EUlS11_E_NS1_11comp_targetILNS1_3genE4ELNS1_11target_archE910ELNS1_3gpuE8ELNS1_3repE0EEENS1_30default_config_static_selectorELNS0_4arch9wavefront6targetE1EEEvT1_
    .private_segment_fixed_size: 0
    .sgpr_count:     4
    .sgpr_spill_count: 0
    .symbol:         _ZN7rocprim17ROCPRIM_400000_NS6detail17trampoline_kernelINS0_14default_configENS1_25partition_config_selectorILNS1_17partition_subalgoE5ElNS0_10empty_typeEbEEZZNS1_14partition_implILS5_5ELb0ES3_mN6hipcub16HIPCUB_304000_NS21CountingInputIteratorIllEEPS6_NSA_22TransformInputIteratorIb7NonZeroIfEPflEENS0_5tupleIJPlS6_EEENSJ_IJSD_SD_EEES6_SK_JS6_EEE10hipError_tPvRmT3_T4_T5_T6_T7_T9_mT8_P12ihipStream_tbDpT10_ENKUlT_T0_E_clISt17integral_constantIbLb0EES15_IbLb1EEEEDaS11_S12_EUlS11_E_NS1_11comp_targetILNS1_3genE4ELNS1_11target_archE910ELNS1_3gpuE8ELNS1_3repE0EEENS1_30default_config_static_selectorELNS0_4arch9wavefront6targetE1EEEvT1_.kd
    .uniform_work_group_size: 1
    .uses_dynamic_stack: false
    .vgpr_count:     0
    .vgpr_spill_count: 0
    .wavefront_size: 64
  - .args:
      - .offset:         0
        .size:           136
        .value_kind:     by_value
    .group_segment_fixed_size: 0
    .kernarg_segment_align: 8
    .kernarg_segment_size: 136
    .language:       OpenCL C
    .language_version:
      - 2
      - 0
    .max_flat_workgroup_size: 128
    .name:           _ZN7rocprim17ROCPRIM_400000_NS6detail17trampoline_kernelINS0_14default_configENS1_25partition_config_selectorILNS1_17partition_subalgoE5ElNS0_10empty_typeEbEEZZNS1_14partition_implILS5_5ELb0ES3_mN6hipcub16HIPCUB_304000_NS21CountingInputIteratorIllEEPS6_NSA_22TransformInputIteratorIb7NonZeroIfEPflEENS0_5tupleIJPlS6_EEENSJ_IJSD_SD_EEES6_SK_JS6_EEE10hipError_tPvRmT3_T4_T5_T6_T7_T9_mT8_P12ihipStream_tbDpT10_ENKUlT_T0_E_clISt17integral_constantIbLb0EES15_IbLb1EEEEDaS11_S12_EUlS11_E_NS1_11comp_targetILNS1_3genE3ELNS1_11target_archE908ELNS1_3gpuE7ELNS1_3repE0EEENS1_30default_config_static_selectorELNS0_4arch9wavefront6targetE1EEEvT1_
    .private_segment_fixed_size: 0
    .sgpr_count:     4
    .sgpr_spill_count: 0
    .symbol:         _ZN7rocprim17ROCPRIM_400000_NS6detail17trampoline_kernelINS0_14default_configENS1_25partition_config_selectorILNS1_17partition_subalgoE5ElNS0_10empty_typeEbEEZZNS1_14partition_implILS5_5ELb0ES3_mN6hipcub16HIPCUB_304000_NS21CountingInputIteratorIllEEPS6_NSA_22TransformInputIteratorIb7NonZeroIfEPflEENS0_5tupleIJPlS6_EEENSJ_IJSD_SD_EEES6_SK_JS6_EEE10hipError_tPvRmT3_T4_T5_T6_T7_T9_mT8_P12ihipStream_tbDpT10_ENKUlT_T0_E_clISt17integral_constantIbLb0EES15_IbLb1EEEEDaS11_S12_EUlS11_E_NS1_11comp_targetILNS1_3genE3ELNS1_11target_archE908ELNS1_3gpuE7ELNS1_3repE0EEENS1_30default_config_static_selectorELNS0_4arch9wavefront6targetE1EEEvT1_.kd
    .uniform_work_group_size: 1
    .uses_dynamic_stack: false
    .vgpr_count:     0
    .vgpr_spill_count: 0
    .wavefront_size: 64
  - .args:
      - .offset:         0
        .size:           136
        .value_kind:     by_value
    .group_segment_fixed_size: 14352
    .kernarg_segment_align: 8
    .kernarg_segment_size: 136
    .language:       OpenCL C
    .language_version:
      - 2
      - 0
    .max_flat_workgroup_size: 256
    .name:           _ZN7rocprim17ROCPRIM_400000_NS6detail17trampoline_kernelINS0_14default_configENS1_25partition_config_selectorILNS1_17partition_subalgoE5ElNS0_10empty_typeEbEEZZNS1_14partition_implILS5_5ELb0ES3_mN6hipcub16HIPCUB_304000_NS21CountingInputIteratorIllEEPS6_NSA_22TransformInputIteratorIb7NonZeroIfEPflEENS0_5tupleIJPlS6_EEENSJ_IJSD_SD_EEES6_SK_JS6_EEE10hipError_tPvRmT3_T4_T5_T6_T7_T9_mT8_P12ihipStream_tbDpT10_ENKUlT_T0_E_clISt17integral_constantIbLb0EES15_IbLb1EEEEDaS11_S12_EUlS11_E_NS1_11comp_targetILNS1_3genE2ELNS1_11target_archE906ELNS1_3gpuE6ELNS1_3repE0EEENS1_30default_config_static_selectorELNS0_4arch9wavefront6targetE1EEEvT1_
    .private_segment_fixed_size: 0
    .sgpr_count:     32
    .sgpr_spill_count: 0
    .symbol:         _ZN7rocprim17ROCPRIM_400000_NS6detail17trampoline_kernelINS0_14default_configENS1_25partition_config_selectorILNS1_17partition_subalgoE5ElNS0_10empty_typeEbEEZZNS1_14partition_implILS5_5ELb0ES3_mN6hipcub16HIPCUB_304000_NS21CountingInputIteratorIllEEPS6_NSA_22TransformInputIteratorIb7NonZeroIfEPflEENS0_5tupleIJPlS6_EEENSJ_IJSD_SD_EEES6_SK_JS6_EEE10hipError_tPvRmT3_T4_T5_T6_T7_T9_mT8_P12ihipStream_tbDpT10_ENKUlT_T0_E_clISt17integral_constantIbLb0EES15_IbLb1EEEEDaS11_S12_EUlS11_E_NS1_11comp_targetILNS1_3genE2ELNS1_11target_archE906ELNS1_3gpuE6ELNS1_3repE0EEENS1_30default_config_static_selectorELNS0_4arch9wavefront6targetE1EEEvT1_.kd
    .uniform_work_group_size: 1
    .uses_dynamic_stack: false
    .vgpr_count:     59
    .vgpr_spill_count: 0
    .wavefront_size: 64
  - .args:
      - .offset:         0
        .size:           136
        .value_kind:     by_value
    .group_segment_fixed_size: 0
    .kernarg_segment_align: 8
    .kernarg_segment_size: 136
    .language:       OpenCL C
    .language_version:
      - 2
      - 0
    .max_flat_workgroup_size: 256
    .name:           _ZN7rocprim17ROCPRIM_400000_NS6detail17trampoline_kernelINS0_14default_configENS1_25partition_config_selectorILNS1_17partition_subalgoE5ElNS0_10empty_typeEbEEZZNS1_14partition_implILS5_5ELb0ES3_mN6hipcub16HIPCUB_304000_NS21CountingInputIteratorIllEEPS6_NSA_22TransformInputIteratorIb7NonZeroIfEPflEENS0_5tupleIJPlS6_EEENSJ_IJSD_SD_EEES6_SK_JS6_EEE10hipError_tPvRmT3_T4_T5_T6_T7_T9_mT8_P12ihipStream_tbDpT10_ENKUlT_T0_E_clISt17integral_constantIbLb0EES15_IbLb1EEEEDaS11_S12_EUlS11_E_NS1_11comp_targetILNS1_3genE10ELNS1_11target_archE1200ELNS1_3gpuE4ELNS1_3repE0EEENS1_30default_config_static_selectorELNS0_4arch9wavefront6targetE1EEEvT1_
    .private_segment_fixed_size: 0
    .sgpr_count:     4
    .sgpr_spill_count: 0
    .symbol:         _ZN7rocprim17ROCPRIM_400000_NS6detail17trampoline_kernelINS0_14default_configENS1_25partition_config_selectorILNS1_17partition_subalgoE5ElNS0_10empty_typeEbEEZZNS1_14partition_implILS5_5ELb0ES3_mN6hipcub16HIPCUB_304000_NS21CountingInputIteratorIllEEPS6_NSA_22TransformInputIteratorIb7NonZeroIfEPflEENS0_5tupleIJPlS6_EEENSJ_IJSD_SD_EEES6_SK_JS6_EEE10hipError_tPvRmT3_T4_T5_T6_T7_T9_mT8_P12ihipStream_tbDpT10_ENKUlT_T0_E_clISt17integral_constantIbLb0EES15_IbLb1EEEEDaS11_S12_EUlS11_E_NS1_11comp_targetILNS1_3genE10ELNS1_11target_archE1200ELNS1_3gpuE4ELNS1_3repE0EEENS1_30default_config_static_selectorELNS0_4arch9wavefront6targetE1EEEvT1_.kd
    .uniform_work_group_size: 1
    .uses_dynamic_stack: false
    .vgpr_count:     0
    .vgpr_spill_count: 0
    .wavefront_size: 64
  - .args:
      - .offset:         0
        .size:           136
        .value_kind:     by_value
    .group_segment_fixed_size: 0
    .kernarg_segment_align: 8
    .kernarg_segment_size: 136
    .language:       OpenCL C
    .language_version:
      - 2
      - 0
    .max_flat_workgroup_size: 128
    .name:           _ZN7rocprim17ROCPRIM_400000_NS6detail17trampoline_kernelINS0_14default_configENS1_25partition_config_selectorILNS1_17partition_subalgoE5ElNS0_10empty_typeEbEEZZNS1_14partition_implILS5_5ELb0ES3_mN6hipcub16HIPCUB_304000_NS21CountingInputIteratorIllEEPS6_NSA_22TransformInputIteratorIb7NonZeroIfEPflEENS0_5tupleIJPlS6_EEENSJ_IJSD_SD_EEES6_SK_JS6_EEE10hipError_tPvRmT3_T4_T5_T6_T7_T9_mT8_P12ihipStream_tbDpT10_ENKUlT_T0_E_clISt17integral_constantIbLb0EES15_IbLb1EEEEDaS11_S12_EUlS11_E_NS1_11comp_targetILNS1_3genE9ELNS1_11target_archE1100ELNS1_3gpuE3ELNS1_3repE0EEENS1_30default_config_static_selectorELNS0_4arch9wavefront6targetE1EEEvT1_
    .private_segment_fixed_size: 0
    .sgpr_count:     4
    .sgpr_spill_count: 0
    .symbol:         _ZN7rocprim17ROCPRIM_400000_NS6detail17trampoline_kernelINS0_14default_configENS1_25partition_config_selectorILNS1_17partition_subalgoE5ElNS0_10empty_typeEbEEZZNS1_14partition_implILS5_5ELb0ES3_mN6hipcub16HIPCUB_304000_NS21CountingInputIteratorIllEEPS6_NSA_22TransformInputIteratorIb7NonZeroIfEPflEENS0_5tupleIJPlS6_EEENSJ_IJSD_SD_EEES6_SK_JS6_EEE10hipError_tPvRmT3_T4_T5_T6_T7_T9_mT8_P12ihipStream_tbDpT10_ENKUlT_T0_E_clISt17integral_constantIbLb0EES15_IbLb1EEEEDaS11_S12_EUlS11_E_NS1_11comp_targetILNS1_3genE9ELNS1_11target_archE1100ELNS1_3gpuE3ELNS1_3repE0EEENS1_30default_config_static_selectorELNS0_4arch9wavefront6targetE1EEEvT1_.kd
    .uniform_work_group_size: 1
    .uses_dynamic_stack: false
    .vgpr_count:     0
    .vgpr_spill_count: 0
    .wavefront_size: 64
  - .args:
      - .offset:         0
        .size:           136
        .value_kind:     by_value
    .group_segment_fixed_size: 0
    .kernarg_segment_align: 8
    .kernarg_segment_size: 136
    .language:       OpenCL C
    .language_version:
      - 2
      - 0
    .max_flat_workgroup_size: 512
    .name:           _ZN7rocprim17ROCPRIM_400000_NS6detail17trampoline_kernelINS0_14default_configENS1_25partition_config_selectorILNS1_17partition_subalgoE5ElNS0_10empty_typeEbEEZZNS1_14partition_implILS5_5ELb0ES3_mN6hipcub16HIPCUB_304000_NS21CountingInputIteratorIllEEPS6_NSA_22TransformInputIteratorIb7NonZeroIfEPflEENS0_5tupleIJPlS6_EEENSJ_IJSD_SD_EEES6_SK_JS6_EEE10hipError_tPvRmT3_T4_T5_T6_T7_T9_mT8_P12ihipStream_tbDpT10_ENKUlT_T0_E_clISt17integral_constantIbLb0EES15_IbLb1EEEEDaS11_S12_EUlS11_E_NS1_11comp_targetILNS1_3genE8ELNS1_11target_archE1030ELNS1_3gpuE2ELNS1_3repE0EEENS1_30default_config_static_selectorELNS0_4arch9wavefront6targetE1EEEvT1_
    .private_segment_fixed_size: 0
    .sgpr_count:     4
    .sgpr_spill_count: 0
    .symbol:         _ZN7rocprim17ROCPRIM_400000_NS6detail17trampoline_kernelINS0_14default_configENS1_25partition_config_selectorILNS1_17partition_subalgoE5ElNS0_10empty_typeEbEEZZNS1_14partition_implILS5_5ELb0ES3_mN6hipcub16HIPCUB_304000_NS21CountingInputIteratorIllEEPS6_NSA_22TransformInputIteratorIb7NonZeroIfEPflEENS0_5tupleIJPlS6_EEENSJ_IJSD_SD_EEES6_SK_JS6_EEE10hipError_tPvRmT3_T4_T5_T6_T7_T9_mT8_P12ihipStream_tbDpT10_ENKUlT_T0_E_clISt17integral_constantIbLb0EES15_IbLb1EEEEDaS11_S12_EUlS11_E_NS1_11comp_targetILNS1_3genE8ELNS1_11target_archE1030ELNS1_3gpuE2ELNS1_3repE0EEENS1_30default_config_static_selectorELNS0_4arch9wavefront6targetE1EEEvT1_.kd
    .uniform_work_group_size: 1
    .uses_dynamic_stack: false
    .vgpr_count:     0
    .vgpr_spill_count: 0
    .wavefront_size: 64
  - .args:
      - .offset:         0
        .size:           64
        .value_kind:     by_value
    .group_segment_fixed_size: 0
    .kernarg_segment_align: 8
    .kernarg_segment_size: 64
    .language:       OpenCL C
    .language_version:
      - 2
      - 0
    .max_flat_workgroup_size: 256
    .name:           _ZN7rocprim17ROCPRIM_400000_NS6detail17trampoline_kernelINS0_14default_configENS1_22reduce_config_selectorIlEEZNS1_11reduce_implILb1ES3_PlS7_lN6hipcub16HIPCUB_304000_NS6detail34convert_binary_result_type_wrapperINS9_3SumENS9_22TransformInputIteratorIb7NonZeroIdEPdlEElEEEE10hipError_tPvRmT1_T2_T3_mT4_P12ihipStream_tbEUlT_E0_NS1_11comp_targetILNS1_3genE0ELNS1_11target_archE4294967295ELNS1_3gpuE0ELNS1_3repE0EEENS1_30default_config_static_selectorELNS0_4arch9wavefront6targetE1EEEvSM_
    .private_segment_fixed_size: 0
    .sgpr_count:     4
    .sgpr_spill_count: 0
    .symbol:         _ZN7rocprim17ROCPRIM_400000_NS6detail17trampoline_kernelINS0_14default_configENS1_22reduce_config_selectorIlEEZNS1_11reduce_implILb1ES3_PlS7_lN6hipcub16HIPCUB_304000_NS6detail34convert_binary_result_type_wrapperINS9_3SumENS9_22TransformInputIteratorIb7NonZeroIdEPdlEElEEEE10hipError_tPvRmT1_T2_T3_mT4_P12ihipStream_tbEUlT_E0_NS1_11comp_targetILNS1_3genE0ELNS1_11target_archE4294967295ELNS1_3gpuE0ELNS1_3repE0EEENS1_30default_config_static_selectorELNS0_4arch9wavefront6targetE1EEEvSM_.kd
    .uniform_work_group_size: 1
    .uses_dynamic_stack: false
    .vgpr_count:     0
    .vgpr_spill_count: 0
    .wavefront_size: 64
  - .args:
      - .offset:         0
        .size:           64
        .value_kind:     by_value
    .group_segment_fixed_size: 0
    .kernarg_segment_align: 8
    .kernarg_segment_size: 64
    .language:       OpenCL C
    .language_version:
      - 2
      - 0
    .max_flat_workgroup_size: 256
    .name:           _ZN7rocprim17ROCPRIM_400000_NS6detail17trampoline_kernelINS0_14default_configENS1_22reduce_config_selectorIlEEZNS1_11reduce_implILb1ES3_PlS7_lN6hipcub16HIPCUB_304000_NS6detail34convert_binary_result_type_wrapperINS9_3SumENS9_22TransformInputIteratorIb7NonZeroIdEPdlEElEEEE10hipError_tPvRmT1_T2_T3_mT4_P12ihipStream_tbEUlT_E0_NS1_11comp_targetILNS1_3genE5ELNS1_11target_archE942ELNS1_3gpuE9ELNS1_3repE0EEENS1_30default_config_static_selectorELNS0_4arch9wavefront6targetE1EEEvSM_
    .private_segment_fixed_size: 0
    .sgpr_count:     4
    .sgpr_spill_count: 0
    .symbol:         _ZN7rocprim17ROCPRIM_400000_NS6detail17trampoline_kernelINS0_14default_configENS1_22reduce_config_selectorIlEEZNS1_11reduce_implILb1ES3_PlS7_lN6hipcub16HIPCUB_304000_NS6detail34convert_binary_result_type_wrapperINS9_3SumENS9_22TransformInputIteratorIb7NonZeroIdEPdlEElEEEE10hipError_tPvRmT1_T2_T3_mT4_P12ihipStream_tbEUlT_E0_NS1_11comp_targetILNS1_3genE5ELNS1_11target_archE942ELNS1_3gpuE9ELNS1_3repE0EEENS1_30default_config_static_selectorELNS0_4arch9wavefront6targetE1EEEvSM_.kd
    .uniform_work_group_size: 1
    .uses_dynamic_stack: false
    .vgpr_count:     0
    .vgpr_spill_count: 0
    .wavefront_size: 64
  - .args:
      - .offset:         0
        .size:           64
        .value_kind:     by_value
    .group_segment_fixed_size: 0
    .kernarg_segment_align: 8
    .kernarg_segment_size: 64
    .language:       OpenCL C
    .language_version:
      - 2
      - 0
    .max_flat_workgroup_size: 256
    .name:           _ZN7rocprim17ROCPRIM_400000_NS6detail17trampoline_kernelINS0_14default_configENS1_22reduce_config_selectorIlEEZNS1_11reduce_implILb1ES3_PlS7_lN6hipcub16HIPCUB_304000_NS6detail34convert_binary_result_type_wrapperINS9_3SumENS9_22TransformInputIteratorIb7NonZeroIdEPdlEElEEEE10hipError_tPvRmT1_T2_T3_mT4_P12ihipStream_tbEUlT_E0_NS1_11comp_targetILNS1_3genE4ELNS1_11target_archE910ELNS1_3gpuE8ELNS1_3repE0EEENS1_30default_config_static_selectorELNS0_4arch9wavefront6targetE1EEEvSM_
    .private_segment_fixed_size: 0
    .sgpr_count:     4
    .sgpr_spill_count: 0
    .symbol:         _ZN7rocprim17ROCPRIM_400000_NS6detail17trampoline_kernelINS0_14default_configENS1_22reduce_config_selectorIlEEZNS1_11reduce_implILb1ES3_PlS7_lN6hipcub16HIPCUB_304000_NS6detail34convert_binary_result_type_wrapperINS9_3SumENS9_22TransformInputIteratorIb7NonZeroIdEPdlEElEEEE10hipError_tPvRmT1_T2_T3_mT4_P12ihipStream_tbEUlT_E0_NS1_11comp_targetILNS1_3genE4ELNS1_11target_archE910ELNS1_3gpuE8ELNS1_3repE0EEENS1_30default_config_static_selectorELNS0_4arch9wavefront6targetE1EEEvSM_.kd
    .uniform_work_group_size: 1
    .uses_dynamic_stack: false
    .vgpr_count:     0
    .vgpr_spill_count: 0
    .wavefront_size: 64
  - .args:
      - .offset:         0
        .size:           64
        .value_kind:     by_value
    .group_segment_fixed_size: 0
    .kernarg_segment_align: 8
    .kernarg_segment_size: 64
    .language:       OpenCL C
    .language_version:
      - 2
      - 0
    .max_flat_workgroup_size: 256
    .name:           _ZN7rocprim17ROCPRIM_400000_NS6detail17trampoline_kernelINS0_14default_configENS1_22reduce_config_selectorIlEEZNS1_11reduce_implILb1ES3_PlS7_lN6hipcub16HIPCUB_304000_NS6detail34convert_binary_result_type_wrapperINS9_3SumENS9_22TransformInputIteratorIb7NonZeroIdEPdlEElEEEE10hipError_tPvRmT1_T2_T3_mT4_P12ihipStream_tbEUlT_E0_NS1_11comp_targetILNS1_3genE3ELNS1_11target_archE908ELNS1_3gpuE7ELNS1_3repE0EEENS1_30default_config_static_selectorELNS0_4arch9wavefront6targetE1EEEvSM_
    .private_segment_fixed_size: 0
    .sgpr_count:     4
    .sgpr_spill_count: 0
    .symbol:         _ZN7rocprim17ROCPRIM_400000_NS6detail17trampoline_kernelINS0_14default_configENS1_22reduce_config_selectorIlEEZNS1_11reduce_implILb1ES3_PlS7_lN6hipcub16HIPCUB_304000_NS6detail34convert_binary_result_type_wrapperINS9_3SumENS9_22TransformInputIteratorIb7NonZeroIdEPdlEElEEEE10hipError_tPvRmT1_T2_T3_mT4_P12ihipStream_tbEUlT_E0_NS1_11comp_targetILNS1_3genE3ELNS1_11target_archE908ELNS1_3gpuE7ELNS1_3repE0EEENS1_30default_config_static_selectorELNS0_4arch9wavefront6targetE1EEEvSM_.kd
    .uniform_work_group_size: 1
    .uses_dynamic_stack: false
    .vgpr_count:     0
    .vgpr_spill_count: 0
    .wavefront_size: 64
  - .args:
      - .offset:         0
        .size:           64
        .value_kind:     by_value
    .group_segment_fixed_size: 64
    .kernarg_segment_align: 8
    .kernarg_segment_size: 64
    .language:       OpenCL C
    .language_version:
      - 2
      - 0
    .max_flat_workgroup_size: 256
    .name:           _ZN7rocprim17ROCPRIM_400000_NS6detail17trampoline_kernelINS0_14default_configENS1_22reduce_config_selectorIlEEZNS1_11reduce_implILb1ES3_PlS7_lN6hipcub16HIPCUB_304000_NS6detail34convert_binary_result_type_wrapperINS9_3SumENS9_22TransformInputIteratorIb7NonZeroIdEPdlEElEEEE10hipError_tPvRmT1_T2_T3_mT4_P12ihipStream_tbEUlT_E0_NS1_11comp_targetILNS1_3genE2ELNS1_11target_archE906ELNS1_3gpuE6ELNS1_3repE0EEENS1_30default_config_static_selectorELNS0_4arch9wavefront6targetE1EEEvSM_
    .private_segment_fixed_size: 0
    .sgpr_count:     24
    .sgpr_spill_count: 0
    .symbol:         _ZN7rocprim17ROCPRIM_400000_NS6detail17trampoline_kernelINS0_14default_configENS1_22reduce_config_selectorIlEEZNS1_11reduce_implILb1ES3_PlS7_lN6hipcub16HIPCUB_304000_NS6detail34convert_binary_result_type_wrapperINS9_3SumENS9_22TransformInputIteratorIb7NonZeroIdEPdlEElEEEE10hipError_tPvRmT1_T2_T3_mT4_P12ihipStream_tbEUlT_E0_NS1_11comp_targetILNS1_3genE2ELNS1_11target_archE906ELNS1_3gpuE6ELNS1_3repE0EEENS1_30default_config_static_selectorELNS0_4arch9wavefront6targetE1EEEvSM_.kd
    .uniform_work_group_size: 1
    .uses_dynamic_stack: false
    .vgpr_count:     11
    .vgpr_spill_count: 0
    .wavefront_size: 64
  - .args:
      - .offset:         0
        .size:           64
        .value_kind:     by_value
    .group_segment_fixed_size: 0
    .kernarg_segment_align: 8
    .kernarg_segment_size: 64
    .language:       OpenCL C
    .language_version:
      - 2
      - 0
    .max_flat_workgroup_size: 256
    .name:           _ZN7rocprim17ROCPRIM_400000_NS6detail17trampoline_kernelINS0_14default_configENS1_22reduce_config_selectorIlEEZNS1_11reduce_implILb1ES3_PlS7_lN6hipcub16HIPCUB_304000_NS6detail34convert_binary_result_type_wrapperINS9_3SumENS9_22TransformInputIteratorIb7NonZeroIdEPdlEElEEEE10hipError_tPvRmT1_T2_T3_mT4_P12ihipStream_tbEUlT_E0_NS1_11comp_targetILNS1_3genE10ELNS1_11target_archE1201ELNS1_3gpuE5ELNS1_3repE0EEENS1_30default_config_static_selectorELNS0_4arch9wavefront6targetE1EEEvSM_
    .private_segment_fixed_size: 0
    .sgpr_count:     4
    .sgpr_spill_count: 0
    .symbol:         _ZN7rocprim17ROCPRIM_400000_NS6detail17trampoline_kernelINS0_14default_configENS1_22reduce_config_selectorIlEEZNS1_11reduce_implILb1ES3_PlS7_lN6hipcub16HIPCUB_304000_NS6detail34convert_binary_result_type_wrapperINS9_3SumENS9_22TransformInputIteratorIb7NonZeroIdEPdlEElEEEE10hipError_tPvRmT1_T2_T3_mT4_P12ihipStream_tbEUlT_E0_NS1_11comp_targetILNS1_3genE10ELNS1_11target_archE1201ELNS1_3gpuE5ELNS1_3repE0EEENS1_30default_config_static_selectorELNS0_4arch9wavefront6targetE1EEEvSM_.kd
    .uniform_work_group_size: 1
    .uses_dynamic_stack: false
    .vgpr_count:     0
    .vgpr_spill_count: 0
    .wavefront_size: 64
  - .args:
      - .offset:         0
        .size:           64
        .value_kind:     by_value
    .group_segment_fixed_size: 0
    .kernarg_segment_align: 8
    .kernarg_segment_size: 64
    .language:       OpenCL C
    .language_version:
      - 2
      - 0
    .max_flat_workgroup_size: 256
    .name:           _ZN7rocprim17ROCPRIM_400000_NS6detail17trampoline_kernelINS0_14default_configENS1_22reduce_config_selectorIlEEZNS1_11reduce_implILb1ES3_PlS7_lN6hipcub16HIPCUB_304000_NS6detail34convert_binary_result_type_wrapperINS9_3SumENS9_22TransformInputIteratorIb7NonZeroIdEPdlEElEEEE10hipError_tPvRmT1_T2_T3_mT4_P12ihipStream_tbEUlT_E0_NS1_11comp_targetILNS1_3genE10ELNS1_11target_archE1200ELNS1_3gpuE4ELNS1_3repE0EEENS1_30default_config_static_selectorELNS0_4arch9wavefront6targetE1EEEvSM_
    .private_segment_fixed_size: 0
    .sgpr_count:     4
    .sgpr_spill_count: 0
    .symbol:         _ZN7rocprim17ROCPRIM_400000_NS6detail17trampoline_kernelINS0_14default_configENS1_22reduce_config_selectorIlEEZNS1_11reduce_implILb1ES3_PlS7_lN6hipcub16HIPCUB_304000_NS6detail34convert_binary_result_type_wrapperINS9_3SumENS9_22TransformInputIteratorIb7NonZeroIdEPdlEElEEEE10hipError_tPvRmT1_T2_T3_mT4_P12ihipStream_tbEUlT_E0_NS1_11comp_targetILNS1_3genE10ELNS1_11target_archE1200ELNS1_3gpuE4ELNS1_3repE0EEENS1_30default_config_static_selectorELNS0_4arch9wavefront6targetE1EEEvSM_.kd
    .uniform_work_group_size: 1
    .uses_dynamic_stack: false
    .vgpr_count:     0
    .vgpr_spill_count: 0
    .wavefront_size: 64
  - .args:
      - .offset:         0
        .size:           64
        .value_kind:     by_value
    .group_segment_fixed_size: 0
    .kernarg_segment_align: 8
    .kernarg_segment_size: 64
    .language:       OpenCL C
    .language_version:
      - 2
      - 0
    .max_flat_workgroup_size: 256
    .name:           _ZN7rocprim17ROCPRIM_400000_NS6detail17trampoline_kernelINS0_14default_configENS1_22reduce_config_selectorIlEEZNS1_11reduce_implILb1ES3_PlS7_lN6hipcub16HIPCUB_304000_NS6detail34convert_binary_result_type_wrapperINS9_3SumENS9_22TransformInputIteratorIb7NonZeroIdEPdlEElEEEE10hipError_tPvRmT1_T2_T3_mT4_P12ihipStream_tbEUlT_E0_NS1_11comp_targetILNS1_3genE9ELNS1_11target_archE1100ELNS1_3gpuE3ELNS1_3repE0EEENS1_30default_config_static_selectorELNS0_4arch9wavefront6targetE1EEEvSM_
    .private_segment_fixed_size: 0
    .sgpr_count:     4
    .sgpr_spill_count: 0
    .symbol:         _ZN7rocprim17ROCPRIM_400000_NS6detail17trampoline_kernelINS0_14default_configENS1_22reduce_config_selectorIlEEZNS1_11reduce_implILb1ES3_PlS7_lN6hipcub16HIPCUB_304000_NS6detail34convert_binary_result_type_wrapperINS9_3SumENS9_22TransformInputIteratorIb7NonZeroIdEPdlEElEEEE10hipError_tPvRmT1_T2_T3_mT4_P12ihipStream_tbEUlT_E0_NS1_11comp_targetILNS1_3genE9ELNS1_11target_archE1100ELNS1_3gpuE3ELNS1_3repE0EEENS1_30default_config_static_selectorELNS0_4arch9wavefront6targetE1EEEvSM_.kd
    .uniform_work_group_size: 1
    .uses_dynamic_stack: false
    .vgpr_count:     0
    .vgpr_spill_count: 0
    .wavefront_size: 64
  - .args:
      - .offset:         0
        .size:           64
        .value_kind:     by_value
    .group_segment_fixed_size: 0
    .kernarg_segment_align: 8
    .kernarg_segment_size: 64
    .language:       OpenCL C
    .language_version:
      - 2
      - 0
    .max_flat_workgroup_size: 256
    .name:           _ZN7rocprim17ROCPRIM_400000_NS6detail17trampoline_kernelINS0_14default_configENS1_22reduce_config_selectorIlEEZNS1_11reduce_implILb1ES3_PlS7_lN6hipcub16HIPCUB_304000_NS6detail34convert_binary_result_type_wrapperINS9_3SumENS9_22TransformInputIteratorIb7NonZeroIdEPdlEElEEEE10hipError_tPvRmT1_T2_T3_mT4_P12ihipStream_tbEUlT_E0_NS1_11comp_targetILNS1_3genE8ELNS1_11target_archE1030ELNS1_3gpuE2ELNS1_3repE0EEENS1_30default_config_static_selectorELNS0_4arch9wavefront6targetE1EEEvSM_
    .private_segment_fixed_size: 0
    .sgpr_count:     4
    .sgpr_spill_count: 0
    .symbol:         _ZN7rocprim17ROCPRIM_400000_NS6detail17trampoline_kernelINS0_14default_configENS1_22reduce_config_selectorIlEEZNS1_11reduce_implILb1ES3_PlS7_lN6hipcub16HIPCUB_304000_NS6detail34convert_binary_result_type_wrapperINS9_3SumENS9_22TransformInputIteratorIb7NonZeroIdEPdlEElEEEE10hipError_tPvRmT1_T2_T3_mT4_P12ihipStream_tbEUlT_E0_NS1_11comp_targetILNS1_3genE8ELNS1_11target_archE1030ELNS1_3gpuE2ELNS1_3repE0EEENS1_30default_config_static_selectorELNS0_4arch9wavefront6targetE1EEEvSM_.kd
    .uniform_work_group_size: 1
    .uses_dynamic_stack: false
    .vgpr_count:     0
    .vgpr_spill_count: 0
    .wavefront_size: 64
  - .args:
      - .offset:         0
        .size:           48
        .value_kind:     by_value
    .group_segment_fixed_size: 0
    .kernarg_segment_align: 8
    .kernarg_segment_size: 48
    .language:       OpenCL C
    .language_version:
      - 2
      - 0
    .max_flat_workgroup_size: 256
    .name:           _ZN7rocprim17ROCPRIM_400000_NS6detail17trampoline_kernelINS0_14default_configENS1_22reduce_config_selectorIlEEZNS1_11reduce_implILb1ES3_PlS7_lN6hipcub16HIPCUB_304000_NS6detail34convert_binary_result_type_wrapperINS9_3SumENS9_22TransformInputIteratorIb7NonZeroIdEPdlEElEEEE10hipError_tPvRmT1_T2_T3_mT4_P12ihipStream_tbEUlT_E1_NS1_11comp_targetILNS1_3genE0ELNS1_11target_archE4294967295ELNS1_3gpuE0ELNS1_3repE0EEENS1_30default_config_static_selectorELNS0_4arch9wavefront6targetE1EEEvSM_
    .private_segment_fixed_size: 0
    .sgpr_count:     4
    .sgpr_spill_count: 0
    .symbol:         _ZN7rocprim17ROCPRIM_400000_NS6detail17trampoline_kernelINS0_14default_configENS1_22reduce_config_selectorIlEEZNS1_11reduce_implILb1ES3_PlS7_lN6hipcub16HIPCUB_304000_NS6detail34convert_binary_result_type_wrapperINS9_3SumENS9_22TransformInputIteratorIb7NonZeroIdEPdlEElEEEE10hipError_tPvRmT1_T2_T3_mT4_P12ihipStream_tbEUlT_E1_NS1_11comp_targetILNS1_3genE0ELNS1_11target_archE4294967295ELNS1_3gpuE0ELNS1_3repE0EEENS1_30default_config_static_selectorELNS0_4arch9wavefront6targetE1EEEvSM_.kd
    .uniform_work_group_size: 1
    .uses_dynamic_stack: false
    .vgpr_count:     0
    .vgpr_spill_count: 0
    .wavefront_size: 64
  - .args:
      - .offset:         0
        .size:           48
        .value_kind:     by_value
    .group_segment_fixed_size: 0
    .kernarg_segment_align: 8
    .kernarg_segment_size: 48
    .language:       OpenCL C
    .language_version:
      - 2
      - 0
    .max_flat_workgroup_size: 256
    .name:           _ZN7rocprim17ROCPRIM_400000_NS6detail17trampoline_kernelINS0_14default_configENS1_22reduce_config_selectorIlEEZNS1_11reduce_implILb1ES3_PlS7_lN6hipcub16HIPCUB_304000_NS6detail34convert_binary_result_type_wrapperINS9_3SumENS9_22TransformInputIteratorIb7NonZeroIdEPdlEElEEEE10hipError_tPvRmT1_T2_T3_mT4_P12ihipStream_tbEUlT_E1_NS1_11comp_targetILNS1_3genE5ELNS1_11target_archE942ELNS1_3gpuE9ELNS1_3repE0EEENS1_30default_config_static_selectorELNS0_4arch9wavefront6targetE1EEEvSM_
    .private_segment_fixed_size: 0
    .sgpr_count:     4
    .sgpr_spill_count: 0
    .symbol:         _ZN7rocprim17ROCPRIM_400000_NS6detail17trampoline_kernelINS0_14default_configENS1_22reduce_config_selectorIlEEZNS1_11reduce_implILb1ES3_PlS7_lN6hipcub16HIPCUB_304000_NS6detail34convert_binary_result_type_wrapperINS9_3SumENS9_22TransformInputIteratorIb7NonZeroIdEPdlEElEEEE10hipError_tPvRmT1_T2_T3_mT4_P12ihipStream_tbEUlT_E1_NS1_11comp_targetILNS1_3genE5ELNS1_11target_archE942ELNS1_3gpuE9ELNS1_3repE0EEENS1_30default_config_static_selectorELNS0_4arch9wavefront6targetE1EEEvSM_.kd
    .uniform_work_group_size: 1
    .uses_dynamic_stack: false
    .vgpr_count:     0
    .vgpr_spill_count: 0
    .wavefront_size: 64
  - .args:
      - .offset:         0
        .size:           48
        .value_kind:     by_value
    .group_segment_fixed_size: 0
    .kernarg_segment_align: 8
    .kernarg_segment_size: 48
    .language:       OpenCL C
    .language_version:
      - 2
      - 0
    .max_flat_workgroup_size: 256
    .name:           _ZN7rocprim17ROCPRIM_400000_NS6detail17trampoline_kernelINS0_14default_configENS1_22reduce_config_selectorIlEEZNS1_11reduce_implILb1ES3_PlS7_lN6hipcub16HIPCUB_304000_NS6detail34convert_binary_result_type_wrapperINS9_3SumENS9_22TransformInputIteratorIb7NonZeroIdEPdlEElEEEE10hipError_tPvRmT1_T2_T3_mT4_P12ihipStream_tbEUlT_E1_NS1_11comp_targetILNS1_3genE4ELNS1_11target_archE910ELNS1_3gpuE8ELNS1_3repE0EEENS1_30default_config_static_selectorELNS0_4arch9wavefront6targetE1EEEvSM_
    .private_segment_fixed_size: 0
    .sgpr_count:     4
    .sgpr_spill_count: 0
    .symbol:         _ZN7rocprim17ROCPRIM_400000_NS6detail17trampoline_kernelINS0_14default_configENS1_22reduce_config_selectorIlEEZNS1_11reduce_implILb1ES3_PlS7_lN6hipcub16HIPCUB_304000_NS6detail34convert_binary_result_type_wrapperINS9_3SumENS9_22TransformInputIteratorIb7NonZeroIdEPdlEElEEEE10hipError_tPvRmT1_T2_T3_mT4_P12ihipStream_tbEUlT_E1_NS1_11comp_targetILNS1_3genE4ELNS1_11target_archE910ELNS1_3gpuE8ELNS1_3repE0EEENS1_30default_config_static_selectorELNS0_4arch9wavefront6targetE1EEEvSM_.kd
    .uniform_work_group_size: 1
    .uses_dynamic_stack: false
    .vgpr_count:     0
    .vgpr_spill_count: 0
    .wavefront_size: 64
  - .args:
      - .offset:         0
        .size:           48
        .value_kind:     by_value
    .group_segment_fixed_size: 0
    .kernarg_segment_align: 8
    .kernarg_segment_size: 48
    .language:       OpenCL C
    .language_version:
      - 2
      - 0
    .max_flat_workgroup_size: 256
    .name:           _ZN7rocprim17ROCPRIM_400000_NS6detail17trampoline_kernelINS0_14default_configENS1_22reduce_config_selectorIlEEZNS1_11reduce_implILb1ES3_PlS7_lN6hipcub16HIPCUB_304000_NS6detail34convert_binary_result_type_wrapperINS9_3SumENS9_22TransformInputIteratorIb7NonZeroIdEPdlEElEEEE10hipError_tPvRmT1_T2_T3_mT4_P12ihipStream_tbEUlT_E1_NS1_11comp_targetILNS1_3genE3ELNS1_11target_archE908ELNS1_3gpuE7ELNS1_3repE0EEENS1_30default_config_static_selectorELNS0_4arch9wavefront6targetE1EEEvSM_
    .private_segment_fixed_size: 0
    .sgpr_count:     4
    .sgpr_spill_count: 0
    .symbol:         _ZN7rocprim17ROCPRIM_400000_NS6detail17trampoline_kernelINS0_14default_configENS1_22reduce_config_selectorIlEEZNS1_11reduce_implILb1ES3_PlS7_lN6hipcub16HIPCUB_304000_NS6detail34convert_binary_result_type_wrapperINS9_3SumENS9_22TransformInputIteratorIb7NonZeroIdEPdlEElEEEE10hipError_tPvRmT1_T2_T3_mT4_P12ihipStream_tbEUlT_E1_NS1_11comp_targetILNS1_3genE3ELNS1_11target_archE908ELNS1_3gpuE7ELNS1_3repE0EEENS1_30default_config_static_selectorELNS0_4arch9wavefront6targetE1EEEvSM_.kd
    .uniform_work_group_size: 1
    .uses_dynamic_stack: false
    .vgpr_count:     0
    .vgpr_spill_count: 0
    .wavefront_size: 64
  - .args:
      - .offset:         0
        .size:           48
        .value_kind:     by_value
    .group_segment_fixed_size: 192
    .kernarg_segment_align: 8
    .kernarg_segment_size: 48
    .language:       OpenCL C
    .language_version:
      - 2
      - 0
    .max_flat_workgroup_size: 256
    .name:           _ZN7rocprim17ROCPRIM_400000_NS6detail17trampoline_kernelINS0_14default_configENS1_22reduce_config_selectorIlEEZNS1_11reduce_implILb1ES3_PlS7_lN6hipcub16HIPCUB_304000_NS6detail34convert_binary_result_type_wrapperINS9_3SumENS9_22TransformInputIteratorIb7NonZeroIdEPdlEElEEEE10hipError_tPvRmT1_T2_T3_mT4_P12ihipStream_tbEUlT_E1_NS1_11comp_targetILNS1_3genE2ELNS1_11target_archE906ELNS1_3gpuE6ELNS1_3repE0EEENS1_30default_config_static_selectorELNS0_4arch9wavefront6targetE1EEEvSM_
    .private_segment_fixed_size: 0
    .sgpr_count:     32
    .sgpr_spill_count: 0
    .symbol:         _ZN7rocprim17ROCPRIM_400000_NS6detail17trampoline_kernelINS0_14default_configENS1_22reduce_config_selectorIlEEZNS1_11reduce_implILb1ES3_PlS7_lN6hipcub16HIPCUB_304000_NS6detail34convert_binary_result_type_wrapperINS9_3SumENS9_22TransformInputIteratorIb7NonZeroIdEPdlEElEEEE10hipError_tPvRmT1_T2_T3_mT4_P12ihipStream_tbEUlT_E1_NS1_11comp_targetILNS1_3genE2ELNS1_11target_archE906ELNS1_3gpuE6ELNS1_3repE0EEENS1_30default_config_static_selectorELNS0_4arch9wavefront6targetE1EEEvSM_.kd
    .uniform_work_group_size: 1
    .uses_dynamic_stack: false
    .vgpr_count:     34
    .vgpr_spill_count: 0
    .wavefront_size: 64
  - .args:
      - .offset:         0
        .size:           48
        .value_kind:     by_value
    .group_segment_fixed_size: 0
    .kernarg_segment_align: 8
    .kernarg_segment_size: 48
    .language:       OpenCL C
    .language_version:
      - 2
      - 0
    .max_flat_workgroup_size: 256
    .name:           _ZN7rocprim17ROCPRIM_400000_NS6detail17trampoline_kernelINS0_14default_configENS1_22reduce_config_selectorIlEEZNS1_11reduce_implILb1ES3_PlS7_lN6hipcub16HIPCUB_304000_NS6detail34convert_binary_result_type_wrapperINS9_3SumENS9_22TransformInputIteratorIb7NonZeroIdEPdlEElEEEE10hipError_tPvRmT1_T2_T3_mT4_P12ihipStream_tbEUlT_E1_NS1_11comp_targetILNS1_3genE10ELNS1_11target_archE1201ELNS1_3gpuE5ELNS1_3repE0EEENS1_30default_config_static_selectorELNS0_4arch9wavefront6targetE1EEEvSM_
    .private_segment_fixed_size: 0
    .sgpr_count:     4
    .sgpr_spill_count: 0
    .symbol:         _ZN7rocprim17ROCPRIM_400000_NS6detail17trampoline_kernelINS0_14default_configENS1_22reduce_config_selectorIlEEZNS1_11reduce_implILb1ES3_PlS7_lN6hipcub16HIPCUB_304000_NS6detail34convert_binary_result_type_wrapperINS9_3SumENS9_22TransformInputIteratorIb7NonZeroIdEPdlEElEEEE10hipError_tPvRmT1_T2_T3_mT4_P12ihipStream_tbEUlT_E1_NS1_11comp_targetILNS1_3genE10ELNS1_11target_archE1201ELNS1_3gpuE5ELNS1_3repE0EEENS1_30default_config_static_selectorELNS0_4arch9wavefront6targetE1EEEvSM_.kd
    .uniform_work_group_size: 1
    .uses_dynamic_stack: false
    .vgpr_count:     0
    .vgpr_spill_count: 0
    .wavefront_size: 64
  - .args:
      - .offset:         0
        .size:           48
        .value_kind:     by_value
    .group_segment_fixed_size: 0
    .kernarg_segment_align: 8
    .kernarg_segment_size: 48
    .language:       OpenCL C
    .language_version:
      - 2
      - 0
    .max_flat_workgroup_size: 256
    .name:           _ZN7rocprim17ROCPRIM_400000_NS6detail17trampoline_kernelINS0_14default_configENS1_22reduce_config_selectorIlEEZNS1_11reduce_implILb1ES3_PlS7_lN6hipcub16HIPCUB_304000_NS6detail34convert_binary_result_type_wrapperINS9_3SumENS9_22TransformInputIteratorIb7NonZeroIdEPdlEElEEEE10hipError_tPvRmT1_T2_T3_mT4_P12ihipStream_tbEUlT_E1_NS1_11comp_targetILNS1_3genE10ELNS1_11target_archE1200ELNS1_3gpuE4ELNS1_3repE0EEENS1_30default_config_static_selectorELNS0_4arch9wavefront6targetE1EEEvSM_
    .private_segment_fixed_size: 0
    .sgpr_count:     4
    .sgpr_spill_count: 0
    .symbol:         _ZN7rocprim17ROCPRIM_400000_NS6detail17trampoline_kernelINS0_14default_configENS1_22reduce_config_selectorIlEEZNS1_11reduce_implILb1ES3_PlS7_lN6hipcub16HIPCUB_304000_NS6detail34convert_binary_result_type_wrapperINS9_3SumENS9_22TransformInputIteratorIb7NonZeroIdEPdlEElEEEE10hipError_tPvRmT1_T2_T3_mT4_P12ihipStream_tbEUlT_E1_NS1_11comp_targetILNS1_3genE10ELNS1_11target_archE1200ELNS1_3gpuE4ELNS1_3repE0EEENS1_30default_config_static_selectorELNS0_4arch9wavefront6targetE1EEEvSM_.kd
    .uniform_work_group_size: 1
    .uses_dynamic_stack: false
    .vgpr_count:     0
    .vgpr_spill_count: 0
    .wavefront_size: 64
  - .args:
      - .offset:         0
        .size:           48
        .value_kind:     by_value
    .group_segment_fixed_size: 0
    .kernarg_segment_align: 8
    .kernarg_segment_size: 48
    .language:       OpenCL C
    .language_version:
      - 2
      - 0
    .max_flat_workgroup_size: 256
    .name:           _ZN7rocprim17ROCPRIM_400000_NS6detail17trampoline_kernelINS0_14default_configENS1_22reduce_config_selectorIlEEZNS1_11reduce_implILb1ES3_PlS7_lN6hipcub16HIPCUB_304000_NS6detail34convert_binary_result_type_wrapperINS9_3SumENS9_22TransformInputIteratorIb7NonZeroIdEPdlEElEEEE10hipError_tPvRmT1_T2_T3_mT4_P12ihipStream_tbEUlT_E1_NS1_11comp_targetILNS1_3genE9ELNS1_11target_archE1100ELNS1_3gpuE3ELNS1_3repE0EEENS1_30default_config_static_selectorELNS0_4arch9wavefront6targetE1EEEvSM_
    .private_segment_fixed_size: 0
    .sgpr_count:     4
    .sgpr_spill_count: 0
    .symbol:         _ZN7rocprim17ROCPRIM_400000_NS6detail17trampoline_kernelINS0_14default_configENS1_22reduce_config_selectorIlEEZNS1_11reduce_implILb1ES3_PlS7_lN6hipcub16HIPCUB_304000_NS6detail34convert_binary_result_type_wrapperINS9_3SumENS9_22TransformInputIteratorIb7NonZeroIdEPdlEElEEEE10hipError_tPvRmT1_T2_T3_mT4_P12ihipStream_tbEUlT_E1_NS1_11comp_targetILNS1_3genE9ELNS1_11target_archE1100ELNS1_3gpuE3ELNS1_3repE0EEENS1_30default_config_static_selectorELNS0_4arch9wavefront6targetE1EEEvSM_.kd
    .uniform_work_group_size: 1
    .uses_dynamic_stack: false
    .vgpr_count:     0
    .vgpr_spill_count: 0
    .wavefront_size: 64
  - .args:
      - .offset:         0
        .size:           48
        .value_kind:     by_value
    .group_segment_fixed_size: 0
    .kernarg_segment_align: 8
    .kernarg_segment_size: 48
    .language:       OpenCL C
    .language_version:
      - 2
      - 0
    .max_flat_workgroup_size: 256
    .name:           _ZN7rocprim17ROCPRIM_400000_NS6detail17trampoline_kernelINS0_14default_configENS1_22reduce_config_selectorIlEEZNS1_11reduce_implILb1ES3_PlS7_lN6hipcub16HIPCUB_304000_NS6detail34convert_binary_result_type_wrapperINS9_3SumENS9_22TransformInputIteratorIb7NonZeroIdEPdlEElEEEE10hipError_tPvRmT1_T2_T3_mT4_P12ihipStream_tbEUlT_E1_NS1_11comp_targetILNS1_3genE8ELNS1_11target_archE1030ELNS1_3gpuE2ELNS1_3repE0EEENS1_30default_config_static_selectorELNS0_4arch9wavefront6targetE1EEEvSM_
    .private_segment_fixed_size: 0
    .sgpr_count:     4
    .sgpr_spill_count: 0
    .symbol:         _ZN7rocprim17ROCPRIM_400000_NS6detail17trampoline_kernelINS0_14default_configENS1_22reduce_config_selectorIlEEZNS1_11reduce_implILb1ES3_PlS7_lN6hipcub16HIPCUB_304000_NS6detail34convert_binary_result_type_wrapperINS9_3SumENS9_22TransformInputIteratorIb7NonZeroIdEPdlEElEEEE10hipError_tPvRmT1_T2_T3_mT4_P12ihipStream_tbEUlT_E1_NS1_11comp_targetILNS1_3genE8ELNS1_11target_archE1030ELNS1_3gpuE2ELNS1_3repE0EEENS1_30default_config_static_selectorELNS0_4arch9wavefront6targetE1EEEvSM_.kd
    .uniform_work_group_size: 1
    .uses_dynamic_stack: false
    .vgpr_count:     0
    .vgpr_spill_count: 0
    .wavefront_size: 64
  - .args:
      - .offset:         0
        .size:           72
        .value_kind:     by_value
    .group_segment_fixed_size: 0
    .kernarg_segment_align: 8
    .kernarg_segment_size: 72
    .language:       OpenCL C
    .language_version:
      - 2
      - 0
    .max_flat_workgroup_size: 256
    .name:           _ZN7rocprim17ROCPRIM_400000_NS6detail17trampoline_kernelINS0_14default_configENS1_22reduce_config_selectorIbEEZNS1_11reduce_implILb1ES3_N6hipcub16HIPCUB_304000_NS22TransformInputIteratorIb7NonZeroIdEPdlEEPllNS8_6detail34convert_binary_result_type_wrapperINS8_3SumESD_lEEEE10hipError_tPvRmT1_T2_T3_mT4_P12ihipStream_tbEUlT_E0_NS1_11comp_targetILNS1_3genE0ELNS1_11target_archE4294967295ELNS1_3gpuE0ELNS1_3repE0EEENS1_30default_config_static_selectorELNS0_4arch9wavefront6targetE1EEEvSM_
    .private_segment_fixed_size: 0
    .sgpr_count:     4
    .sgpr_spill_count: 0
    .symbol:         _ZN7rocprim17ROCPRIM_400000_NS6detail17trampoline_kernelINS0_14default_configENS1_22reduce_config_selectorIbEEZNS1_11reduce_implILb1ES3_N6hipcub16HIPCUB_304000_NS22TransformInputIteratorIb7NonZeroIdEPdlEEPllNS8_6detail34convert_binary_result_type_wrapperINS8_3SumESD_lEEEE10hipError_tPvRmT1_T2_T3_mT4_P12ihipStream_tbEUlT_E0_NS1_11comp_targetILNS1_3genE0ELNS1_11target_archE4294967295ELNS1_3gpuE0ELNS1_3repE0EEENS1_30default_config_static_selectorELNS0_4arch9wavefront6targetE1EEEvSM_.kd
    .uniform_work_group_size: 1
    .uses_dynamic_stack: false
    .vgpr_count:     0
    .vgpr_spill_count: 0
    .wavefront_size: 64
  - .args:
      - .offset:         0
        .size:           72
        .value_kind:     by_value
    .group_segment_fixed_size: 0
    .kernarg_segment_align: 8
    .kernarg_segment_size: 72
    .language:       OpenCL C
    .language_version:
      - 2
      - 0
    .max_flat_workgroup_size: 256
    .name:           _ZN7rocprim17ROCPRIM_400000_NS6detail17trampoline_kernelINS0_14default_configENS1_22reduce_config_selectorIbEEZNS1_11reduce_implILb1ES3_N6hipcub16HIPCUB_304000_NS22TransformInputIteratorIb7NonZeroIdEPdlEEPllNS8_6detail34convert_binary_result_type_wrapperINS8_3SumESD_lEEEE10hipError_tPvRmT1_T2_T3_mT4_P12ihipStream_tbEUlT_E0_NS1_11comp_targetILNS1_3genE5ELNS1_11target_archE942ELNS1_3gpuE9ELNS1_3repE0EEENS1_30default_config_static_selectorELNS0_4arch9wavefront6targetE1EEEvSM_
    .private_segment_fixed_size: 0
    .sgpr_count:     4
    .sgpr_spill_count: 0
    .symbol:         _ZN7rocprim17ROCPRIM_400000_NS6detail17trampoline_kernelINS0_14default_configENS1_22reduce_config_selectorIbEEZNS1_11reduce_implILb1ES3_N6hipcub16HIPCUB_304000_NS22TransformInputIteratorIb7NonZeroIdEPdlEEPllNS8_6detail34convert_binary_result_type_wrapperINS8_3SumESD_lEEEE10hipError_tPvRmT1_T2_T3_mT4_P12ihipStream_tbEUlT_E0_NS1_11comp_targetILNS1_3genE5ELNS1_11target_archE942ELNS1_3gpuE9ELNS1_3repE0EEENS1_30default_config_static_selectorELNS0_4arch9wavefront6targetE1EEEvSM_.kd
    .uniform_work_group_size: 1
    .uses_dynamic_stack: false
    .vgpr_count:     0
    .vgpr_spill_count: 0
    .wavefront_size: 64
  - .args:
      - .offset:         0
        .size:           72
        .value_kind:     by_value
    .group_segment_fixed_size: 0
    .kernarg_segment_align: 8
    .kernarg_segment_size: 72
    .language:       OpenCL C
    .language_version:
      - 2
      - 0
    .max_flat_workgroup_size: 128
    .name:           _ZN7rocprim17ROCPRIM_400000_NS6detail17trampoline_kernelINS0_14default_configENS1_22reduce_config_selectorIbEEZNS1_11reduce_implILb1ES3_N6hipcub16HIPCUB_304000_NS22TransformInputIteratorIb7NonZeroIdEPdlEEPllNS8_6detail34convert_binary_result_type_wrapperINS8_3SumESD_lEEEE10hipError_tPvRmT1_T2_T3_mT4_P12ihipStream_tbEUlT_E0_NS1_11comp_targetILNS1_3genE4ELNS1_11target_archE910ELNS1_3gpuE8ELNS1_3repE0EEENS1_30default_config_static_selectorELNS0_4arch9wavefront6targetE1EEEvSM_
    .private_segment_fixed_size: 0
    .sgpr_count:     4
    .sgpr_spill_count: 0
    .symbol:         _ZN7rocprim17ROCPRIM_400000_NS6detail17trampoline_kernelINS0_14default_configENS1_22reduce_config_selectorIbEEZNS1_11reduce_implILb1ES3_N6hipcub16HIPCUB_304000_NS22TransformInputIteratorIb7NonZeroIdEPdlEEPllNS8_6detail34convert_binary_result_type_wrapperINS8_3SumESD_lEEEE10hipError_tPvRmT1_T2_T3_mT4_P12ihipStream_tbEUlT_E0_NS1_11comp_targetILNS1_3genE4ELNS1_11target_archE910ELNS1_3gpuE8ELNS1_3repE0EEENS1_30default_config_static_selectorELNS0_4arch9wavefront6targetE1EEEvSM_.kd
    .uniform_work_group_size: 1
    .uses_dynamic_stack: false
    .vgpr_count:     0
    .vgpr_spill_count: 0
    .wavefront_size: 64
  - .args:
      - .offset:         0
        .size:           72
        .value_kind:     by_value
    .group_segment_fixed_size: 0
    .kernarg_segment_align: 8
    .kernarg_segment_size: 72
    .language:       OpenCL C
    .language_version:
      - 2
      - 0
    .max_flat_workgroup_size: 256
    .name:           _ZN7rocprim17ROCPRIM_400000_NS6detail17trampoline_kernelINS0_14default_configENS1_22reduce_config_selectorIbEEZNS1_11reduce_implILb1ES3_N6hipcub16HIPCUB_304000_NS22TransformInputIteratorIb7NonZeroIdEPdlEEPllNS8_6detail34convert_binary_result_type_wrapperINS8_3SumESD_lEEEE10hipError_tPvRmT1_T2_T3_mT4_P12ihipStream_tbEUlT_E0_NS1_11comp_targetILNS1_3genE3ELNS1_11target_archE908ELNS1_3gpuE7ELNS1_3repE0EEENS1_30default_config_static_selectorELNS0_4arch9wavefront6targetE1EEEvSM_
    .private_segment_fixed_size: 0
    .sgpr_count:     4
    .sgpr_spill_count: 0
    .symbol:         _ZN7rocprim17ROCPRIM_400000_NS6detail17trampoline_kernelINS0_14default_configENS1_22reduce_config_selectorIbEEZNS1_11reduce_implILb1ES3_N6hipcub16HIPCUB_304000_NS22TransformInputIteratorIb7NonZeroIdEPdlEEPllNS8_6detail34convert_binary_result_type_wrapperINS8_3SumESD_lEEEE10hipError_tPvRmT1_T2_T3_mT4_P12ihipStream_tbEUlT_E0_NS1_11comp_targetILNS1_3genE3ELNS1_11target_archE908ELNS1_3gpuE7ELNS1_3repE0EEENS1_30default_config_static_selectorELNS0_4arch9wavefront6targetE1EEEvSM_.kd
    .uniform_work_group_size: 1
    .uses_dynamic_stack: false
    .vgpr_count:     0
    .vgpr_spill_count: 0
    .wavefront_size: 64
  - .args:
      - .offset:         0
        .size:           72
        .value_kind:     by_value
    .group_segment_fixed_size: 32
    .kernarg_segment_align: 8
    .kernarg_segment_size: 72
    .language:       OpenCL C
    .language_version:
      - 2
      - 0
    .max_flat_workgroup_size: 128
    .name:           _ZN7rocprim17ROCPRIM_400000_NS6detail17trampoline_kernelINS0_14default_configENS1_22reduce_config_selectorIbEEZNS1_11reduce_implILb1ES3_N6hipcub16HIPCUB_304000_NS22TransformInputIteratorIb7NonZeroIdEPdlEEPllNS8_6detail34convert_binary_result_type_wrapperINS8_3SumESD_lEEEE10hipError_tPvRmT1_T2_T3_mT4_P12ihipStream_tbEUlT_E0_NS1_11comp_targetILNS1_3genE2ELNS1_11target_archE906ELNS1_3gpuE6ELNS1_3repE0EEENS1_30default_config_static_selectorELNS0_4arch9wavefront6targetE1EEEvSM_
    .private_segment_fixed_size: 0
    .sgpr_count:     24
    .sgpr_spill_count: 0
    .symbol:         _ZN7rocprim17ROCPRIM_400000_NS6detail17trampoline_kernelINS0_14default_configENS1_22reduce_config_selectorIbEEZNS1_11reduce_implILb1ES3_N6hipcub16HIPCUB_304000_NS22TransformInputIteratorIb7NonZeroIdEPdlEEPllNS8_6detail34convert_binary_result_type_wrapperINS8_3SumESD_lEEEE10hipError_tPvRmT1_T2_T3_mT4_P12ihipStream_tbEUlT_E0_NS1_11comp_targetILNS1_3genE2ELNS1_11target_archE906ELNS1_3gpuE6ELNS1_3repE0EEENS1_30default_config_static_selectorELNS0_4arch9wavefront6targetE1EEEvSM_.kd
    .uniform_work_group_size: 1
    .uses_dynamic_stack: false
    .vgpr_count:     36
    .vgpr_spill_count: 0
    .wavefront_size: 64
  - .args:
      - .offset:         0
        .size:           72
        .value_kind:     by_value
    .group_segment_fixed_size: 0
    .kernarg_segment_align: 8
    .kernarg_segment_size: 72
    .language:       OpenCL C
    .language_version:
      - 2
      - 0
    .max_flat_workgroup_size: 256
    .name:           _ZN7rocprim17ROCPRIM_400000_NS6detail17trampoline_kernelINS0_14default_configENS1_22reduce_config_selectorIbEEZNS1_11reduce_implILb1ES3_N6hipcub16HIPCUB_304000_NS22TransformInputIteratorIb7NonZeroIdEPdlEEPllNS8_6detail34convert_binary_result_type_wrapperINS8_3SumESD_lEEEE10hipError_tPvRmT1_T2_T3_mT4_P12ihipStream_tbEUlT_E0_NS1_11comp_targetILNS1_3genE10ELNS1_11target_archE1201ELNS1_3gpuE5ELNS1_3repE0EEENS1_30default_config_static_selectorELNS0_4arch9wavefront6targetE1EEEvSM_
    .private_segment_fixed_size: 0
    .sgpr_count:     4
    .sgpr_spill_count: 0
    .symbol:         _ZN7rocprim17ROCPRIM_400000_NS6detail17trampoline_kernelINS0_14default_configENS1_22reduce_config_selectorIbEEZNS1_11reduce_implILb1ES3_N6hipcub16HIPCUB_304000_NS22TransformInputIteratorIb7NonZeroIdEPdlEEPllNS8_6detail34convert_binary_result_type_wrapperINS8_3SumESD_lEEEE10hipError_tPvRmT1_T2_T3_mT4_P12ihipStream_tbEUlT_E0_NS1_11comp_targetILNS1_3genE10ELNS1_11target_archE1201ELNS1_3gpuE5ELNS1_3repE0EEENS1_30default_config_static_selectorELNS0_4arch9wavefront6targetE1EEEvSM_.kd
    .uniform_work_group_size: 1
    .uses_dynamic_stack: false
    .vgpr_count:     0
    .vgpr_spill_count: 0
    .wavefront_size: 64
  - .args:
      - .offset:         0
        .size:           72
        .value_kind:     by_value
    .group_segment_fixed_size: 0
    .kernarg_segment_align: 8
    .kernarg_segment_size: 72
    .language:       OpenCL C
    .language_version:
      - 2
      - 0
    .max_flat_workgroup_size: 256
    .name:           _ZN7rocprim17ROCPRIM_400000_NS6detail17trampoline_kernelINS0_14default_configENS1_22reduce_config_selectorIbEEZNS1_11reduce_implILb1ES3_N6hipcub16HIPCUB_304000_NS22TransformInputIteratorIb7NonZeroIdEPdlEEPllNS8_6detail34convert_binary_result_type_wrapperINS8_3SumESD_lEEEE10hipError_tPvRmT1_T2_T3_mT4_P12ihipStream_tbEUlT_E0_NS1_11comp_targetILNS1_3genE10ELNS1_11target_archE1200ELNS1_3gpuE4ELNS1_3repE0EEENS1_30default_config_static_selectorELNS0_4arch9wavefront6targetE1EEEvSM_
    .private_segment_fixed_size: 0
    .sgpr_count:     4
    .sgpr_spill_count: 0
    .symbol:         _ZN7rocprim17ROCPRIM_400000_NS6detail17trampoline_kernelINS0_14default_configENS1_22reduce_config_selectorIbEEZNS1_11reduce_implILb1ES3_N6hipcub16HIPCUB_304000_NS22TransformInputIteratorIb7NonZeroIdEPdlEEPllNS8_6detail34convert_binary_result_type_wrapperINS8_3SumESD_lEEEE10hipError_tPvRmT1_T2_T3_mT4_P12ihipStream_tbEUlT_E0_NS1_11comp_targetILNS1_3genE10ELNS1_11target_archE1200ELNS1_3gpuE4ELNS1_3repE0EEENS1_30default_config_static_selectorELNS0_4arch9wavefront6targetE1EEEvSM_.kd
    .uniform_work_group_size: 1
    .uses_dynamic_stack: false
    .vgpr_count:     0
    .vgpr_spill_count: 0
    .wavefront_size: 64
  - .args:
      - .offset:         0
        .size:           72
        .value_kind:     by_value
    .group_segment_fixed_size: 0
    .kernarg_segment_align: 8
    .kernarg_segment_size: 72
    .language:       OpenCL C
    .language_version:
      - 2
      - 0
    .max_flat_workgroup_size: 128
    .name:           _ZN7rocprim17ROCPRIM_400000_NS6detail17trampoline_kernelINS0_14default_configENS1_22reduce_config_selectorIbEEZNS1_11reduce_implILb1ES3_N6hipcub16HIPCUB_304000_NS22TransformInputIteratorIb7NonZeroIdEPdlEEPllNS8_6detail34convert_binary_result_type_wrapperINS8_3SumESD_lEEEE10hipError_tPvRmT1_T2_T3_mT4_P12ihipStream_tbEUlT_E0_NS1_11comp_targetILNS1_3genE9ELNS1_11target_archE1100ELNS1_3gpuE3ELNS1_3repE0EEENS1_30default_config_static_selectorELNS0_4arch9wavefront6targetE1EEEvSM_
    .private_segment_fixed_size: 0
    .sgpr_count:     4
    .sgpr_spill_count: 0
    .symbol:         _ZN7rocprim17ROCPRIM_400000_NS6detail17trampoline_kernelINS0_14default_configENS1_22reduce_config_selectorIbEEZNS1_11reduce_implILb1ES3_N6hipcub16HIPCUB_304000_NS22TransformInputIteratorIb7NonZeroIdEPdlEEPllNS8_6detail34convert_binary_result_type_wrapperINS8_3SumESD_lEEEE10hipError_tPvRmT1_T2_T3_mT4_P12ihipStream_tbEUlT_E0_NS1_11comp_targetILNS1_3genE9ELNS1_11target_archE1100ELNS1_3gpuE3ELNS1_3repE0EEENS1_30default_config_static_selectorELNS0_4arch9wavefront6targetE1EEEvSM_.kd
    .uniform_work_group_size: 1
    .uses_dynamic_stack: false
    .vgpr_count:     0
    .vgpr_spill_count: 0
    .wavefront_size: 64
  - .args:
      - .offset:         0
        .size:           72
        .value_kind:     by_value
    .group_segment_fixed_size: 0
    .kernarg_segment_align: 8
    .kernarg_segment_size: 72
    .language:       OpenCL C
    .language_version:
      - 2
      - 0
    .max_flat_workgroup_size: 256
    .name:           _ZN7rocprim17ROCPRIM_400000_NS6detail17trampoline_kernelINS0_14default_configENS1_22reduce_config_selectorIbEEZNS1_11reduce_implILb1ES3_N6hipcub16HIPCUB_304000_NS22TransformInputIteratorIb7NonZeroIdEPdlEEPllNS8_6detail34convert_binary_result_type_wrapperINS8_3SumESD_lEEEE10hipError_tPvRmT1_T2_T3_mT4_P12ihipStream_tbEUlT_E0_NS1_11comp_targetILNS1_3genE8ELNS1_11target_archE1030ELNS1_3gpuE2ELNS1_3repE0EEENS1_30default_config_static_selectorELNS0_4arch9wavefront6targetE1EEEvSM_
    .private_segment_fixed_size: 0
    .sgpr_count:     4
    .sgpr_spill_count: 0
    .symbol:         _ZN7rocprim17ROCPRIM_400000_NS6detail17trampoline_kernelINS0_14default_configENS1_22reduce_config_selectorIbEEZNS1_11reduce_implILb1ES3_N6hipcub16HIPCUB_304000_NS22TransformInputIteratorIb7NonZeroIdEPdlEEPllNS8_6detail34convert_binary_result_type_wrapperINS8_3SumESD_lEEEE10hipError_tPvRmT1_T2_T3_mT4_P12ihipStream_tbEUlT_E0_NS1_11comp_targetILNS1_3genE8ELNS1_11target_archE1030ELNS1_3gpuE2ELNS1_3repE0EEENS1_30default_config_static_selectorELNS0_4arch9wavefront6targetE1EEEvSM_.kd
    .uniform_work_group_size: 1
    .uses_dynamic_stack: false
    .vgpr_count:     0
    .vgpr_spill_count: 0
    .wavefront_size: 64
  - .args:
      - .offset:         0
        .size:           56
        .value_kind:     by_value
    .group_segment_fixed_size: 0
    .kernarg_segment_align: 8
    .kernarg_segment_size: 56
    .language:       OpenCL C
    .language_version:
      - 2
      - 0
    .max_flat_workgroup_size: 256
    .name:           _ZN7rocprim17ROCPRIM_400000_NS6detail17trampoline_kernelINS0_14default_configENS1_22reduce_config_selectorIbEEZNS1_11reduce_implILb1ES3_N6hipcub16HIPCUB_304000_NS22TransformInputIteratorIb7NonZeroIdEPdlEEPllNS8_6detail34convert_binary_result_type_wrapperINS8_3SumESD_lEEEE10hipError_tPvRmT1_T2_T3_mT4_P12ihipStream_tbEUlT_E1_NS1_11comp_targetILNS1_3genE0ELNS1_11target_archE4294967295ELNS1_3gpuE0ELNS1_3repE0EEENS1_30default_config_static_selectorELNS0_4arch9wavefront6targetE1EEEvSM_
    .private_segment_fixed_size: 0
    .sgpr_count:     4
    .sgpr_spill_count: 0
    .symbol:         _ZN7rocprim17ROCPRIM_400000_NS6detail17trampoline_kernelINS0_14default_configENS1_22reduce_config_selectorIbEEZNS1_11reduce_implILb1ES3_N6hipcub16HIPCUB_304000_NS22TransformInputIteratorIb7NonZeroIdEPdlEEPllNS8_6detail34convert_binary_result_type_wrapperINS8_3SumESD_lEEEE10hipError_tPvRmT1_T2_T3_mT4_P12ihipStream_tbEUlT_E1_NS1_11comp_targetILNS1_3genE0ELNS1_11target_archE4294967295ELNS1_3gpuE0ELNS1_3repE0EEENS1_30default_config_static_selectorELNS0_4arch9wavefront6targetE1EEEvSM_.kd
    .uniform_work_group_size: 1
    .uses_dynamic_stack: false
    .vgpr_count:     0
    .vgpr_spill_count: 0
    .wavefront_size: 64
  - .args:
      - .offset:         0
        .size:           56
        .value_kind:     by_value
    .group_segment_fixed_size: 0
    .kernarg_segment_align: 8
    .kernarg_segment_size: 56
    .language:       OpenCL C
    .language_version:
      - 2
      - 0
    .max_flat_workgroup_size: 256
    .name:           _ZN7rocprim17ROCPRIM_400000_NS6detail17trampoline_kernelINS0_14default_configENS1_22reduce_config_selectorIbEEZNS1_11reduce_implILb1ES3_N6hipcub16HIPCUB_304000_NS22TransformInputIteratorIb7NonZeroIdEPdlEEPllNS8_6detail34convert_binary_result_type_wrapperINS8_3SumESD_lEEEE10hipError_tPvRmT1_T2_T3_mT4_P12ihipStream_tbEUlT_E1_NS1_11comp_targetILNS1_3genE5ELNS1_11target_archE942ELNS1_3gpuE9ELNS1_3repE0EEENS1_30default_config_static_selectorELNS0_4arch9wavefront6targetE1EEEvSM_
    .private_segment_fixed_size: 0
    .sgpr_count:     4
    .sgpr_spill_count: 0
    .symbol:         _ZN7rocprim17ROCPRIM_400000_NS6detail17trampoline_kernelINS0_14default_configENS1_22reduce_config_selectorIbEEZNS1_11reduce_implILb1ES3_N6hipcub16HIPCUB_304000_NS22TransformInputIteratorIb7NonZeroIdEPdlEEPllNS8_6detail34convert_binary_result_type_wrapperINS8_3SumESD_lEEEE10hipError_tPvRmT1_T2_T3_mT4_P12ihipStream_tbEUlT_E1_NS1_11comp_targetILNS1_3genE5ELNS1_11target_archE942ELNS1_3gpuE9ELNS1_3repE0EEENS1_30default_config_static_selectorELNS0_4arch9wavefront6targetE1EEEvSM_.kd
    .uniform_work_group_size: 1
    .uses_dynamic_stack: false
    .vgpr_count:     0
    .vgpr_spill_count: 0
    .wavefront_size: 64
  - .args:
      - .offset:         0
        .size:           56
        .value_kind:     by_value
    .group_segment_fixed_size: 0
    .kernarg_segment_align: 8
    .kernarg_segment_size: 56
    .language:       OpenCL C
    .language_version:
      - 2
      - 0
    .max_flat_workgroup_size: 128
    .name:           _ZN7rocprim17ROCPRIM_400000_NS6detail17trampoline_kernelINS0_14default_configENS1_22reduce_config_selectorIbEEZNS1_11reduce_implILb1ES3_N6hipcub16HIPCUB_304000_NS22TransformInputIteratorIb7NonZeroIdEPdlEEPllNS8_6detail34convert_binary_result_type_wrapperINS8_3SumESD_lEEEE10hipError_tPvRmT1_T2_T3_mT4_P12ihipStream_tbEUlT_E1_NS1_11comp_targetILNS1_3genE4ELNS1_11target_archE910ELNS1_3gpuE8ELNS1_3repE0EEENS1_30default_config_static_selectorELNS0_4arch9wavefront6targetE1EEEvSM_
    .private_segment_fixed_size: 0
    .sgpr_count:     4
    .sgpr_spill_count: 0
    .symbol:         _ZN7rocprim17ROCPRIM_400000_NS6detail17trampoline_kernelINS0_14default_configENS1_22reduce_config_selectorIbEEZNS1_11reduce_implILb1ES3_N6hipcub16HIPCUB_304000_NS22TransformInputIteratorIb7NonZeroIdEPdlEEPllNS8_6detail34convert_binary_result_type_wrapperINS8_3SumESD_lEEEE10hipError_tPvRmT1_T2_T3_mT4_P12ihipStream_tbEUlT_E1_NS1_11comp_targetILNS1_3genE4ELNS1_11target_archE910ELNS1_3gpuE8ELNS1_3repE0EEENS1_30default_config_static_selectorELNS0_4arch9wavefront6targetE1EEEvSM_.kd
    .uniform_work_group_size: 1
    .uses_dynamic_stack: false
    .vgpr_count:     0
    .vgpr_spill_count: 0
    .wavefront_size: 64
  - .args:
      - .offset:         0
        .size:           56
        .value_kind:     by_value
    .group_segment_fixed_size: 0
    .kernarg_segment_align: 8
    .kernarg_segment_size: 56
    .language:       OpenCL C
    .language_version:
      - 2
      - 0
    .max_flat_workgroup_size: 256
    .name:           _ZN7rocprim17ROCPRIM_400000_NS6detail17trampoline_kernelINS0_14default_configENS1_22reduce_config_selectorIbEEZNS1_11reduce_implILb1ES3_N6hipcub16HIPCUB_304000_NS22TransformInputIteratorIb7NonZeroIdEPdlEEPllNS8_6detail34convert_binary_result_type_wrapperINS8_3SumESD_lEEEE10hipError_tPvRmT1_T2_T3_mT4_P12ihipStream_tbEUlT_E1_NS1_11comp_targetILNS1_3genE3ELNS1_11target_archE908ELNS1_3gpuE7ELNS1_3repE0EEENS1_30default_config_static_selectorELNS0_4arch9wavefront6targetE1EEEvSM_
    .private_segment_fixed_size: 0
    .sgpr_count:     4
    .sgpr_spill_count: 0
    .symbol:         _ZN7rocprim17ROCPRIM_400000_NS6detail17trampoline_kernelINS0_14default_configENS1_22reduce_config_selectorIbEEZNS1_11reduce_implILb1ES3_N6hipcub16HIPCUB_304000_NS22TransformInputIteratorIb7NonZeroIdEPdlEEPllNS8_6detail34convert_binary_result_type_wrapperINS8_3SumESD_lEEEE10hipError_tPvRmT1_T2_T3_mT4_P12ihipStream_tbEUlT_E1_NS1_11comp_targetILNS1_3genE3ELNS1_11target_archE908ELNS1_3gpuE7ELNS1_3repE0EEENS1_30default_config_static_selectorELNS0_4arch9wavefront6targetE1EEEvSM_.kd
    .uniform_work_group_size: 1
    .uses_dynamic_stack: false
    .vgpr_count:     0
    .vgpr_spill_count: 0
    .wavefront_size: 64
  - .args:
      - .offset:         0
        .size:           56
        .value_kind:     by_value
    .group_segment_fixed_size: 144
    .kernarg_segment_align: 8
    .kernarg_segment_size: 56
    .language:       OpenCL C
    .language_version:
      - 2
      - 0
    .max_flat_workgroup_size: 128
    .name:           _ZN7rocprim17ROCPRIM_400000_NS6detail17trampoline_kernelINS0_14default_configENS1_22reduce_config_selectorIbEEZNS1_11reduce_implILb1ES3_N6hipcub16HIPCUB_304000_NS22TransformInputIteratorIb7NonZeroIdEPdlEEPllNS8_6detail34convert_binary_result_type_wrapperINS8_3SumESD_lEEEE10hipError_tPvRmT1_T2_T3_mT4_P12ihipStream_tbEUlT_E1_NS1_11comp_targetILNS1_3genE2ELNS1_11target_archE906ELNS1_3gpuE6ELNS1_3repE0EEENS1_30default_config_static_selectorELNS0_4arch9wavefront6targetE1EEEvSM_
    .private_segment_fixed_size: 20
    .sgpr_count:     44
    .sgpr_spill_count: 0
    .symbol:         _ZN7rocprim17ROCPRIM_400000_NS6detail17trampoline_kernelINS0_14default_configENS1_22reduce_config_selectorIbEEZNS1_11reduce_implILb1ES3_N6hipcub16HIPCUB_304000_NS22TransformInputIteratorIb7NonZeroIdEPdlEEPllNS8_6detail34convert_binary_result_type_wrapperINS8_3SumESD_lEEEE10hipError_tPvRmT1_T2_T3_mT4_P12ihipStream_tbEUlT_E1_NS1_11comp_targetILNS1_3genE2ELNS1_11target_archE906ELNS1_3gpuE6ELNS1_3repE0EEENS1_30default_config_static_selectorELNS0_4arch9wavefront6targetE1EEEvSM_.kd
    .uniform_work_group_size: 1
    .uses_dynamic_stack: false
    .vgpr_count:     256
    .vgpr_spill_count: 6
    .wavefront_size: 64
  - .args:
      - .offset:         0
        .size:           56
        .value_kind:     by_value
    .group_segment_fixed_size: 0
    .kernarg_segment_align: 8
    .kernarg_segment_size: 56
    .language:       OpenCL C
    .language_version:
      - 2
      - 0
    .max_flat_workgroup_size: 256
    .name:           _ZN7rocprim17ROCPRIM_400000_NS6detail17trampoline_kernelINS0_14default_configENS1_22reduce_config_selectorIbEEZNS1_11reduce_implILb1ES3_N6hipcub16HIPCUB_304000_NS22TransformInputIteratorIb7NonZeroIdEPdlEEPllNS8_6detail34convert_binary_result_type_wrapperINS8_3SumESD_lEEEE10hipError_tPvRmT1_T2_T3_mT4_P12ihipStream_tbEUlT_E1_NS1_11comp_targetILNS1_3genE10ELNS1_11target_archE1201ELNS1_3gpuE5ELNS1_3repE0EEENS1_30default_config_static_selectorELNS0_4arch9wavefront6targetE1EEEvSM_
    .private_segment_fixed_size: 0
    .sgpr_count:     4
    .sgpr_spill_count: 0
    .symbol:         _ZN7rocprim17ROCPRIM_400000_NS6detail17trampoline_kernelINS0_14default_configENS1_22reduce_config_selectorIbEEZNS1_11reduce_implILb1ES3_N6hipcub16HIPCUB_304000_NS22TransformInputIteratorIb7NonZeroIdEPdlEEPllNS8_6detail34convert_binary_result_type_wrapperINS8_3SumESD_lEEEE10hipError_tPvRmT1_T2_T3_mT4_P12ihipStream_tbEUlT_E1_NS1_11comp_targetILNS1_3genE10ELNS1_11target_archE1201ELNS1_3gpuE5ELNS1_3repE0EEENS1_30default_config_static_selectorELNS0_4arch9wavefront6targetE1EEEvSM_.kd
    .uniform_work_group_size: 1
    .uses_dynamic_stack: false
    .vgpr_count:     0
    .vgpr_spill_count: 0
    .wavefront_size: 64
  - .args:
      - .offset:         0
        .size:           56
        .value_kind:     by_value
    .group_segment_fixed_size: 0
    .kernarg_segment_align: 8
    .kernarg_segment_size: 56
    .language:       OpenCL C
    .language_version:
      - 2
      - 0
    .max_flat_workgroup_size: 256
    .name:           _ZN7rocprim17ROCPRIM_400000_NS6detail17trampoline_kernelINS0_14default_configENS1_22reduce_config_selectorIbEEZNS1_11reduce_implILb1ES3_N6hipcub16HIPCUB_304000_NS22TransformInputIteratorIb7NonZeroIdEPdlEEPllNS8_6detail34convert_binary_result_type_wrapperINS8_3SumESD_lEEEE10hipError_tPvRmT1_T2_T3_mT4_P12ihipStream_tbEUlT_E1_NS1_11comp_targetILNS1_3genE10ELNS1_11target_archE1200ELNS1_3gpuE4ELNS1_3repE0EEENS1_30default_config_static_selectorELNS0_4arch9wavefront6targetE1EEEvSM_
    .private_segment_fixed_size: 0
    .sgpr_count:     4
    .sgpr_spill_count: 0
    .symbol:         _ZN7rocprim17ROCPRIM_400000_NS6detail17trampoline_kernelINS0_14default_configENS1_22reduce_config_selectorIbEEZNS1_11reduce_implILb1ES3_N6hipcub16HIPCUB_304000_NS22TransformInputIteratorIb7NonZeroIdEPdlEEPllNS8_6detail34convert_binary_result_type_wrapperINS8_3SumESD_lEEEE10hipError_tPvRmT1_T2_T3_mT4_P12ihipStream_tbEUlT_E1_NS1_11comp_targetILNS1_3genE10ELNS1_11target_archE1200ELNS1_3gpuE4ELNS1_3repE0EEENS1_30default_config_static_selectorELNS0_4arch9wavefront6targetE1EEEvSM_.kd
    .uniform_work_group_size: 1
    .uses_dynamic_stack: false
    .vgpr_count:     0
    .vgpr_spill_count: 0
    .wavefront_size: 64
  - .args:
      - .offset:         0
        .size:           56
        .value_kind:     by_value
    .group_segment_fixed_size: 0
    .kernarg_segment_align: 8
    .kernarg_segment_size: 56
    .language:       OpenCL C
    .language_version:
      - 2
      - 0
    .max_flat_workgroup_size: 128
    .name:           _ZN7rocprim17ROCPRIM_400000_NS6detail17trampoline_kernelINS0_14default_configENS1_22reduce_config_selectorIbEEZNS1_11reduce_implILb1ES3_N6hipcub16HIPCUB_304000_NS22TransformInputIteratorIb7NonZeroIdEPdlEEPllNS8_6detail34convert_binary_result_type_wrapperINS8_3SumESD_lEEEE10hipError_tPvRmT1_T2_T3_mT4_P12ihipStream_tbEUlT_E1_NS1_11comp_targetILNS1_3genE9ELNS1_11target_archE1100ELNS1_3gpuE3ELNS1_3repE0EEENS1_30default_config_static_selectorELNS0_4arch9wavefront6targetE1EEEvSM_
    .private_segment_fixed_size: 0
    .sgpr_count:     4
    .sgpr_spill_count: 0
    .symbol:         _ZN7rocprim17ROCPRIM_400000_NS6detail17trampoline_kernelINS0_14default_configENS1_22reduce_config_selectorIbEEZNS1_11reduce_implILb1ES3_N6hipcub16HIPCUB_304000_NS22TransformInputIteratorIb7NonZeroIdEPdlEEPllNS8_6detail34convert_binary_result_type_wrapperINS8_3SumESD_lEEEE10hipError_tPvRmT1_T2_T3_mT4_P12ihipStream_tbEUlT_E1_NS1_11comp_targetILNS1_3genE9ELNS1_11target_archE1100ELNS1_3gpuE3ELNS1_3repE0EEENS1_30default_config_static_selectorELNS0_4arch9wavefront6targetE1EEEvSM_.kd
    .uniform_work_group_size: 1
    .uses_dynamic_stack: false
    .vgpr_count:     0
    .vgpr_spill_count: 0
    .wavefront_size: 64
  - .args:
      - .offset:         0
        .size:           56
        .value_kind:     by_value
    .group_segment_fixed_size: 0
    .kernarg_segment_align: 8
    .kernarg_segment_size: 56
    .language:       OpenCL C
    .language_version:
      - 2
      - 0
    .max_flat_workgroup_size: 256
    .name:           _ZN7rocprim17ROCPRIM_400000_NS6detail17trampoline_kernelINS0_14default_configENS1_22reduce_config_selectorIbEEZNS1_11reduce_implILb1ES3_N6hipcub16HIPCUB_304000_NS22TransformInputIteratorIb7NonZeroIdEPdlEEPllNS8_6detail34convert_binary_result_type_wrapperINS8_3SumESD_lEEEE10hipError_tPvRmT1_T2_T3_mT4_P12ihipStream_tbEUlT_E1_NS1_11comp_targetILNS1_3genE8ELNS1_11target_archE1030ELNS1_3gpuE2ELNS1_3repE0EEENS1_30default_config_static_selectorELNS0_4arch9wavefront6targetE1EEEvSM_
    .private_segment_fixed_size: 0
    .sgpr_count:     4
    .sgpr_spill_count: 0
    .symbol:         _ZN7rocprim17ROCPRIM_400000_NS6detail17trampoline_kernelINS0_14default_configENS1_22reduce_config_selectorIbEEZNS1_11reduce_implILb1ES3_N6hipcub16HIPCUB_304000_NS22TransformInputIteratorIb7NonZeroIdEPdlEEPllNS8_6detail34convert_binary_result_type_wrapperINS8_3SumESD_lEEEE10hipError_tPvRmT1_T2_T3_mT4_P12ihipStream_tbEUlT_E1_NS1_11comp_targetILNS1_3genE8ELNS1_11target_archE1030ELNS1_3gpuE2ELNS1_3repE0EEENS1_30default_config_static_selectorELNS0_4arch9wavefront6targetE1EEEvSM_.kd
    .uniform_work_group_size: 1
    .uses_dynamic_stack: false
    .vgpr_count:     0
    .vgpr_spill_count: 0
    .wavefront_size: 64
  - .args:
      - .offset:         0
        .size:           120
        .value_kind:     by_value
    .group_segment_fixed_size: 0
    .kernarg_segment_align: 8
    .kernarg_segment_size: 120
    .language:       OpenCL C
    .language_version:
      - 2
      - 0
    .max_flat_workgroup_size: 128
    .name:           _ZN7rocprim17ROCPRIM_400000_NS6detail17trampoline_kernelINS0_14default_configENS1_25partition_config_selectorILNS1_17partition_subalgoE5ElNS0_10empty_typeEbEEZZNS1_14partition_implILS5_5ELb0ES3_mN6hipcub16HIPCUB_304000_NS21CountingInputIteratorIllEEPS6_NSA_22TransformInputIteratorIb7NonZeroIdEPdlEENS0_5tupleIJPlS6_EEENSJ_IJSD_SD_EEES6_SK_JS6_EEE10hipError_tPvRmT3_T4_T5_T6_T7_T9_mT8_P12ihipStream_tbDpT10_ENKUlT_T0_E_clISt17integral_constantIbLb0EES16_EEDaS11_S12_EUlS11_E_NS1_11comp_targetILNS1_3genE0ELNS1_11target_archE4294967295ELNS1_3gpuE0ELNS1_3repE0EEENS1_30default_config_static_selectorELNS0_4arch9wavefront6targetE1EEEvT1_
    .private_segment_fixed_size: 0
    .sgpr_count:     4
    .sgpr_spill_count: 0
    .symbol:         _ZN7rocprim17ROCPRIM_400000_NS6detail17trampoline_kernelINS0_14default_configENS1_25partition_config_selectorILNS1_17partition_subalgoE5ElNS0_10empty_typeEbEEZZNS1_14partition_implILS5_5ELb0ES3_mN6hipcub16HIPCUB_304000_NS21CountingInputIteratorIllEEPS6_NSA_22TransformInputIteratorIb7NonZeroIdEPdlEENS0_5tupleIJPlS6_EEENSJ_IJSD_SD_EEES6_SK_JS6_EEE10hipError_tPvRmT3_T4_T5_T6_T7_T9_mT8_P12ihipStream_tbDpT10_ENKUlT_T0_E_clISt17integral_constantIbLb0EES16_EEDaS11_S12_EUlS11_E_NS1_11comp_targetILNS1_3genE0ELNS1_11target_archE4294967295ELNS1_3gpuE0ELNS1_3repE0EEENS1_30default_config_static_selectorELNS0_4arch9wavefront6targetE1EEEvT1_.kd
    .uniform_work_group_size: 1
    .uses_dynamic_stack: false
    .vgpr_count:     0
    .vgpr_spill_count: 0
    .wavefront_size: 64
  - .args:
      - .offset:         0
        .size:           120
        .value_kind:     by_value
    .group_segment_fixed_size: 0
    .kernarg_segment_align: 8
    .kernarg_segment_size: 120
    .language:       OpenCL C
    .language_version:
      - 2
      - 0
    .max_flat_workgroup_size: 512
    .name:           _ZN7rocprim17ROCPRIM_400000_NS6detail17trampoline_kernelINS0_14default_configENS1_25partition_config_selectorILNS1_17partition_subalgoE5ElNS0_10empty_typeEbEEZZNS1_14partition_implILS5_5ELb0ES3_mN6hipcub16HIPCUB_304000_NS21CountingInputIteratorIllEEPS6_NSA_22TransformInputIteratorIb7NonZeroIdEPdlEENS0_5tupleIJPlS6_EEENSJ_IJSD_SD_EEES6_SK_JS6_EEE10hipError_tPvRmT3_T4_T5_T6_T7_T9_mT8_P12ihipStream_tbDpT10_ENKUlT_T0_E_clISt17integral_constantIbLb0EES16_EEDaS11_S12_EUlS11_E_NS1_11comp_targetILNS1_3genE5ELNS1_11target_archE942ELNS1_3gpuE9ELNS1_3repE0EEENS1_30default_config_static_selectorELNS0_4arch9wavefront6targetE1EEEvT1_
    .private_segment_fixed_size: 0
    .sgpr_count:     4
    .sgpr_spill_count: 0
    .symbol:         _ZN7rocprim17ROCPRIM_400000_NS6detail17trampoline_kernelINS0_14default_configENS1_25partition_config_selectorILNS1_17partition_subalgoE5ElNS0_10empty_typeEbEEZZNS1_14partition_implILS5_5ELb0ES3_mN6hipcub16HIPCUB_304000_NS21CountingInputIteratorIllEEPS6_NSA_22TransformInputIteratorIb7NonZeroIdEPdlEENS0_5tupleIJPlS6_EEENSJ_IJSD_SD_EEES6_SK_JS6_EEE10hipError_tPvRmT3_T4_T5_T6_T7_T9_mT8_P12ihipStream_tbDpT10_ENKUlT_T0_E_clISt17integral_constantIbLb0EES16_EEDaS11_S12_EUlS11_E_NS1_11comp_targetILNS1_3genE5ELNS1_11target_archE942ELNS1_3gpuE9ELNS1_3repE0EEENS1_30default_config_static_selectorELNS0_4arch9wavefront6targetE1EEEvT1_.kd
    .uniform_work_group_size: 1
    .uses_dynamic_stack: false
    .vgpr_count:     0
    .vgpr_spill_count: 0
    .wavefront_size: 64
  - .args:
      - .offset:         0
        .size:           120
        .value_kind:     by_value
    .group_segment_fixed_size: 0
    .kernarg_segment_align: 8
    .kernarg_segment_size: 120
    .language:       OpenCL C
    .language_version:
      - 2
      - 0
    .max_flat_workgroup_size: 192
    .name:           _ZN7rocprim17ROCPRIM_400000_NS6detail17trampoline_kernelINS0_14default_configENS1_25partition_config_selectorILNS1_17partition_subalgoE5ElNS0_10empty_typeEbEEZZNS1_14partition_implILS5_5ELb0ES3_mN6hipcub16HIPCUB_304000_NS21CountingInputIteratorIllEEPS6_NSA_22TransformInputIteratorIb7NonZeroIdEPdlEENS0_5tupleIJPlS6_EEENSJ_IJSD_SD_EEES6_SK_JS6_EEE10hipError_tPvRmT3_T4_T5_T6_T7_T9_mT8_P12ihipStream_tbDpT10_ENKUlT_T0_E_clISt17integral_constantIbLb0EES16_EEDaS11_S12_EUlS11_E_NS1_11comp_targetILNS1_3genE4ELNS1_11target_archE910ELNS1_3gpuE8ELNS1_3repE0EEENS1_30default_config_static_selectorELNS0_4arch9wavefront6targetE1EEEvT1_
    .private_segment_fixed_size: 0
    .sgpr_count:     4
    .sgpr_spill_count: 0
    .symbol:         _ZN7rocprim17ROCPRIM_400000_NS6detail17trampoline_kernelINS0_14default_configENS1_25partition_config_selectorILNS1_17partition_subalgoE5ElNS0_10empty_typeEbEEZZNS1_14partition_implILS5_5ELb0ES3_mN6hipcub16HIPCUB_304000_NS21CountingInputIteratorIllEEPS6_NSA_22TransformInputIteratorIb7NonZeroIdEPdlEENS0_5tupleIJPlS6_EEENSJ_IJSD_SD_EEES6_SK_JS6_EEE10hipError_tPvRmT3_T4_T5_T6_T7_T9_mT8_P12ihipStream_tbDpT10_ENKUlT_T0_E_clISt17integral_constantIbLb0EES16_EEDaS11_S12_EUlS11_E_NS1_11comp_targetILNS1_3genE4ELNS1_11target_archE910ELNS1_3gpuE8ELNS1_3repE0EEENS1_30default_config_static_selectorELNS0_4arch9wavefront6targetE1EEEvT1_.kd
    .uniform_work_group_size: 1
    .uses_dynamic_stack: false
    .vgpr_count:     0
    .vgpr_spill_count: 0
    .wavefront_size: 64
  - .args:
      - .offset:         0
        .size:           120
        .value_kind:     by_value
    .group_segment_fixed_size: 0
    .kernarg_segment_align: 8
    .kernarg_segment_size: 120
    .language:       OpenCL C
    .language_version:
      - 2
      - 0
    .max_flat_workgroup_size: 128
    .name:           _ZN7rocprim17ROCPRIM_400000_NS6detail17trampoline_kernelINS0_14default_configENS1_25partition_config_selectorILNS1_17partition_subalgoE5ElNS0_10empty_typeEbEEZZNS1_14partition_implILS5_5ELb0ES3_mN6hipcub16HIPCUB_304000_NS21CountingInputIteratorIllEEPS6_NSA_22TransformInputIteratorIb7NonZeroIdEPdlEENS0_5tupleIJPlS6_EEENSJ_IJSD_SD_EEES6_SK_JS6_EEE10hipError_tPvRmT3_T4_T5_T6_T7_T9_mT8_P12ihipStream_tbDpT10_ENKUlT_T0_E_clISt17integral_constantIbLb0EES16_EEDaS11_S12_EUlS11_E_NS1_11comp_targetILNS1_3genE3ELNS1_11target_archE908ELNS1_3gpuE7ELNS1_3repE0EEENS1_30default_config_static_selectorELNS0_4arch9wavefront6targetE1EEEvT1_
    .private_segment_fixed_size: 0
    .sgpr_count:     4
    .sgpr_spill_count: 0
    .symbol:         _ZN7rocprim17ROCPRIM_400000_NS6detail17trampoline_kernelINS0_14default_configENS1_25partition_config_selectorILNS1_17partition_subalgoE5ElNS0_10empty_typeEbEEZZNS1_14partition_implILS5_5ELb0ES3_mN6hipcub16HIPCUB_304000_NS21CountingInputIteratorIllEEPS6_NSA_22TransformInputIteratorIb7NonZeroIdEPdlEENS0_5tupleIJPlS6_EEENSJ_IJSD_SD_EEES6_SK_JS6_EEE10hipError_tPvRmT3_T4_T5_T6_T7_T9_mT8_P12ihipStream_tbDpT10_ENKUlT_T0_E_clISt17integral_constantIbLb0EES16_EEDaS11_S12_EUlS11_E_NS1_11comp_targetILNS1_3genE3ELNS1_11target_archE908ELNS1_3gpuE7ELNS1_3repE0EEENS1_30default_config_static_selectorELNS0_4arch9wavefront6targetE1EEEvT1_.kd
    .uniform_work_group_size: 1
    .uses_dynamic_stack: false
    .vgpr_count:     0
    .vgpr_spill_count: 0
    .wavefront_size: 64
  - .args:
      - .offset:         0
        .size:           120
        .value_kind:     by_value
    .group_segment_fixed_size: 14352
    .kernarg_segment_align: 8
    .kernarg_segment_size: 120
    .language:       OpenCL C
    .language_version:
      - 2
      - 0
    .max_flat_workgroup_size: 256
    .name:           _ZN7rocprim17ROCPRIM_400000_NS6detail17trampoline_kernelINS0_14default_configENS1_25partition_config_selectorILNS1_17partition_subalgoE5ElNS0_10empty_typeEbEEZZNS1_14partition_implILS5_5ELb0ES3_mN6hipcub16HIPCUB_304000_NS21CountingInputIteratorIllEEPS6_NSA_22TransformInputIteratorIb7NonZeroIdEPdlEENS0_5tupleIJPlS6_EEENSJ_IJSD_SD_EEES6_SK_JS6_EEE10hipError_tPvRmT3_T4_T5_T6_T7_T9_mT8_P12ihipStream_tbDpT10_ENKUlT_T0_E_clISt17integral_constantIbLb0EES16_EEDaS11_S12_EUlS11_E_NS1_11comp_targetILNS1_3genE2ELNS1_11target_archE906ELNS1_3gpuE6ELNS1_3repE0EEENS1_30default_config_static_selectorELNS0_4arch9wavefront6targetE1EEEvT1_
    .private_segment_fixed_size: 0
    .sgpr_count:     30
    .sgpr_spill_count: 0
    .symbol:         _ZN7rocprim17ROCPRIM_400000_NS6detail17trampoline_kernelINS0_14default_configENS1_25partition_config_selectorILNS1_17partition_subalgoE5ElNS0_10empty_typeEbEEZZNS1_14partition_implILS5_5ELb0ES3_mN6hipcub16HIPCUB_304000_NS21CountingInputIteratorIllEEPS6_NSA_22TransformInputIteratorIb7NonZeroIdEPdlEENS0_5tupleIJPlS6_EEENSJ_IJSD_SD_EEES6_SK_JS6_EEE10hipError_tPvRmT3_T4_T5_T6_T7_T9_mT8_P12ihipStream_tbDpT10_ENKUlT_T0_E_clISt17integral_constantIbLb0EES16_EEDaS11_S12_EUlS11_E_NS1_11comp_targetILNS1_3genE2ELNS1_11target_archE906ELNS1_3gpuE6ELNS1_3repE0EEENS1_30default_config_static_selectorELNS0_4arch9wavefront6targetE1EEEvT1_.kd
    .uniform_work_group_size: 1
    .uses_dynamic_stack: false
    .vgpr_count:     59
    .vgpr_spill_count: 0
    .wavefront_size: 64
  - .args:
      - .offset:         0
        .size:           120
        .value_kind:     by_value
    .group_segment_fixed_size: 0
    .kernarg_segment_align: 8
    .kernarg_segment_size: 120
    .language:       OpenCL C
    .language_version:
      - 2
      - 0
    .max_flat_workgroup_size: 256
    .name:           _ZN7rocprim17ROCPRIM_400000_NS6detail17trampoline_kernelINS0_14default_configENS1_25partition_config_selectorILNS1_17partition_subalgoE5ElNS0_10empty_typeEbEEZZNS1_14partition_implILS5_5ELb0ES3_mN6hipcub16HIPCUB_304000_NS21CountingInputIteratorIllEEPS6_NSA_22TransformInputIteratorIb7NonZeroIdEPdlEENS0_5tupleIJPlS6_EEENSJ_IJSD_SD_EEES6_SK_JS6_EEE10hipError_tPvRmT3_T4_T5_T6_T7_T9_mT8_P12ihipStream_tbDpT10_ENKUlT_T0_E_clISt17integral_constantIbLb0EES16_EEDaS11_S12_EUlS11_E_NS1_11comp_targetILNS1_3genE10ELNS1_11target_archE1200ELNS1_3gpuE4ELNS1_3repE0EEENS1_30default_config_static_selectorELNS0_4arch9wavefront6targetE1EEEvT1_
    .private_segment_fixed_size: 0
    .sgpr_count:     4
    .sgpr_spill_count: 0
    .symbol:         _ZN7rocprim17ROCPRIM_400000_NS6detail17trampoline_kernelINS0_14default_configENS1_25partition_config_selectorILNS1_17partition_subalgoE5ElNS0_10empty_typeEbEEZZNS1_14partition_implILS5_5ELb0ES3_mN6hipcub16HIPCUB_304000_NS21CountingInputIteratorIllEEPS6_NSA_22TransformInputIteratorIb7NonZeroIdEPdlEENS0_5tupleIJPlS6_EEENSJ_IJSD_SD_EEES6_SK_JS6_EEE10hipError_tPvRmT3_T4_T5_T6_T7_T9_mT8_P12ihipStream_tbDpT10_ENKUlT_T0_E_clISt17integral_constantIbLb0EES16_EEDaS11_S12_EUlS11_E_NS1_11comp_targetILNS1_3genE10ELNS1_11target_archE1200ELNS1_3gpuE4ELNS1_3repE0EEENS1_30default_config_static_selectorELNS0_4arch9wavefront6targetE1EEEvT1_.kd
    .uniform_work_group_size: 1
    .uses_dynamic_stack: false
    .vgpr_count:     0
    .vgpr_spill_count: 0
    .wavefront_size: 64
  - .args:
      - .offset:         0
        .size:           120
        .value_kind:     by_value
    .group_segment_fixed_size: 0
    .kernarg_segment_align: 8
    .kernarg_segment_size: 120
    .language:       OpenCL C
    .language_version:
      - 2
      - 0
    .max_flat_workgroup_size: 128
    .name:           _ZN7rocprim17ROCPRIM_400000_NS6detail17trampoline_kernelINS0_14default_configENS1_25partition_config_selectorILNS1_17partition_subalgoE5ElNS0_10empty_typeEbEEZZNS1_14partition_implILS5_5ELb0ES3_mN6hipcub16HIPCUB_304000_NS21CountingInputIteratorIllEEPS6_NSA_22TransformInputIteratorIb7NonZeroIdEPdlEENS0_5tupleIJPlS6_EEENSJ_IJSD_SD_EEES6_SK_JS6_EEE10hipError_tPvRmT3_T4_T5_T6_T7_T9_mT8_P12ihipStream_tbDpT10_ENKUlT_T0_E_clISt17integral_constantIbLb0EES16_EEDaS11_S12_EUlS11_E_NS1_11comp_targetILNS1_3genE9ELNS1_11target_archE1100ELNS1_3gpuE3ELNS1_3repE0EEENS1_30default_config_static_selectorELNS0_4arch9wavefront6targetE1EEEvT1_
    .private_segment_fixed_size: 0
    .sgpr_count:     4
    .sgpr_spill_count: 0
    .symbol:         _ZN7rocprim17ROCPRIM_400000_NS6detail17trampoline_kernelINS0_14default_configENS1_25partition_config_selectorILNS1_17partition_subalgoE5ElNS0_10empty_typeEbEEZZNS1_14partition_implILS5_5ELb0ES3_mN6hipcub16HIPCUB_304000_NS21CountingInputIteratorIllEEPS6_NSA_22TransformInputIteratorIb7NonZeroIdEPdlEENS0_5tupleIJPlS6_EEENSJ_IJSD_SD_EEES6_SK_JS6_EEE10hipError_tPvRmT3_T4_T5_T6_T7_T9_mT8_P12ihipStream_tbDpT10_ENKUlT_T0_E_clISt17integral_constantIbLb0EES16_EEDaS11_S12_EUlS11_E_NS1_11comp_targetILNS1_3genE9ELNS1_11target_archE1100ELNS1_3gpuE3ELNS1_3repE0EEENS1_30default_config_static_selectorELNS0_4arch9wavefront6targetE1EEEvT1_.kd
    .uniform_work_group_size: 1
    .uses_dynamic_stack: false
    .vgpr_count:     0
    .vgpr_spill_count: 0
    .wavefront_size: 64
  - .args:
      - .offset:         0
        .size:           120
        .value_kind:     by_value
    .group_segment_fixed_size: 0
    .kernarg_segment_align: 8
    .kernarg_segment_size: 120
    .language:       OpenCL C
    .language_version:
      - 2
      - 0
    .max_flat_workgroup_size: 512
    .name:           _ZN7rocprim17ROCPRIM_400000_NS6detail17trampoline_kernelINS0_14default_configENS1_25partition_config_selectorILNS1_17partition_subalgoE5ElNS0_10empty_typeEbEEZZNS1_14partition_implILS5_5ELb0ES3_mN6hipcub16HIPCUB_304000_NS21CountingInputIteratorIllEEPS6_NSA_22TransformInputIteratorIb7NonZeroIdEPdlEENS0_5tupleIJPlS6_EEENSJ_IJSD_SD_EEES6_SK_JS6_EEE10hipError_tPvRmT3_T4_T5_T6_T7_T9_mT8_P12ihipStream_tbDpT10_ENKUlT_T0_E_clISt17integral_constantIbLb0EES16_EEDaS11_S12_EUlS11_E_NS1_11comp_targetILNS1_3genE8ELNS1_11target_archE1030ELNS1_3gpuE2ELNS1_3repE0EEENS1_30default_config_static_selectorELNS0_4arch9wavefront6targetE1EEEvT1_
    .private_segment_fixed_size: 0
    .sgpr_count:     4
    .sgpr_spill_count: 0
    .symbol:         _ZN7rocprim17ROCPRIM_400000_NS6detail17trampoline_kernelINS0_14default_configENS1_25partition_config_selectorILNS1_17partition_subalgoE5ElNS0_10empty_typeEbEEZZNS1_14partition_implILS5_5ELb0ES3_mN6hipcub16HIPCUB_304000_NS21CountingInputIteratorIllEEPS6_NSA_22TransformInputIteratorIb7NonZeroIdEPdlEENS0_5tupleIJPlS6_EEENSJ_IJSD_SD_EEES6_SK_JS6_EEE10hipError_tPvRmT3_T4_T5_T6_T7_T9_mT8_P12ihipStream_tbDpT10_ENKUlT_T0_E_clISt17integral_constantIbLb0EES16_EEDaS11_S12_EUlS11_E_NS1_11comp_targetILNS1_3genE8ELNS1_11target_archE1030ELNS1_3gpuE2ELNS1_3repE0EEENS1_30default_config_static_selectorELNS0_4arch9wavefront6targetE1EEEvT1_.kd
    .uniform_work_group_size: 1
    .uses_dynamic_stack: false
    .vgpr_count:     0
    .vgpr_spill_count: 0
    .wavefront_size: 64
  - .args:
      - .offset:         0
        .size:           136
        .value_kind:     by_value
    .group_segment_fixed_size: 0
    .kernarg_segment_align: 8
    .kernarg_segment_size: 136
    .language:       OpenCL C
    .language_version:
      - 2
      - 0
    .max_flat_workgroup_size: 128
    .name:           _ZN7rocprim17ROCPRIM_400000_NS6detail17trampoline_kernelINS0_14default_configENS1_25partition_config_selectorILNS1_17partition_subalgoE5ElNS0_10empty_typeEbEEZZNS1_14partition_implILS5_5ELb0ES3_mN6hipcub16HIPCUB_304000_NS21CountingInputIteratorIllEEPS6_NSA_22TransformInputIteratorIb7NonZeroIdEPdlEENS0_5tupleIJPlS6_EEENSJ_IJSD_SD_EEES6_SK_JS6_EEE10hipError_tPvRmT3_T4_T5_T6_T7_T9_mT8_P12ihipStream_tbDpT10_ENKUlT_T0_E_clISt17integral_constantIbLb1EES16_EEDaS11_S12_EUlS11_E_NS1_11comp_targetILNS1_3genE0ELNS1_11target_archE4294967295ELNS1_3gpuE0ELNS1_3repE0EEENS1_30default_config_static_selectorELNS0_4arch9wavefront6targetE1EEEvT1_
    .private_segment_fixed_size: 0
    .sgpr_count:     4
    .sgpr_spill_count: 0
    .symbol:         _ZN7rocprim17ROCPRIM_400000_NS6detail17trampoline_kernelINS0_14default_configENS1_25partition_config_selectorILNS1_17partition_subalgoE5ElNS0_10empty_typeEbEEZZNS1_14partition_implILS5_5ELb0ES3_mN6hipcub16HIPCUB_304000_NS21CountingInputIteratorIllEEPS6_NSA_22TransformInputIteratorIb7NonZeroIdEPdlEENS0_5tupleIJPlS6_EEENSJ_IJSD_SD_EEES6_SK_JS6_EEE10hipError_tPvRmT3_T4_T5_T6_T7_T9_mT8_P12ihipStream_tbDpT10_ENKUlT_T0_E_clISt17integral_constantIbLb1EES16_EEDaS11_S12_EUlS11_E_NS1_11comp_targetILNS1_3genE0ELNS1_11target_archE4294967295ELNS1_3gpuE0ELNS1_3repE0EEENS1_30default_config_static_selectorELNS0_4arch9wavefront6targetE1EEEvT1_.kd
    .uniform_work_group_size: 1
    .uses_dynamic_stack: false
    .vgpr_count:     0
    .vgpr_spill_count: 0
    .wavefront_size: 64
  - .args:
      - .offset:         0
        .size:           136
        .value_kind:     by_value
    .group_segment_fixed_size: 0
    .kernarg_segment_align: 8
    .kernarg_segment_size: 136
    .language:       OpenCL C
    .language_version:
      - 2
      - 0
    .max_flat_workgroup_size: 512
    .name:           _ZN7rocprim17ROCPRIM_400000_NS6detail17trampoline_kernelINS0_14default_configENS1_25partition_config_selectorILNS1_17partition_subalgoE5ElNS0_10empty_typeEbEEZZNS1_14partition_implILS5_5ELb0ES3_mN6hipcub16HIPCUB_304000_NS21CountingInputIteratorIllEEPS6_NSA_22TransformInputIteratorIb7NonZeroIdEPdlEENS0_5tupleIJPlS6_EEENSJ_IJSD_SD_EEES6_SK_JS6_EEE10hipError_tPvRmT3_T4_T5_T6_T7_T9_mT8_P12ihipStream_tbDpT10_ENKUlT_T0_E_clISt17integral_constantIbLb1EES16_EEDaS11_S12_EUlS11_E_NS1_11comp_targetILNS1_3genE5ELNS1_11target_archE942ELNS1_3gpuE9ELNS1_3repE0EEENS1_30default_config_static_selectorELNS0_4arch9wavefront6targetE1EEEvT1_
    .private_segment_fixed_size: 0
    .sgpr_count:     4
    .sgpr_spill_count: 0
    .symbol:         _ZN7rocprim17ROCPRIM_400000_NS6detail17trampoline_kernelINS0_14default_configENS1_25partition_config_selectorILNS1_17partition_subalgoE5ElNS0_10empty_typeEbEEZZNS1_14partition_implILS5_5ELb0ES3_mN6hipcub16HIPCUB_304000_NS21CountingInputIteratorIllEEPS6_NSA_22TransformInputIteratorIb7NonZeroIdEPdlEENS0_5tupleIJPlS6_EEENSJ_IJSD_SD_EEES6_SK_JS6_EEE10hipError_tPvRmT3_T4_T5_T6_T7_T9_mT8_P12ihipStream_tbDpT10_ENKUlT_T0_E_clISt17integral_constantIbLb1EES16_EEDaS11_S12_EUlS11_E_NS1_11comp_targetILNS1_3genE5ELNS1_11target_archE942ELNS1_3gpuE9ELNS1_3repE0EEENS1_30default_config_static_selectorELNS0_4arch9wavefront6targetE1EEEvT1_.kd
    .uniform_work_group_size: 1
    .uses_dynamic_stack: false
    .vgpr_count:     0
    .vgpr_spill_count: 0
    .wavefront_size: 64
  - .args:
      - .offset:         0
        .size:           136
        .value_kind:     by_value
    .group_segment_fixed_size: 0
    .kernarg_segment_align: 8
    .kernarg_segment_size: 136
    .language:       OpenCL C
    .language_version:
      - 2
      - 0
    .max_flat_workgroup_size: 192
    .name:           _ZN7rocprim17ROCPRIM_400000_NS6detail17trampoline_kernelINS0_14default_configENS1_25partition_config_selectorILNS1_17partition_subalgoE5ElNS0_10empty_typeEbEEZZNS1_14partition_implILS5_5ELb0ES3_mN6hipcub16HIPCUB_304000_NS21CountingInputIteratorIllEEPS6_NSA_22TransformInputIteratorIb7NonZeroIdEPdlEENS0_5tupleIJPlS6_EEENSJ_IJSD_SD_EEES6_SK_JS6_EEE10hipError_tPvRmT3_T4_T5_T6_T7_T9_mT8_P12ihipStream_tbDpT10_ENKUlT_T0_E_clISt17integral_constantIbLb1EES16_EEDaS11_S12_EUlS11_E_NS1_11comp_targetILNS1_3genE4ELNS1_11target_archE910ELNS1_3gpuE8ELNS1_3repE0EEENS1_30default_config_static_selectorELNS0_4arch9wavefront6targetE1EEEvT1_
    .private_segment_fixed_size: 0
    .sgpr_count:     4
    .sgpr_spill_count: 0
    .symbol:         _ZN7rocprim17ROCPRIM_400000_NS6detail17trampoline_kernelINS0_14default_configENS1_25partition_config_selectorILNS1_17partition_subalgoE5ElNS0_10empty_typeEbEEZZNS1_14partition_implILS5_5ELb0ES3_mN6hipcub16HIPCUB_304000_NS21CountingInputIteratorIllEEPS6_NSA_22TransformInputIteratorIb7NonZeroIdEPdlEENS0_5tupleIJPlS6_EEENSJ_IJSD_SD_EEES6_SK_JS6_EEE10hipError_tPvRmT3_T4_T5_T6_T7_T9_mT8_P12ihipStream_tbDpT10_ENKUlT_T0_E_clISt17integral_constantIbLb1EES16_EEDaS11_S12_EUlS11_E_NS1_11comp_targetILNS1_3genE4ELNS1_11target_archE910ELNS1_3gpuE8ELNS1_3repE0EEENS1_30default_config_static_selectorELNS0_4arch9wavefront6targetE1EEEvT1_.kd
    .uniform_work_group_size: 1
    .uses_dynamic_stack: false
    .vgpr_count:     0
    .vgpr_spill_count: 0
    .wavefront_size: 64
  - .args:
      - .offset:         0
        .size:           136
        .value_kind:     by_value
    .group_segment_fixed_size: 0
    .kernarg_segment_align: 8
    .kernarg_segment_size: 136
    .language:       OpenCL C
    .language_version:
      - 2
      - 0
    .max_flat_workgroup_size: 128
    .name:           _ZN7rocprim17ROCPRIM_400000_NS6detail17trampoline_kernelINS0_14default_configENS1_25partition_config_selectorILNS1_17partition_subalgoE5ElNS0_10empty_typeEbEEZZNS1_14partition_implILS5_5ELb0ES3_mN6hipcub16HIPCUB_304000_NS21CountingInputIteratorIllEEPS6_NSA_22TransformInputIteratorIb7NonZeroIdEPdlEENS0_5tupleIJPlS6_EEENSJ_IJSD_SD_EEES6_SK_JS6_EEE10hipError_tPvRmT3_T4_T5_T6_T7_T9_mT8_P12ihipStream_tbDpT10_ENKUlT_T0_E_clISt17integral_constantIbLb1EES16_EEDaS11_S12_EUlS11_E_NS1_11comp_targetILNS1_3genE3ELNS1_11target_archE908ELNS1_3gpuE7ELNS1_3repE0EEENS1_30default_config_static_selectorELNS0_4arch9wavefront6targetE1EEEvT1_
    .private_segment_fixed_size: 0
    .sgpr_count:     4
    .sgpr_spill_count: 0
    .symbol:         _ZN7rocprim17ROCPRIM_400000_NS6detail17trampoline_kernelINS0_14default_configENS1_25partition_config_selectorILNS1_17partition_subalgoE5ElNS0_10empty_typeEbEEZZNS1_14partition_implILS5_5ELb0ES3_mN6hipcub16HIPCUB_304000_NS21CountingInputIteratorIllEEPS6_NSA_22TransformInputIteratorIb7NonZeroIdEPdlEENS0_5tupleIJPlS6_EEENSJ_IJSD_SD_EEES6_SK_JS6_EEE10hipError_tPvRmT3_T4_T5_T6_T7_T9_mT8_P12ihipStream_tbDpT10_ENKUlT_T0_E_clISt17integral_constantIbLb1EES16_EEDaS11_S12_EUlS11_E_NS1_11comp_targetILNS1_3genE3ELNS1_11target_archE908ELNS1_3gpuE7ELNS1_3repE0EEENS1_30default_config_static_selectorELNS0_4arch9wavefront6targetE1EEEvT1_.kd
    .uniform_work_group_size: 1
    .uses_dynamic_stack: false
    .vgpr_count:     0
    .vgpr_spill_count: 0
    .wavefront_size: 64
  - .args:
      - .offset:         0
        .size:           136
        .value_kind:     by_value
    .group_segment_fixed_size: 0
    .kernarg_segment_align: 8
    .kernarg_segment_size: 136
    .language:       OpenCL C
    .language_version:
      - 2
      - 0
    .max_flat_workgroup_size: 256
    .name:           _ZN7rocprim17ROCPRIM_400000_NS6detail17trampoline_kernelINS0_14default_configENS1_25partition_config_selectorILNS1_17partition_subalgoE5ElNS0_10empty_typeEbEEZZNS1_14partition_implILS5_5ELb0ES3_mN6hipcub16HIPCUB_304000_NS21CountingInputIteratorIllEEPS6_NSA_22TransformInputIteratorIb7NonZeroIdEPdlEENS0_5tupleIJPlS6_EEENSJ_IJSD_SD_EEES6_SK_JS6_EEE10hipError_tPvRmT3_T4_T5_T6_T7_T9_mT8_P12ihipStream_tbDpT10_ENKUlT_T0_E_clISt17integral_constantIbLb1EES16_EEDaS11_S12_EUlS11_E_NS1_11comp_targetILNS1_3genE2ELNS1_11target_archE906ELNS1_3gpuE6ELNS1_3repE0EEENS1_30default_config_static_selectorELNS0_4arch9wavefront6targetE1EEEvT1_
    .private_segment_fixed_size: 0
    .sgpr_count:     4
    .sgpr_spill_count: 0
    .symbol:         _ZN7rocprim17ROCPRIM_400000_NS6detail17trampoline_kernelINS0_14default_configENS1_25partition_config_selectorILNS1_17partition_subalgoE5ElNS0_10empty_typeEbEEZZNS1_14partition_implILS5_5ELb0ES3_mN6hipcub16HIPCUB_304000_NS21CountingInputIteratorIllEEPS6_NSA_22TransformInputIteratorIb7NonZeroIdEPdlEENS0_5tupleIJPlS6_EEENSJ_IJSD_SD_EEES6_SK_JS6_EEE10hipError_tPvRmT3_T4_T5_T6_T7_T9_mT8_P12ihipStream_tbDpT10_ENKUlT_T0_E_clISt17integral_constantIbLb1EES16_EEDaS11_S12_EUlS11_E_NS1_11comp_targetILNS1_3genE2ELNS1_11target_archE906ELNS1_3gpuE6ELNS1_3repE0EEENS1_30default_config_static_selectorELNS0_4arch9wavefront6targetE1EEEvT1_.kd
    .uniform_work_group_size: 1
    .uses_dynamic_stack: false
    .vgpr_count:     0
    .vgpr_spill_count: 0
    .wavefront_size: 64
  - .args:
      - .offset:         0
        .size:           136
        .value_kind:     by_value
    .group_segment_fixed_size: 0
    .kernarg_segment_align: 8
    .kernarg_segment_size: 136
    .language:       OpenCL C
    .language_version:
      - 2
      - 0
    .max_flat_workgroup_size: 256
    .name:           _ZN7rocprim17ROCPRIM_400000_NS6detail17trampoline_kernelINS0_14default_configENS1_25partition_config_selectorILNS1_17partition_subalgoE5ElNS0_10empty_typeEbEEZZNS1_14partition_implILS5_5ELb0ES3_mN6hipcub16HIPCUB_304000_NS21CountingInputIteratorIllEEPS6_NSA_22TransformInputIteratorIb7NonZeroIdEPdlEENS0_5tupleIJPlS6_EEENSJ_IJSD_SD_EEES6_SK_JS6_EEE10hipError_tPvRmT3_T4_T5_T6_T7_T9_mT8_P12ihipStream_tbDpT10_ENKUlT_T0_E_clISt17integral_constantIbLb1EES16_EEDaS11_S12_EUlS11_E_NS1_11comp_targetILNS1_3genE10ELNS1_11target_archE1200ELNS1_3gpuE4ELNS1_3repE0EEENS1_30default_config_static_selectorELNS0_4arch9wavefront6targetE1EEEvT1_
    .private_segment_fixed_size: 0
    .sgpr_count:     4
    .sgpr_spill_count: 0
    .symbol:         _ZN7rocprim17ROCPRIM_400000_NS6detail17trampoline_kernelINS0_14default_configENS1_25partition_config_selectorILNS1_17partition_subalgoE5ElNS0_10empty_typeEbEEZZNS1_14partition_implILS5_5ELb0ES3_mN6hipcub16HIPCUB_304000_NS21CountingInputIteratorIllEEPS6_NSA_22TransformInputIteratorIb7NonZeroIdEPdlEENS0_5tupleIJPlS6_EEENSJ_IJSD_SD_EEES6_SK_JS6_EEE10hipError_tPvRmT3_T4_T5_T6_T7_T9_mT8_P12ihipStream_tbDpT10_ENKUlT_T0_E_clISt17integral_constantIbLb1EES16_EEDaS11_S12_EUlS11_E_NS1_11comp_targetILNS1_3genE10ELNS1_11target_archE1200ELNS1_3gpuE4ELNS1_3repE0EEENS1_30default_config_static_selectorELNS0_4arch9wavefront6targetE1EEEvT1_.kd
    .uniform_work_group_size: 1
    .uses_dynamic_stack: false
    .vgpr_count:     0
    .vgpr_spill_count: 0
    .wavefront_size: 64
  - .args:
      - .offset:         0
        .size:           136
        .value_kind:     by_value
    .group_segment_fixed_size: 0
    .kernarg_segment_align: 8
    .kernarg_segment_size: 136
    .language:       OpenCL C
    .language_version:
      - 2
      - 0
    .max_flat_workgroup_size: 128
    .name:           _ZN7rocprim17ROCPRIM_400000_NS6detail17trampoline_kernelINS0_14default_configENS1_25partition_config_selectorILNS1_17partition_subalgoE5ElNS0_10empty_typeEbEEZZNS1_14partition_implILS5_5ELb0ES3_mN6hipcub16HIPCUB_304000_NS21CountingInputIteratorIllEEPS6_NSA_22TransformInputIteratorIb7NonZeroIdEPdlEENS0_5tupleIJPlS6_EEENSJ_IJSD_SD_EEES6_SK_JS6_EEE10hipError_tPvRmT3_T4_T5_T6_T7_T9_mT8_P12ihipStream_tbDpT10_ENKUlT_T0_E_clISt17integral_constantIbLb1EES16_EEDaS11_S12_EUlS11_E_NS1_11comp_targetILNS1_3genE9ELNS1_11target_archE1100ELNS1_3gpuE3ELNS1_3repE0EEENS1_30default_config_static_selectorELNS0_4arch9wavefront6targetE1EEEvT1_
    .private_segment_fixed_size: 0
    .sgpr_count:     4
    .sgpr_spill_count: 0
    .symbol:         _ZN7rocprim17ROCPRIM_400000_NS6detail17trampoline_kernelINS0_14default_configENS1_25partition_config_selectorILNS1_17partition_subalgoE5ElNS0_10empty_typeEbEEZZNS1_14partition_implILS5_5ELb0ES3_mN6hipcub16HIPCUB_304000_NS21CountingInputIteratorIllEEPS6_NSA_22TransformInputIteratorIb7NonZeroIdEPdlEENS0_5tupleIJPlS6_EEENSJ_IJSD_SD_EEES6_SK_JS6_EEE10hipError_tPvRmT3_T4_T5_T6_T7_T9_mT8_P12ihipStream_tbDpT10_ENKUlT_T0_E_clISt17integral_constantIbLb1EES16_EEDaS11_S12_EUlS11_E_NS1_11comp_targetILNS1_3genE9ELNS1_11target_archE1100ELNS1_3gpuE3ELNS1_3repE0EEENS1_30default_config_static_selectorELNS0_4arch9wavefront6targetE1EEEvT1_.kd
    .uniform_work_group_size: 1
    .uses_dynamic_stack: false
    .vgpr_count:     0
    .vgpr_spill_count: 0
    .wavefront_size: 64
  - .args:
      - .offset:         0
        .size:           136
        .value_kind:     by_value
    .group_segment_fixed_size: 0
    .kernarg_segment_align: 8
    .kernarg_segment_size: 136
    .language:       OpenCL C
    .language_version:
      - 2
      - 0
    .max_flat_workgroup_size: 512
    .name:           _ZN7rocprim17ROCPRIM_400000_NS6detail17trampoline_kernelINS0_14default_configENS1_25partition_config_selectorILNS1_17partition_subalgoE5ElNS0_10empty_typeEbEEZZNS1_14partition_implILS5_5ELb0ES3_mN6hipcub16HIPCUB_304000_NS21CountingInputIteratorIllEEPS6_NSA_22TransformInputIteratorIb7NonZeroIdEPdlEENS0_5tupleIJPlS6_EEENSJ_IJSD_SD_EEES6_SK_JS6_EEE10hipError_tPvRmT3_T4_T5_T6_T7_T9_mT8_P12ihipStream_tbDpT10_ENKUlT_T0_E_clISt17integral_constantIbLb1EES16_EEDaS11_S12_EUlS11_E_NS1_11comp_targetILNS1_3genE8ELNS1_11target_archE1030ELNS1_3gpuE2ELNS1_3repE0EEENS1_30default_config_static_selectorELNS0_4arch9wavefront6targetE1EEEvT1_
    .private_segment_fixed_size: 0
    .sgpr_count:     4
    .sgpr_spill_count: 0
    .symbol:         _ZN7rocprim17ROCPRIM_400000_NS6detail17trampoline_kernelINS0_14default_configENS1_25partition_config_selectorILNS1_17partition_subalgoE5ElNS0_10empty_typeEbEEZZNS1_14partition_implILS5_5ELb0ES3_mN6hipcub16HIPCUB_304000_NS21CountingInputIteratorIllEEPS6_NSA_22TransformInputIteratorIb7NonZeroIdEPdlEENS0_5tupleIJPlS6_EEENSJ_IJSD_SD_EEES6_SK_JS6_EEE10hipError_tPvRmT3_T4_T5_T6_T7_T9_mT8_P12ihipStream_tbDpT10_ENKUlT_T0_E_clISt17integral_constantIbLb1EES16_EEDaS11_S12_EUlS11_E_NS1_11comp_targetILNS1_3genE8ELNS1_11target_archE1030ELNS1_3gpuE2ELNS1_3repE0EEENS1_30default_config_static_selectorELNS0_4arch9wavefront6targetE1EEEvT1_.kd
    .uniform_work_group_size: 1
    .uses_dynamic_stack: false
    .vgpr_count:     0
    .vgpr_spill_count: 0
    .wavefront_size: 64
  - .args:
      - .offset:         0
        .size:           120
        .value_kind:     by_value
    .group_segment_fixed_size: 0
    .kernarg_segment_align: 8
    .kernarg_segment_size: 120
    .language:       OpenCL C
    .language_version:
      - 2
      - 0
    .max_flat_workgroup_size: 128
    .name:           _ZN7rocprim17ROCPRIM_400000_NS6detail17trampoline_kernelINS0_14default_configENS1_25partition_config_selectorILNS1_17partition_subalgoE5ElNS0_10empty_typeEbEEZZNS1_14partition_implILS5_5ELb0ES3_mN6hipcub16HIPCUB_304000_NS21CountingInputIteratorIllEEPS6_NSA_22TransformInputIteratorIb7NonZeroIdEPdlEENS0_5tupleIJPlS6_EEENSJ_IJSD_SD_EEES6_SK_JS6_EEE10hipError_tPvRmT3_T4_T5_T6_T7_T9_mT8_P12ihipStream_tbDpT10_ENKUlT_T0_E_clISt17integral_constantIbLb1EES15_IbLb0EEEEDaS11_S12_EUlS11_E_NS1_11comp_targetILNS1_3genE0ELNS1_11target_archE4294967295ELNS1_3gpuE0ELNS1_3repE0EEENS1_30default_config_static_selectorELNS0_4arch9wavefront6targetE1EEEvT1_
    .private_segment_fixed_size: 0
    .sgpr_count:     4
    .sgpr_spill_count: 0
    .symbol:         _ZN7rocprim17ROCPRIM_400000_NS6detail17trampoline_kernelINS0_14default_configENS1_25partition_config_selectorILNS1_17partition_subalgoE5ElNS0_10empty_typeEbEEZZNS1_14partition_implILS5_5ELb0ES3_mN6hipcub16HIPCUB_304000_NS21CountingInputIteratorIllEEPS6_NSA_22TransformInputIteratorIb7NonZeroIdEPdlEENS0_5tupleIJPlS6_EEENSJ_IJSD_SD_EEES6_SK_JS6_EEE10hipError_tPvRmT3_T4_T5_T6_T7_T9_mT8_P12ihipStream_tbDpT10_ENKUlT_T0_E_clISt17integral_constantIbLb1EES15_IbLb0EEEEDaS11_S12_EUlS11_E_NS1_11comp_targetILNS1_3genE0ELNS1_11target_archE4294967295ELNS1_3gpuE0ELNS1_3repE0EEENS1_30default_config_static_selectorELNS0_4arch9wavefront6targetE1EEEvT1_.kd
    .uniform_work_group_size: 1
    .uses_dynamic_stack: false
    .vgpr_count:     0
    .vgpr_spill_count: 0
    .wavefront_size: 64
  - .args:
      - .offset:         0
        .size:           120
        .value_kind:     by_value
    .group_segment_fixed_size: 0
    .kernarg_segment_align: 8
    .kernarg_segment_size: 120
    .language:       OpenCL C
    .language_version:
      - 2
      - 0
    .max_flat_workgroup_size: 512
    .name:           _ZN7rocprim17ROCPRIM_400000_NS6detail17trampoline_kernelINS0_14default_configENS1_25partition_config_selectorILNS1_17partition_subalgoE5ElNS0_10empty_typeEbEEZZNS1_14partition_implILS5_5ELb0ES3_mN6hipcub16HIPCUB_304000_NS21CountingInputIteratorIllEEPS6_NSA_22TransformInputIteratorIb7NonZeroIdEPdlEENS0_5tupleIJPlS6_EEENSJ_IJSD_SD_EEES6_SK_JS6_EEE10hipError_tPvRmT3_T4_T5_T6_T7_T9_mT8_P12ihipStream_tbDpT10_ENKUlT_T0_E_clISt17integral_constantIbLb1EES15_IbLb0EEEEDaS11_S12_EUlS11_E_NS1_11comp_targetILNS1_3genE5ELNS1_11target_archE942ELNS1_3gpuE9ELNS1_3repE0EEENS1_30default_config_static_selectorELNS0_4arch9wavefront6targetE1EEEvT1_
    .private_segment_fixed_size: 0
    .sgpr_count:     4
    .sgpr_spill_count: 0
    .symbol:         _ZN7rocprim17ROCPRIM_400000_NS6detail17trampoline_kernelINS0_14default_configENS1_25partition_config_selectorILNS1_17partition_subalgoE5ElNS0_10empty_typeEbEEZZNS1_14partition_implILS5_5ELb0ES3_mN6hipcub16HIPCUB_304000_NS21CountingInputIteratorIllEEPS6_NSA_22TransformInputIteratorIb7NonZeroIdEPdlEENS0_5tupleIJPlS6_EEENSJ_IJSD_SD_EEES6_SK_JS6_EEE10hipError_tPvRmT3_T4_T5_T6_T7_T9_mT8_P12ihipStream_tbDpT10_ENKUlT_T0_E_clISt17integral_constantIbLb1EES15_IbLb0EEEEDaS11_S12_EUlS11_E_NS1_11comp_targetILNS1_3genE5ELNS1_11target_archE942ELNS1_3gpuE9ELNS1_3repE0EEENS1_30default_config_static_selectorELNS0_4arch9wavefront6targetE1EEEvT1_.kd
    .uniform_work_group_size: 1
    .uses_dynamic_stack: false
    .vgpr_count:     0
    .vgpr_spill_count: 0
    .wavefront_size: 64
  - .args:
      - .offset:         0
        .size:           120
        .value_kind:     by_value
    .group_segment_fixed_size: 0
    .kernarg_segment_align: 8
    .kernarg_segment_size: 120
    .language:       OpenCL C
    .language_version:
      - 2
      - 0
    .max_flat_workgroup_size: 192
    .name:           _ZN7rocprim17ROCPRIM_400000_NS6detail17trampoline_kernelINS0_14default_configENS1_25partition_config_selectorILNS1_17partition_subalgoE5ElNS0_10empty_typeEbEEZZNS1_14partition_implILS5_5ELb0ES3_mN6hipcub16HIPCUB_304000_NS21CountingInputIteratorIllEEPS6_NSA_22TransformInputIteratorIb7NonZeroIdEPdlEENS0_5tupleIJPlS6_EEENSJ_IJSD_SD_EEES6_SK_JS6_EEE10hipError_tPvRmT3_T4_T5_T6_T7_T9_mT8_P12ihipStream_tbDpT10_ENKUlT_T0_E_clISt17integral_constantIbLb1EES15_IbLb0EEEEDaS11_S12_EUlS11_E_NS1_11comp_targetILNS1_3genE4ELNS1_11target_archE910ELNS1_3gpuE8ELNS1_3repE0EEENS1_30default_config_static_selectorELNS0_4arch9wavefront6targetE1EEEvT1_
    .private_segment_fixed_size: 0
    .sgpr_count:     4
    .sgpr_spill_count: 0
    .symbol:         _ZN7rocprim17ROCPRIM_400000_NS6detail17trampoline_kernelINS0_14default_configENS1_25partition_config_selectorILNS1_17partition_subalgoE5ElNS0_10empty_typeEbEEZZNS1_14partition_implILS5_5ELb0ES3_mN6hipcub16HIPCUB_304000_NS21CountingInputIteratorIllEEPS6_NSA_22TransformInputIteratorIb7NonZeroIdEPdlEENS0_5tupleIJPlS6_EEENSJ_IJSD_SD_EEES6_SK_JS6_EEE10hipError_tPvRmT3_T4_T5_T6_T7_T9_mT8_P12ihipStream_tbDpT10_ENKUlT_T0_E_clISt17integral_constantIbLb1EES15_IbLb0EEEEDaS11_S12_EUlS11_E_NS1_11comp_targetILNS1_3genE4ELNS1_11target_archE910ELNS1_3gpuE8ELNS1_3repE0EEENS1_30default_config_static_selectorELNS0_4arch9wavefront6targetE1EEEvT1_.kd
    .uniform_work_group_size: 1
    .uses_dynamic_stack: false
    .vgpr_count:     0
    .vgpr_spill_count: 0
    .wavefront_size: 64
  - .args:
      - .offset:         0
        .size:           120
        .value_kind:     by_value
    .group_segment_fixed_size: 0
    .kernarg_segment_align: 8
    .kernarg_segment_size: 120
    .language:       OpenCL C
    .language_version:
      - 2
      - 0
    .max_flat_workgroup_size: 128
    .name:           _ZN7rocprim17ROCPRIM_400000_NS6detail17trampoline_kernelINS0_14default_configENS1_25partition_config_selectorILNS1_17partition_subalgoE5ElNS0_10empty_typeEbEEZZNS1_14partition_implILS5_5ELb0ES3_mN6hipcub16HIPCUB_304000_NS21CountingInputIteratorIllEEPS6_NSA_22TransformInputIteratorIb7NonZeroIdEPdlEENS0_5tupleIJPlS6_EEENSJ_IJSD_SD_EEES6_SK_JS6_EEE10hipError_tPvRmT3_T4_T5_T6_T7_T9_mT8_P12ihipStream_tbDpT10_ENKUlT_T0_E_clISt17integral_constantIbLb1EES15_IbLb0EEEEDaS11_S12_EUlS11_E_NS1_11comp_targetILNS1_3genE3ELNS1_11target_archE908ELNS1_3gpuE7ELNS1_3repE0EEENS1_30default_config_static_selectorELNS0_4arch9wavefront6targetE1EEEvT1_
    .private_segment_fixed_size: 0
    .sgpr_count:     4
    .sgpr_spill_count: 0
    .symbol:         _ZN7rocprim17ROCPRIM_400000_NS6detail17trampoline_kernelINS0_14default_configENS1_25partition_config_selectorILNS1_17partition_subalgoE5ElNS0_10empty_typeEbEEZZNS1_14partition_implILS5_5ELb0ES3_mN6hipcub16HIPCUB_304000_NS21CountingInputIteratorIllEEPS6_NSA_22TransformInputIteratorIb7NonZeroIdEPdlEENS0_5tupleIJPlS6_EEENSJ_IJSD_SD_EEES6_SK_JS6_EEE10hipError_tPvRmT3_T4_T5_T6_T7_T9_mT8_P12ihipStream_tbDpT10_ENKUlT_T0_E_clISt17integral_constantIbLb1EES15_IbLb0EEEEDaS11_S12_EUlS11_E_NS1_11comp_targetILNS1_3genE3ELNS1_11target_archE908ELNS1_3gpuE7ELNS1_3repE0EEENS1_30default_config_static_selectorELNS0_4arch9wavefront6targetE1EEEvT1_.kd
    .uniform_work_group_size: 1
    .uses_dynamic_stack: false
    .vgpr_count:     0
    .vgpr_spill_count: 0
    .wavefront_size: 64
  - .args:
      - .offset:         0
        .size:           120
        .value_kind:     by_value
    .group_segment_fixed_size: 0
    .kernarg_segment_align: 8
    .kernarg_segment_size: 120
    .language:       OpenCL C
    .language_version:
      - 2
      - 0
    .max_flat_workgroup_size: 256
    .name:           _ZN7rocprim17ROCPRIM_400000_NS6detail17trampoline_kernelINS0_14default_configENS1_25partition_config_selectorILNS1_17partition_subalgoE5ElNS0_10empty_typeEbEEZZNS1_14partition_implILS5_5ELb0ES3_mN6hipcub16HIPCUB_304000_NS21CountingInputIteratorIllEEPS6_NSA_22TransformInputIteratorIb7NonZeroIdEPdlEENS0_5tupleIJPlS6_EEENSJ_IJSD_SD_EEES6_SK_JS6_EEE10hipError_tPvRmT3_T4_T5_T6_T7_T9_mT8_P12ihipStream_tbDpT10_ENKUlT_T0_E_clISt17integral_constantIbLb1EES15_IbLb0EEEEDaS11_S12_EUlS11_E_NS1_11comp_targetILNS1_3genE2ELNS1_11target_archE906ELNS1_3gpuE6ELNS1_3repE0EEENS1_30default_config_static_selectorELNS0_4arch9wavefront6targetE1EEEvT1_
    .private_segment_fixed_size: 0
    .sgpr_count:     4
    .sgpr_spill_count: 0
    .symbol:         _ZN7rocprim17ROCPRIM_400000_NS6detail17trampoline_kernelINS0_14default_configENS1_25partition_config_selectorILNS1_17partition_subalgoE5ElNS0_10empty_typeEbEEZZNS1_14partition_implILS5_5ELb0ES3_mN6hipcub16HIPCUB_304000_NS21CountingInputIteratorIllEEPS6_NSA_22TransformInputIteratorIb7NonZeroIdEPdlEENS0_5tupleIJPlS6_EEENSJ_IJSD_SD_EEES6_SK_JS6_EEE10hipError_tPvRmT3_T4_T5_T6_T7_T9_mT8_P12ihipStream_tbDpT10_ENKUlT_T0_E_clISt17integral_constantIbLb1EES15_IbLb0EEEEDaS11_S12_EUlS11_E_NS1_11comp_targetILNS1_3genE2ELNS1_11target_archE906ELNS1_3gpuE6ELNS1_3repE0EEENS1_30default_config_static_selectorELNS0_4arch9wavefront6targetE1EEEvT1_.kd
    .uniform_work_group_size: 1
    .uses_dynamic_stack: false
    .vgpr_count:     0
    .vgpr_spill_count: 0
    .wavefront_size: 64
  - .args:
      - .offset:         0
        .size:           120
        .value_kind:     by_value
    .group_segment_fixed_size: 0
    .kernarg_segment_align: 8
    .kernarg_segment_size: 120
    .language:       OpenCL C
    .language_version:
      - 2
      - 0
    .max_flat_workgroup_size: 256
    .name:           _ZN7rocprim17ROCPRIM_400000_NS6detail17trampoline_kernelINS0_14default_configENS1_25partition_config_selectorILNS1_17partition_subalgoE5ElNS0_10empty_typeEbEEZZNS1_14partition_implILS5_5ELb0ES3_mN6hipcub16HIPCUB_304000_NS21CountingInputIteratorIllEEPS6_NSA_22TransformInputIteratorIb7NonZeroIdEPdlEENS0_5tupleIJPlS6_EEENSJ_IJSD_SD_EEES6_SK_JS6_EEE10hipError_tPvRmT3_T4_T5_T6_T7_T9_mT8_P12ihipStream_tbDpT10_ENKUlT_T0_E_clISt17integral_constantIbLb1EES15_IbLb0EEEEDaS11_S12_EUlS11_E_NS1_11comp_targetILNS1_3genE10ELNS1_11target_archE1200ELNS1_3gpuE4ELNS1_3repE0EEENS1_30default_config_static_selectorELNS0_4arch9wavefront6targetE1EEEvT1_
    .private_segment_fixed_size: 0
    .sgpr_count:     4
    .sgpr_spill_count: 0
    .symbol:         _ZN7rocprim17ROCPRIM_400000_NS6detail17trampoline_kernelINS0_14default_configENS1_25partition_config_selectorILNS1_17partition_subalgoE5ElNS0_10empty_typeEbEEZZNS1_14partition_implILS5_5ELb0ES3_mN6hipcub16HIPCUB_304000_NS21CountingInputIteratorIllEEPS6_NSA_22TransformInputIteratorIb7NonZeroIdEPdlEENS0_5tupleIJPlS6_EEENSJ_IJSD_SD_EEES6_SK_JS6_EEE10hipError_tPvRmT3_T4_T5_T6_T7_T9_mT8_P12ihipStream_tbDpT10_ENKUlT_T0_E_clISt17integral_constantIbLb1EES15_IbLb0EEEEDaS11_S12_EUlS11_E_NS1_11comp_targetILNS1_3genE10ELNS1_11target_archE1200ELNS1_3gpuE4ELNS1_3repE0EEENS1_30default_config_static_selectorELNS0_4arch9wavefront6targetE1EEEvT1_.kd
    .uniform_work_group_size: 1
    .uses_dynamic_stack: false
    .vgpr_count:     0
    .vgpr_spill_count: 0
    .wavefront_size: 64
  - .args:
      - .offset:         0
        .size:           120
        .value_kind:     by_value
    .group_segment_fixed_size: 0
    .kernarg_segment_align: 8
    .kernarg_segment_size: 120
    .language:       OpenCL C
    .language_version:
      - 2
      - 0
    .max_flat_workgroup_size: 128
    .name:           _ZN7rocprim17ROCPRIM_400000_NS6detail17trampoline_kernelINS0_14default_configENS1_25partition_config_selectorILNS1_17partition_subalgoE5ElNS0_10empty_typeEbEEZZNS1_14partition_implILS5_5ELb0ES3_mN6hipcub16HIPCUB_304000_NS21CountingInputIteratorIllEEPS6_NSA_22TransformInputIteratorIb7NonZeroIdEPdlEENS0_5tupleIJPlS6_EEENSJ_IJSD_SD_EEES6_SK_JS6_EEE10hipError_tPvRmT3_T4_T5_T6_T7_T9_mT8_P12ihipStream_tbDpT10_ENKUlT_T0_E_clISt17integral_constantIbLb1EES15_IbLb0EEEEDaS11_S12_EUlS11_E_NS1_11comp_targetILNS1_3genE9ELNS1_11target_archE1100ELNS1_3gpuE3ELNS1_3repE0EEENS1_30default_config_static_selectorELNS0_4arch9wavefront6targetE1EEEvT1_
    .private_segment_fixed_size: 0
    .sgpr_count:     4
    .sgpr_spill_count: 0
    .symbol:         _ZN7rocprim17ROCPRIM_400000_NS6detail17trampoline_kernelINS0_14default_configENS1_25partition_config_selectorILNS1_17partition_subalgoE5ElNS0_10empty_typeEbEEZZNS1_14partition_implILS5_5ELb0ES3_mN6hipcub16HIPCUB_304000_NS21CountingInputIteratorIllEEPS6_NSA_22TransformInputIteratorIb7NonZeroIdEPdlEENS0_5tupleIJPlS6_EEENSJ_IJSD_SD_EEES6_SK_JS6_EEE10hipError_tPvRmT3_T4_T5_T6_T7_T9_mT8_P12ihipStream_tbDpT10_ENKUlT_T0_E_clISt17integral_constantIbLb1EES15_IbLb0EEEEDaS11_S12_EUlS11_E_NS1_11comp_targetILNS1_3genE9ELNS1_11target_archE1100ELNS1_3gpuE3ELNS1_3repE0EEENS1_30default_config_static_selectorELNS0_4arch9wavefront6targetE1EEEvT1_.kd
    .uniform_work_group_size: 1
    .uses_dynamic_stack: false
    .vgpr_count:     0
    .vgpr_spill_count: 0
    .wavefront_size: 64
  - .args:
      - .offset:         0
        .size:           120
        .value_kind:     by_value
    .group_segment_fixed_size: 0
    .kernarg_segment_align: 8
    .kernarg_segment_size: 120
    .language:       OpenCL C
    .language_version:
      - 2
      - 0
    .max_flat_workgroup_size: 512
    .name:           _ZN7rocprim17ROCPRIM_400000_NS6detail17trampoline_kernelINS0_14default_configENS1_25partition_config_selectorILNS1_17partition_subalgoE5ElNS0_10empty_typeEbEEZZNS1_14partition_implILS5_5ELb0ES3_mN6hipcub16HIPCUB_304000_NS21CountingInputIteratorIllEEPS6_NSA_22TransformInputIteratorIb7NonZeroIdEPdlEENS0_5tupleIJPlS6_EEENSJ_IJSD_SD_EEES6_SK_JS6_EEE10hipError_tPvRmT3_T4_T5_T6_T7_T9_mT8_P12ihipStream_tbDpT10_ENKUlT_T0_E_clISt17integral_constantIbLb1EES15_IbLb0EEEEDaS11_S12_EUlS11_E_NS1_11comp_targetILNS1_3genE8ELNS1_11target_archE1030ELNS1_3gpuE2ELNS1_3repE0EEENS1_30default_config_static_selectorELNS0_4arch9wavefront6targetE1EEEvT1_
    .private_segment_fixed_size: 0
    .sgpr_count:     4
    .sgpr_spill_count: 0
    .symbol:         _ZN7rocprim17ROCPRIM_400000_NS6detail17trampoline_kernelINS0_14default_configENS1_25partition_config_selectorILNS1_17partition_subalgoE5ElNS0_10empty_typeEbEEZZNS1_14partition_implILS5_5ELb0ES3_mN6hipcub16HIPCUB_304000_NS21CountingInputIteratorIllEEPS6_NSA_22TransformInputIteratorIb7NonZeroIdEPdlEENS0_5tupleIJPlS6_EEENSJ_IJSD_SD_EEES6_SK_JS6_EEE10hipError_tPvRmT3_T4_T5_T6_T7_T9_mT8_P12ihipStream_tbDpT10_ENKUlT_T0_E_clISt17integral_constantIbLb1EES15_IbLb0EEEEDaS11_S12_EUlS11_E_NS1_11comp_targetILNS1_3genE8ELNS1_11target_archE1030ELNS1_3gpuE2ELNS1_3repE0EEENS1_30default_config_static_selectorELNS0_4arch9wavefront6targetE1EEEvT1_.kd
    .uniform_work_group_size: 1
    .uses_dynamic_stack: false
    .vgpr_count:     0
    .vgpr_spill_count: 0
    .wavefront_size: 64
  - .args:
      - .offset:         0
        .size:           136
        .value_kind:     by_value
    .group_segment_fixed_size: 0
    .kernarg_segment_align: 8
    .kernarg_segment_size: 136
    .language:       OpenCL C
    .language_version:
      - 2
      - 0
    .max_flat_workgroup_size: 128
    .name:           _ZN7rocprim17ROCPRIM_400000_NS6detail17trampoline_kernelINS0_14default_configENS1_25partition_config_selectorILNS1_17partition_subalgoE5ElNS0_10empty_typeEbEEZZNS1_14partition_implILS5_5ELb0ES3_mN6hipcub16HIPCUB_304000_NS21CountingInputIteratorIllEEPS6_NSA_22TransformInputIteratorIb7NonZeroIdEPdlEENS0_5tupleIJPlS6_EEENSJ_IJSD_SD_EEES6_SK_JS6_EEE10hipError_tPvRmT3_T4_T5_T6_T7_T9_mT8_P12ihipStream_tbDpT10_ENKUlT_T0_E_clISt17integral_constantIbLb0EES15_IbLb1EEEEDaS11_S12_EUlS11_E_NS1_11comp_targetILNS1_3genE0ELNS1_11target_archE4294967295ELNS1_3gpuE0ELNS1_3repE0EEENS1_30default_config_static_selectorELNS0_4arch9wavefront6targetE1EEEvT1_
    .private_segment_fixed_size: 0
    .sgpr_count:     4
    .sgpr_spill_count: 0
    .symbol:         _ZN7rocprim17ROCPRIM_400000_NS6detail17trampoline_kernelINS0_14default_configENS1_25partition_config_selectorILNS1_17partition_subalgoE5ElNS0_10empty_typeEbEEZZNS1_14partition_implILS5_5ELb0ES3_mN6hipcub16HIPCUB_304000_NS21CountingInputIteratorIllEEPS6_NSA_22TransformInputIteratorIb7NonZeroIdEPdlEENS0_5tupleIJPlS6_EEENSJ_IJSD_SD_EEES6_SK_JS6_EEE10hipError_tPvRmT3_T4_T5_T6_T7_T9_mT8_P12ihipStream_tbDpT10_ENKUlT_T0_E_clISt17integral_constantIbLb0EES15_IbLb1EEEEDaS11_S12_EUlS11_E_NS1_11comp_targetILNS1_3genE0ELNS1_11target_archE4294967295ELNS1_3gpuE0ELNS1_3repE0EEENS1_30default_config_static_selectorELNS0_4arch9wavefront6targetE1EEEvT1_.kd
    .uniform_work_group_size: 1
    .uses_dynamic_stack: false
    .vgpr_count:     0
    .vgpr_spill_count: 0
    .wavefront_size: 64
  - .args:
      - .offset:         0
        .size:           136
        .value_kind:     by_value
    .group_segment_fixed_size: 0
    .kernarg_segment_align: 8
    .kernarg_segment_size: 136
    .language:       OpenCL C
    .language_version:
      - 2
      - 0
    .max_flat_workgroup_size: 512
    .name:           _ZN7rocprim17ROCPRIM_400000_NS6detail17trampoline_kernelINS0_14default_configENS1_25partition_config_selectorILNS1_17partition_subalgoE5ElNS0_10empty_typeEbEEZZNS1_14partition_implILS5_5ELb0ES3_mN6hipcub16HIPCUB_304000_NS21CountingInputIteratorIllEEPS6_NSA_22TransformInputIteratorIb7NonZeroIdEPdlEENS0_5tupleIJPlS6_EEENSJ_IJSD_SD_EEES6_SK_JS6_EEE10hipError_tPvRmT3_T4_T5_T6_T7_T9_mT8_P12ihipStream_tbDpT10_ENKUlT_T0_E_clISt17integral_constantIbLb0EES15_IbLb1EEEEDaS11_S12_EUlS11_E_NS1_11comp_targetILNS1_3genE5ELNS1_11target_archE942ELNS1_3gpuE9ELNS1_3repE0EEENS1_30default_config_static_selectorELNS0_4arch9wavefront6targetE1EEEvT1_
    .private_segment_fixed_size: 0
    .sgpr_count:     4
    .sgpr_spill_count: 0
    .symbol:         _ZN7rocprim17ROCPRIM_400000_NS6detail17trampoline_kernelINS0_14default_configENS1_25partition_config_selectorILNS1_17partition_subalgoE5ElNS0_10empty_typeEbEEZZNS1_14partition_implILS5_5ELb0ES3_mN6hipcub16HIPCUB_304000_NS21CountingInputIteratorIllEEPS6_NSA_22TransformInputIteratorIb7NonZeroIdEPdlEENS0_5tupleIJPlS6_EEENSJ_IJSD_SD_EEES6_SK_JS6_EEE10hipError_tPvRmT3_T4_T5_T6_T7_T9_mT8_P12ihipStream_tbDpT10_ENKUlT_T0_E_clISt17integral_constantIbLb0EES15_IbLb1EEEEDaS11_S12_EUlS11_E_NS1_11comp_targetILNS1_3genE5ELNS1_11target_archE942ELNS1_3gpuE9ELNS1_3repE0EEENS1_30default_config_static_selectorELNS0_4arch9wavefront6targetE1EEEvT1_.kd
    .uniform_work_group_size: 1
    .uses_dynamic_stack: false
    .vgpr_count:     0
    .vgpr_spill_count: 0
    .wavefront_size: 64
  - .args:
      - .offset:         0
        .size:           136
        .value_kind:     by_value
    .group_segment_fixed_size: 0
    .kernarg_segment_align: 8
    .kernarg_segment_size: 136
    .language:       OpenCL C
    .language_version:
      - 2
      - 0
    .max_flat_workgroup_size: 192
    .name:           _ZN7rocprim17ROCPRIM_400000_NS6detail17trampoline_kernelINS0_14default_configENS1_25partition_config_selectorILNS1_17partition_subalgoE5ElNS0_10empty_typeEbEEZZNS1_14partition_implILS5_5ELb0ES3_mN6hipcub16HIPCUB_304000_NS21CountingInputIteratorIllEEPS6_NSA_22TransformInputIteratorIb7NonZeroIdEPdlEENS0_5tupleIJPlS6_EEENSJ_IJSD_SD_EEES6_SK_JS6_EEE10hipError_tPvRmT3_T4_T5_T6_T7_T9_mT8_P12ihipStream_tbDpT10_ENKUlT_T0_E_clISt17integral_constantIbLb0EES15_IbLb1EEEEDaS11_S12_EUlS11_E_NS1_11comp_targetILNS1_3genE4ELNS1_11target_archE910ELNS1_3gpuE8ELNS1_3repE0EEENS1_30default_config_static_selectorELNS0_4arch9wavefront6targetE1EEEvT1_
    .private_segment_fixed_size: 0
    .sgpr_count:     4
    .sgpr_spill_count: 0
    .symbol:         _ZN7rocprim17ROCPRIM_400000_NS6detail17trampoline_kernelINS0_14default_configENS1_25partition_config_selectorILNS1_17partition_subalgoE5ElNS0_10empty_typeEbEEZZNS1_14partition_implILS5_5ELb0ES3_mN6hipcub16HIPCUB_304000_NS21CountingInputIteratorIllEEPS6_NSA_22TransformInputIteratorIb7NonZeroIdEPdlEENS0_5tupleIJPlS6_EEENSJ_IJSD_SD_EEES6_SK_JS6_EEE10hipError_tPvRmT3_T4_T5_T6_T7_T9_mT8_P12ihipStream_tbDpT10_ENKUlT_T0_E_clISt17integral_constantIbLb0EES15_IbLb1EEEEDaS11_S12_EUlS11_E_NS1_11comp_targetILNS1_3genE4ELNS1_11target_archE910ELNS1_3gpuE8ELNS1_3repE0EEENS1_30default_config_static_selectorELNS0_4arch9wavefront6targetE1EEEvT1_.kd
    .uniform_work_group_size: 1
    .uses_dynamic_stack: false
    .vgpr_count:     0
    .vgpr_spill_count: 0
    .wavefront_size: 64
  - .args:
      - .offset:         0
        .size:           136
        .value_kind:     by_value
    .group_segment_fixed_size: 0
    .kernarg_segment_align: 8
    .kernarg_segment_size: 136
    .language:       OpenCL C
    .language_version:
      - 2
      - 0
    .max_flat_workgroup_size: 128
    .name:           _ZN7rocprim17ROCPRIM_400000_NS6detail17trampoline_kernelINS0_14default_configENS1_25partition_config_selectorILNS1_17partition_subalgoE5ElNS0_10empty_typeEbEEZZNS1_14partition_implILS5_5ELb0ES3_mN6hipcub16HIPCUB_304000_NS21CountingInputIteratorIllEEPS6_NSA_22TransformInputIteratorIb7NonZeroIdEPdlEENS0_5tupleIJPlS6_EEENSJ_IJSD_SD_EEES6_SK_JS6_EEE10hipError_tPvRmT3_T4_T5_T6_T7_T9_mT8_P12ihipStream_tbDpT10_ENKUlT_T0_E_clISt17integral_constantIbLb0EES15_IbLb1EEEEDaS11_S12_EUlS11_E_NS1_11comp_targetILNS1_3genE3ELNS1_11target_archE908ELNS1_3gpuE7ELNS1_3repE0EEENS1_30default_config_static_selectorELNS0_4arch9wavefront6targetE1EEEvT1_
    .private_segment_fixed_size: 0
    .sgpr_count:     4
    .sgpr_spill_count: 0
    .symbol:         _ZN7rocprim17ROCPRIM_400000_NS6detail17trampoline_kernelINS0_14default_configENS1_25partition_config_selectorILNS1_17partition_subalgoE5ElNS0_10empty_typeEbEEZZNS1_14partition_implILS5_5ELb0ES3_mN6hipcub16HIPCUB_304000_NS21CountingInputIteratorIllEEPS6_NSA_22TransformInputIteratorIb7NonZeroIdEPdlEENS0_5tupleIJPlS6_EEENSJ_IJSD_SD_EEES6_SK_JS6_EEE10hipError_tPvRmT3_T4_T5_T6_T7_T9_mT8_P12ihipStream_tbDpT10_ENKUlT_T0_E_clISt17integral_constantIbLb0EES15_IbLb1EEEEDaS11_S12_EUlS11_E_NS1_11comp_targetILNS1_3genE3ELNS1_11target_archE908ELNS1_3gpuE7ELNS1_3repE0EEENS1_30default_config_static_selectorELNS0_4arch9wavefront6targetE1EEEvT1_.kd
    .uniform_work_group_size: 1
    .uses_dynamic_stack: false
    .vgpr_count:     0
    .vgpr_spill_count: 0
    .wavefront_size: 64
  - .args:
      - .offset:         0
        .size:           136
        .value_kind:     by_value
    .group_segment_fixed_size: 14352
    .kernarg_segment_align: 8
    .kernarg_segment_size: 136
    .language:       OpenCL C
    .language_version:
      - 2
      - 0
    .max_flat_workgroup_size: 256
    .name:           _ZN7rocprim17ROCPRIM_400000_NS6detail17trampoline_kernelINS0_14default_configENS1_25partition_config_selectorILNS1_17partition_subalgoE5ElNS0_10empty_typeEbEEZZNS1_14partition_implILS5_5ELb0ES3_mN6hipcub16HIPCUB_304000_NS21CountingInputIteratorIllEEPS6_NSA_22TransformInputIteratorIb7NonZeroIdEPdlEENS0_5tupleIJPlS6_EEENSJ_IJSD_SD_EEES6_SK_JS6_EEE10hipError_tPvRmT3_T4_T5_T6_T7_T9_mT8_P12ihipStream_tbDpT10_ENKUlT_T0_E_clISt17integral_constantIbLb0EES15_IbLb1EEEEDaS11_S12_EUlS11_E_NS1_11comp_targetILNS1_3genE2ELNS1_11target_archE906ELNS1_3gpuE6ELNS1_3repE0EEENS1_30default_config_static_selectorELNS0_4arch9wavefront6targetE1EEEvT1_
    .private_segment_fixed_size: 0
    .sgpr_count:     32
    .sgpr_spill_count: 0
    .symbol:         _ZN7rocprim17ROCPRIM_400000_NS6detail17trampoline_kernelINS0_14default_configENS1_25partition_config_selectorILNS1_17partition_subalgoE5ElNS0_10empty_typeEbEEZZNS1_14partition_implILS5_5ELb0ES3_mN6hipcub16HIPCUB_304000_NS21CountingInputIteratorIllEEPS6_NSA_22TransformInputIteratorIb7NonZeroIdEPdlEENS0_5tupleIJPlS6_EEENSJ_IJSD_SD_EEES6_SK_JS6_EEE10hipError_tPvRmT3_T4_T5_T6_T7_T9_mT8_P12ihipStream_tbDpT10_ENKUlT_T0_E_clISt17integral_constantIbLb0EES15_IbLb1EEEEDaS11_S12_EUlS11_E_NS1_11comp_targetILNS1_3genE2ELNS1_11target_archE906ELNS1_3gpuE6ELNS1_3repE0EEENS1_30default_config_static_selectorELNS0_4arch9wavefront6targetE1EEEvT1_.kd
    .uniform_work_group_size: 1
    .uses_dynamic_stack: false
    .vgpr_count:     59
    .vgpr_spill_count: 0
    .wavefront_size: 64
  - .args:
      - .offset:         0
        .size:           136
        .value_kind:     by_value
    .group_segment_fixed_size: 0
    .kernarg_segment_align: 8
    .kernarg_segment_size: 136
    .language:       OpenCL C
    .language_version:
      - 2
      - 0
    .max_flat_workgroup_size: 256
    .name:           _ZN7rocprim17ROCPRIM_400000_NS6detail17trampoline_kernelINS0_14default_configENS1_25partition_config_selectorILNS1_17partition_subalgoE5ElNS0_10empty_typeEbEEZZNS1_14partition_implILS5_5ELb0ES3_mN6hipcub16HIPCUB_304000_NS21CountingInputIteratorIllEEPS6_NSA_22TransformInputIteratorIb7NonZeroIdEPdlEENS0_5tupleIJPlS6_EEENSJ_IJSD_SD_EEES6_SK_JS6_EEE10hipError_tPvRmT3_T4_T5_T6_T7_T9_mT8_P12ihipStream_tbDpT10_ENKUlT_T0_E_clISt17integral_constantIbLb0EES15_IbLb1EEEEDaS11_S12_EUlS11_E_NS1_11comp_targetILNS1_3genE10ELNS1_11target_archE1200ELNS1_3gpuE4ELNS1_3repE0EEENS1_30default_config_static_selectorELNS0_4arch9wavefront6targetE1EEEvT1_
    .private_segment_fixed_size: 0
    .sgpr_count:     4
    .sgpr_spill_count: 0
    .symbol:         _ZN7rocprim17ROCPRIM_400000_NS6detail17trampoline_kernelINS0_14default_configENS1_25partition_config_selectorILNS1_17partition_subalgoE5ElNS0_10empty_typeEbEEZZNS1_14partition_implILS5_5ELb0ES3_mN6hipcub16HIPCUB_304000_NS21CountingInputIteratorIllEEPS6_NSA_22TransformInputIteratorIb7NonZeroIdEPdlEENS0_5tupleIJPlS6_EEENSJ_IJSD_SD_EEES6_SK_JS6_EEE10hipError_tPvRmT3_T4_T5_T6_T7_T9_mT8_P12ihipStream_tbDpT10_ENKUlT_T0_E_clISt17integral_constantIbLb0EES15_IbLb1EEEEDaS11_S12_EUlS11_E_NS1_11comp_targetILNS1_3genE10ELNS1_11target_archE1200ELNS1_3gpuE4ELNS1_3repE0EEENS1_30default_config_static_selectorELNS0_4arch9wavefront6targetE1EEEvT1_.kd
    .uniform_work_group_size: 1
    .uses_dynamic_stack: false
    .vgpr_count:     0
    .vgpr_spill_count: 0
    .wavefront_size: 64
  - .args:
      - .offset:         0
        .size:           136
        .value_kind:     by_value
    .group_segment_fixed_size: 0
    .kernarg_segment_align: 8
    .kernarg_segment_size: 136
    .language:       OpenCL C
    .language_version:
      - 2
      - 0
    .max_flat_workgroup_size: 128
    .name:           _ZN7rocprim17ROCPRIM_400000_NS6detail17trampoline_kernelINS0_14default_configENS1_25partition_config_selectorILNS1_17partition_subalgoE5ElNS0_10empty_typeEbEEZZNS1_14partition_implILS5_5ELb0ES3_mN6hipcub16HIPCUB_304000_NS21CountingInputIteratorIllEEPS6_NSA_22TransformInputIteratorIb7NonZeroIdEPdlEENS0_5tupleIJPlS6_EEENSJ_IJSD_SD_EEES6_SK_JS6_EEE10hipError_tPvRmT3_T4_T5_T6_T7_T9_mT8_P12ihipStream_tbDpT10_ENKUlT_T0_E_clISt17integral_constantIbLb0EES15_IbLb1EEEEDaS11_S12_EUlS11_E_NS1_11comp_targetILNS1_3genE9ELNS1_11target_archE1100ELNS1_3gpuE3ELNS1_3repE0EEENS1_30default_config_static_selectorELNS0_4arch9wavefront6targetE1EEEvT1_
    .private_segment_fixed_size: 0
    .sgpr_count:     4
    .sgpr_spill_count: 0
    .symbol:         _ZN7rocprim17ROCPRIM_400000_NS6detail17trampoline_kernelINS0_14default_configENS1_25partition_config_selectorILNS1_17partition_subalgoE5ElNS0_10empty_typeEbEEZZNS1_14partition_implILS5_5ELb0ES3_mN6hipcub16HIPCUB_304000_NS21CountingInputIteratorIllEEPS6_NSA_22TransformInputIteratorIb7NonZeroIdEPdlEENS0_5tupleIJPlS6_EEENSJ_IJSD_SD_EEES6_SK_JS6_EEE10hipError_tPvRmT3_T4_T5_T6_T7_T9_mT8_P12ihipStream_tbDpT10_ENKUlT_T0_E_clISt17integral_constantIbLb0EES15_IbLb1EEEEDaS11_S12_EUlS11_E_NS1_11comp_targetILNS1_3genE9ELNS1_11target_archE1100ELNS1_3gpuE3ELNS1_3repE0EEENS1_30default_config_static_selectorELNS0_4arch9wavefront6targetE1EEEvT1_.kd
    .uniform_work_group_size: 1
    .uses_dynamic_stack: false
    .vgpr_count:     0
    .vgpr_spill_count: 0
    .wavefront_size: 64
  - .args:
      - .offset:         0
        .size:           136
        .value_kind:     by_value
    .group_segment_fixed_size: 0
    .kernarg_segment_align: 8
    .kernarg_segment_size: 136
    .language:       OpenCL C
    .language_version:
      - 2
      - 0
    .max_flat_workgroup_size: 512
    .name:           _ZN7rocprim17ROCPRIM_400000_NS6detail17trampoline_kernelINS0_14default_configENS1_25partition_config_selectorILNS1_17partition_subalgoE5ElNS0_10empty_typeEbEEZZNS1_14partition_implILS5_5ELb0ES3_mN6hipcub16HIPCUB_304000_NS21CountingInputIteratorIllEEPS6_NSA_22TransformInputIteratorIb7NonZeroIdEPdlEENS0_5tupleIJPlS6_EEENSJ_IJSD_SD_EEES6_SK_JS6_EEE10hipError_tPvRmT3_T4_T5_T6_T7_T9_mT8_P12ihipStream_tbDpT10_ENKUlT_T0_E_clISt17integral_constantIbLb0EES15_IbLb1EEEEDaS11_S12_EUlS11_E_NS1_11comp_targetILNS1_3genE8ELNS1_11target_archE1030ELNS1_3gpuE2ELNS1_3repE0EEENS1_30default_config_static_selectorELNS0_4arch9wavefront6targetE1EEEvT1_
    .private_segment_fixed_size: 0
    .sgpr_count:     4
    .sgpr_spill_count: 0
    .symbol:         _ZN7rocprim17ROCPRIM_400000_NS6detail17trampoline_kernelINS0_14default_configENS1_25partition_config_selectorILNS1_17partition_subalgoE5ElNS0_10empty_typeEbEEZZNS1_14partition_implILS5_5ELb0ES3_mN6hipcub16HIPCUB_304000_NS21CountingInputIteratorIllEEPS6_NSA_22TransformInputIteratorIb7NonZeroIdEPdlEENS0_5tupleIJPlS6_EEENSJ_IJSD_SD_EEES6_SK_JS6_EEE10hipError_tPvRmT3_T4_T5_T6_T7_T9_mT8_P12ihipStream_tbDpT10_ENKUlT_T0_E_clISt17integral_constantIbLb0EES15_IbLb1EEEEDaS11_S12_EUlS11_E_NS1_11comp_targetILNS1_3genE8ELNS1_11target_archE1030ELNS1_3gpuE2ELNS1_3repE0EEENS1_30default_config_static_selectorELNS0_4arch9wavefront6targetE1EEEvT1_.kd
    .uniform_work_group_size: 1
    .uses_dynamic_stack: false
    .vgpr_count:     0
    .vgpr_spill_count: 0
    .wavefront_size: 64
amdhsa.target:   amdgcn-amd-amdhsa--gfx906
amdhsa.version:
  - 1
  - 2
...

	.end_amdgpu_metadata
